;; amdgpu-corpus repo=ROCm/rocSPARSE kind=compiled arch=gfx1100 opt=O3
	.text
	.amdgcn_target "amdgcn-amd-amdhsa--gfx1100"
	.amdhsa_code_object_version 6
	.section	.text._ZN9rocsparseL35csr2bsr_block_dim_equals_one_kernelILj256EiiiEEvT2_S1_S1_S1_21rocsparse_index_base_PKT0_PKT1_PKS1_S2_PS3_PS6_PS1_,"axG",@progbits,_ZN9rocsparseL35csr2bsr_block_dim_equals_one_kernelILj256EiiiEEvT2_S1_S1_S1_21rocsparse_index_base_PKT0_PKT1_PKS1_S2_PS3_PS6_PS1_,comdat
	.globl	_ZN9rocsparseL35csr2bsr_block_dim_equals_one_kernelILj256EiiiEEvT2_S1_S1_S1_21rocsparse_index_base_PKT0_PKT1_PKS1_S2_PS3_PS6_PS1_ ; -- Begin function _ZN9rocsparseL35csr2bsr_block_dim_equals_one_kernelILj256EiiiEEvT2_S1_S1_S1_21rocsparse_index_base_PKT0_PKT1_PKS1_S2_PS3_PS6_PS1_
	.p2align	8
	.type	_ZN9rocsparseL35csr2bsr_block_dim_equals_one_kernelILj256EiiiEEvT2_S1_S1_S1_21rocsparse_index_base_PKT0_PKT1_PKS1_S2_PS3_PS6_PS1_,@function
_ZN9rocsparseL35csr2bsr_block_dim_equals_one_kernelILj256EiiiEEvT2_S1_S1_S1_21rocsparse_index_base_PKT0_PKT1_PKS1_S2_PS3_PS6_PS1_: ; @_ZN9rocsparseL35csr2bsr_block_dim_equals_one_kernelILj256EiiiEEvT2_S1_S1_S1_21rocsparse_index_base_PKT0_PKT1_PKS1_S2_PS3_PS6_PS1_
; %bb.0:
	s_clause 0x1
	s_load_b32 s2, s[0:1], 0x0
	s_load_b128 s[4:7], s[0:1], 0x18
	v_lshl_or_b32 v0, s15, 8, v0
	s_waitcnt lgkmcnt(0)
	s_ashr_i32 s3, s2, 31
	s_delay_alu instid0(SALU_CYCLE_1) | instskip(NEXT) | instid1(SALU_CYCLE_1)
	s_lshl_b64 s[2:3], s[2:3], 2
	s_add_u32 s2, s6, s2
	s_addc_u32 s3, s7, s3
	s_clause 0x1
	s_load_b32 s2, s[2:3], 0x0
	s_load_b32 s3, s[6:7], 0x0
	s_waitcnt lgkmcnt(0)
	s_sub_i32 s10, s2, s3
	s_mov_b32 s2, exec_lo
	v_cmpx_gt_i32_e64 s10, v0
	s_cbranch_execz .LBB0_3
; %bb.1:
	s_clause 0x5
	s_load_b32 s11, s[0:1], 0x30
	s_load_b64 s[2:3], s[0:1], 0x38
	s_load_b32 s12, s[0:1], 0x10
	s_load_b32 s13, s[0:1], 0x50
	s_load_b64 s[6:7], s[0:1], 0x28
	s_load_b64 s[8:9], s[0:1], 0x48
	s_waitcnt lgkmcnt(0)
	s_sub_i32 s1, s11, s12
	s_lshl_b32 s11, s13, 8
	s_mov_b32 s12, 0
	.p2align	6
.LBB0_2:                                ; =>This Inner Loop Header: Depth=1
	v_ashrrev_i32_e32 v1, 31, v0
	s_delay_alu instid0(VALU_DEP_1) | instskip(SKIP_1) | instid1(VALU_DEP_2)
	v_lshlrev_b64 v[1:2], 2, v[0:1]
	v_add_nc_u32_e32 v0, s11, v0
	v_add_co_u32 v3, vcc_lo, s6, v1
	s_delay_alu instid0(VALU_DEP_3)
	v_add_co_ci_u32_e32 v4, vcc_lo, s7, v2, vcc_lo
	global_load_b32 v5, v[3:4], off
	v_add_co_u32 v3, vcc_lo, s8, v1
	v_add_co_ci_u32_e32 v4, vcc_lo, s9, v2, vcc_lo
	s_waitcnt vmcnt(0)
	v_add_nc_u32_e32 v7, s1, v5
	v_add_co_u32 v5, vcc_lo, s4, v1
	v_add_co_ci_u32_e32 v6, vcc_lo, s5, v2, vcc_lo
	global_store_b32 v[3:4], v7, off
	v_cmp_le_i32_e32 vcc_lo, s10, v0
	v_add_co_u32 v1, s0, s2, v1
	global_load_b32 v3, v[5:6], off
	v_add_co_ci_u32_e64 v2, s0, s3, v2, s0
	s_or_b32 s12, vcc_lo, s12
	s_waitcnt vmcnt(0)
	global_store_b32 v[1:2], v3, off
	s_and_not1_b32 exec_lo, exec_lo, s12
	s_cbranch_execnz .LBB0_2
.LBB0_3:
	s_nop 0
	s_sendmsg sendmsg(MSG_DEALLOC_VGPRS)
	s_endpgm
	.section	.rodata,"a",@progbits
	.p2align	6, 0x0
	.amdhsa_kernel _ZN9rocsparseL35csr2bsr_block_dim_equals_one_kernelILj256EiiiEEvT2_S1_S1_S1_21rocsparse_index_base_PKT0_PKT1_PKS1_S2_PS3_PS6_PS1_
		.amdhsa_group_segment_fixed_size 0
		.amdhsa_private_segment_fixed_size 0
		.amdhsa_kernarg_size 336
		.amdhsa_user_sgpr_count 15
		.amdhsa_user_sgpr_dispatch_ptr 0
		.amdhsa_user_sgpr_queue_ptr 0
		.amdhsa_user_sgpr_kernarg_segment_ptr 1
		.amdhsa_user_sgpr_dispatch_id 0
		.amdhsa_user_sgpr_private_segment_size 0
		.amdhsa_wavefront_size32 1
		.amdhsa_uses_dynamic_stack 0
		.amdhsa_enable_private_segment 0
		.amdhsa_system_sgpr_workgroup_id_x 1
		.amdhsa_system_sgpr_workgroup_id_y 0
		.amdhsa_system_sgpr_workgroup_id_z 0
		.amdhsa_system_sgpr_workgroup_info 0
		.amdhsa_system_vgpr_workitem_id 0
		.amdhsa_next_free_vgpr 8
		.amdhsa_next_free_sgpr 16
		.amdhsa_reserve_vcc 1
		.amdhsa_float_round_mode_32 0
		.amdhsa_float_round_mode_16_64 0
		.amdhsa_float_denorm_mode_32 3
		.amdhsa_float_denorm_mode_16_64 3
		.amdhsa_dx10_clamp 1
		.amdhsa_ieee_mode 1
		.amdhsa_fp16_overflow 0
		.amdhsa_workgroup_processor_mode 1
		.amdhsa_memory_ordered 1
		.amdhsa_forward_progress 0
		.amdhsa_shared_vgpr_count 0
		.amdhsa_exception_fp_ieee_invalid_op 0
		.amdhsa_exception_fp_denorm_src 0
		.amdhsa_exception_fp_ieee_div_zero 0
		.amdhsa_exception_fp_ieee_overflow 0
		.amdhsa_exception_fp_ieee_underflow 0
		.amdhsa_exception_fp_ieee_inexact 0
		.amdhsa_exception_int_div_zero 0
	.end_amdhsa_kernel
	.section	.text._ZN9rocsparseL35csr2bsr_block_dim_equals_one_kernelILj256EiiiEEvT2_S1_S1_S1_21rocsparse_index_base_PKT0_PKT1_PKS1_S2_PS3_PS6_PS1_,"axG",@progbits,_ZN9rocsparseL35csr2bsr_block_dim_equals_one_kernelILj256EiiiEEvT2_S1_S1_S1_21rocsparse_index_base_PKT0_PKT1_PKS1_S2_PS3_PS6_PS1_,comdat
.Lfunc_end0:
	.size	_ZN9rocsparseL35csr2bsr_block_dim_equals_one_kernelILj256EiiiEEvT2_S1_S1_S1_21rocsparse_index_base_PKT0_PKT1_PKS1_S2_PS3_PS6_PS1_, .Lfunc_end0-_ZN9rocsparseL35csr2bsr_block_dim_equals_one_kernelILj256EiiiEEvT2_S1_S1_S1_21rocsparse_index_base_PKT0_PKT1_PKS1_S2_PS3_PS6_PS1_
                                        ; -- End function
	.section	.AMDGPU.csdata,"",@progbits
; Kernel info:
; codeLenInByte = 312
; NumSgprs: 18
; NumVgprs: 8
; ScratchSize: 0
; MemoryBound: 0
; FloatMode: 240
; IeeeMode: 1
; LDSByteSize: 0 bytes/workgroup (compile time only)
; SGPRBlocks: 2
; VGPRBlocks: 0
; NumSGPRsForWavesPerEU: 18
; NumVGPRsForWavesPerEU: 8
; Occupancy: 16
; WaveLimiterHint : 0
; COMPUTE_PGM_RSRC2:SCRATCH_EN: 0
; COMPUTE_PGM_RSRC2:USER_SGPR: 15
; COMPUTE_PGM_RSRC2:TRAP_HANDLER: 0
; COMPUTE_PGM_RSRC2:TGID_X_EN: 1
; COMPUTE_PGM_RSRC2:TGID_Y_EN: 0
; COMPUTE_PGM_RSRC2:TGID_Z_EN: 0
; COMPUTE_PGM_RSRC2:TIDIG_COMP_CNT: 0
	.section	.text._ZN9rocsparseL42csr2bsr_wavefront_per_row_multipass_kernelILj256ELj16ELj4EiiiEEv20rocsparse_direction_T4_S2_S2_S2_S2_21rocsparse_index_base_PKT2_PKT3_PKS2_S3_PS4_PS7_PS2_,"axG",@progbits,_ZN9rocsparseL42csr2bsr_wavefront_per_row_multipass_kernelILj256ELj16ELj4EiiiEEv20rocsparse_direction_T4_S2_S2_S2_S2_21rocsparse_index_base_PKT2_PKT3_PKS2_S3_PS4_PS7_PS2_,comdat
	.globl	_ZN9rocsparseL42csr2bsr_wavefront_per_row_multipass_kernelILj256ELj16ELj4EiiiEEv20rocsparse_direction_T4_S2_S2_S2_S2_21rocsparse_index_base_PKT2_PKT3_PKS2_S3_PS4_PS7_PS2_ ; -- Begin function _ZN9rocsparseL42csr2bsr_wavefront_per_row_multipass_kernelILj256ELj16ELj4EiiiEEv20rocsparse_direction_T4_S2_S2_S2_S2_21rocsparse_index_base_PKT2_PKT3_PKS2_S3_PS4_PS7_PS2_
	.p2align	8
	.type	_ZN9rocsparseL42csr2bsr_wavefront_per_row_multipass_kernelILj256ELj16ELj4EiiiEEv20rocsparse_direction_T4_S2_S2_S2_S2_21rocsparse_index_base_PKT2_PKT3_PKS2_S3_PS4_PS7_PS2_,@function
_ZN9rocsparseL42csr2bsr_wavefront_per_row_multipass_kernelILj256ELj16ELj4EiiiEEv20rocsparse_direction_T4_S2_S2_S2_S2_21rocsparse_index_base_PKT2_PKT3_PKS2_S3_PS4_PS7_PS2_: ; @_ZN9rocsparseL42csr2bsr_wavefront_per_row_multipass_kernelILj256ELj16ELj4EiiiEEv20rocsparse_direction_T4_S2_S2_S2_S2_21rocsparse_index_base_PKT2_PKT3_PKS2_S3_PS4_PS7_PS2_
; %bb.0:
	s_clause 0x1
	s_load_b128 s[4:7], s[0:1], 0xc
	s_load_b64 s[10:11], s[0:1], 0x0
	v_lshrrev_b32_e32 v7, 4, v0
	v_bfe_u32 v4, v0, 2, 2
	s_load_b64 s[8:9], s[0:1], 0x28
	v_dual_mov_b32 v8, 0 :: v_dual_mov_b32 v11, 0
	s_delay_alu instid0(VALU_DEP_3) | instskip(SKIP_1) | instid1(VALU_DEP_1)
	v_lshl_or_b32 v2, s15, 4, v7
	s_waitcnt lgkmcnt(0)
	v_mad_u64_u32 v[5:6], null, v2, s6, v[4:5]
	v_cmp_gt_i32_e32 vcc_lo, s6, v4
	s_delay_alu instid0(VALU_DEP_2) | instskip(NEXT) | instid1(VALU_DEP_1)
	v_cmp_gt_i32_e64 s2, s11, v5
	s_and_b32 s3, vcc_lo, s2
	s_delay_alu instid0(SALU_CYCLE_1)
	s_and_saveexec_b32 s11, s3
	s_cbranch_execz .LBB1_2
; %bb.1:
	v_ashrrev_i32_e32 v6, 31, v5
	s_delay_alu instid0(VALU_DEP_1) | instskip(NEXT) | instid1(VALU_DEP_1)
	v_lshlrev_b64 v[9:10], 2, v[5:6]
	v_add_co_u32 v9, s2, s8, v9
	s_delay_alu instid0(VALU_DEP_1)
	v_add_co_ci_u32_e64 v10, s2, s9, v10, s2
	global_load_b32 v1, v[9:10], off
	s_waitcnt vmcnt(0)
	v_subrev_nc_u32_e32 v11, s7, v1
.LBB1_2:
	s_or_b32 exec_lo, exec_lo, s11
	s_and_saveexec_b32 s11, s3
	s_cbranch_execz .LBB1_4
; %bb.3:
	v_ashrrev_i32_e32 v6, 31, v5
	s_delay_alu instid0(VALU_DEP_1) | instskip(NEXT) | instid1(VALU_DEP_1)
	v_lshlrev_b64 v[5:6], 2, v[5:6]
	v_add_co_u32 v5, s2, s8, v5
	s_delay_alu instid0(VALU_DEP_1)
	v_add_co_ci_u32_e64 v6, s2, s9, v6, s2
	global_load_b32 v1, v[5:6], off offset:4
	s_waitcnt vmcnt(0)
	v_subrev_nc_u32_e32 v8, s7, v1
.LBB1_4:
	s_or_b32 exec_lo, exec_lo, s11
	s_load_b32 s12, s[0:1], 0x38
	v_mov_b32_e32 v1, 0
	s_mov_b32 s3, exec_lo
	v_cmpx_gt_i32_e64 s4, v2
	s_cbranch_execz .LBB1_6
; %bb.5:
	s_load_b64 s[8:9], s[0:1], 0x48
	v_ashrrev_i32_e32 v3, 31, v2
	s_delay_alu instid0(VALU_DEP_1) | instskip(SKIP_1) | instid1(VALU_DEP_1)
	v_lshlrev_b64 v[1:2], 2, v[2:3]
	s_waitcnt lgkmcnt(0)
	v_add_co_u32 v1, s2, s8, v1
	s_delay_alu instid0(VALU_DEP_1)
	v_add_co_ci_u32_e64 v2, s2, s9, v2, s2
	global_load_b32 v1, v[1:2], off
	s_waitcnt vmcnt(0)
	v_subrev_nc_u32_e32 v1, s12, v1
.LBB1_6:
	s_or_b32 exec_lo, exec_lo, s3
	s_cmp_lt_i32 s5, 1
	s_cbranch_scc1 .LBB1_21
; %bb.7:
	v_and_b32_e32 v9, 3, v0
	s_load_b64 s[14:15], s[0:1], 0x40
	v_mov_b32_e32 v3, 0
	s_delay_alu instid0(VALU_DEP_2) | instskip(SKIP_1) | instid1(VALU_DEP_1)
	v_mul_lo_u32 v2, v9, s6
	v_cmp_gt_u32_e64 s2, s6, v9
	s_and_b32 s4, vcc_lo, s2
	s_load_b64 s[2:3], s[0:1], 0x50
	s_delay_alu instid0(VALU_DEP_2)
	v_lshlrev_b64 v[5:6], 2, v[2:3]
	v_mul_lo_u32 v2, v4, s6
	v_lshlrev_b32_e32 v4, 2, v4
	s_load_b64 s[8:9], s[0:1], 0x30
	s_cmp_eq_u32 s10, 0
	s_load_b64 s[10:11], s[0:1], 0x20
	s_mov_b32 s1, 0
	v_and_or_b32 v0, 0xf0, v0, v4
	s_delay_alu instid0(VALU_DEP_3) | instskip(SKIP_3) | instid1(VALU_DEP_3)
	v_lshlrev_b64 v[12:13], 2, v[2:3]
	s_waitcnt lgkmcnt(0)
	v_add_co_u32 v2, vcc_lo, s14, v5
	v_add_co_ci_u32_e32 v5, vcc_lo, s15, v6, vcc_lo
	v_add_co_u32 v6, vcc_lo, s14, v12
	s_delay_alu instid0(VALU_DEP_4) | instskip(NEXT) | instid1(VALU_DEP_4)
	v_add_co_ci_u32_e32 v12, vcc_lo, s15, v13, vcc_lo
	v_add_co_u32 v2, vcc_lo, v2, v4
	s_delay_alu instid0(VALU_DEP_4) | instskip(SKIP_3) | instid1(VALU_DEP_2)
	v_add_co_ci_u32_e32 v5, vcc_lo, 0, v5, vcc_lo
	v_lshlrev_b32_e32 v10, 2, v9
	v_mbcnt_lo_u32_b32 v13, -1, 0
	s_mul_i32 s15, s6, s6
	v_add_co_u32 v6, vcc_lo, v6, v10
	v_add_co_ci_u32_e32 v19, vcc_lo, 0, v12, vcc_lo
	s_cselect_b32 vcc_lo, -1, 0
	s_abs_i32 s13, s6
	v_xor_b32_e32 v4, 2, v13
	s_delay_alu instid0(VALU_DEP_2)
	v_cndmask_b32_e32 v19, v5, v19, vcc_lo
	v_cvt_f32_u32_e32 v10, s13
	v_xor_b32_e32 v14, 1, v13
	v_xor_b32_e32 v16, 8, v13
	v_cmp_gt_i32_e64 s0, 32, v4
	s_sub_i32 s14, 0, s13
	v_rcp_iflag_f32_e32 v12, v10
	v_xor_b32_e32 v17, 4, v13
	v_dual_mov_b32 v10, 1 :: v_dual_lshlrev_b32 v15, 2, v13
	v_cndmask_b32_e64 v4, v13, v4, s0
	v_cmp_gt_i32_e64 s0, 32, v14
	v_or_b32_e32 v18, v0, v9
	s_ashr_i32 s16, s6, 31
	s_waitcnt_depctr 0xfff
	v_mul_f32_e32 v12, 0x4f7ffffe, v12
	v_cndmask_b32_e64 v22, v13, v14, s0
	v_cmp_gt_i32_e64 s0, 32, v16
	v_lshlrev_b32_e32 v14, 2, v18
	s_delay_alu instid0(VALU_DEP_4) | instskip(SKIP_1) | instid1(VALU_DEP_4)
	v_cvt_u32_f32_e32 v21, v12
	v_or_b32_e32 v12, 12, v15
	v_cndmask_b32_e64 v23, v13, v16, s0
	v_cmp_gt_i32_e64 s0, 32, v17
	v_lshlrev_b32_e32 v16, 2, v22
	v_mul_lo_u32 v20, s14, v21
	s_mul_hi_u32 s14, s6, s6
	s_delay_alu instid0(VALU_DEP_3)
	v_cndmask_b32_e64 v24, v13, v17, s0
	v_or_b32_e32 v13, 60, v15
	v_lshlrev_b32_e32 v15, 2, v4
	v_lshlrev_b32_e32 v17, 2, v23
	v_mov_b32_e32 v23, 0
	v_mul_hi_u32 v25, v21, v20
	v_cndmask_b32_e32 v20, v2, v6, vcc_lo
	v_lshlrev_b32_e32 v18, 2, v24
	s_delay_alu instid0(VALU_DEP_3)
	v_add_nc_u32_e32 v21, v21, v25
	s_branch .LBB1_10
.LBB1_8:                                ;   in Loop: Header=BB1_10 Depth=1
	s_or_b32 exec_lo, exec_lo, s17
	v_mov_b32_e32 v2, 1
.LBB1_9:                                ;   in Loop: Header=BB1_10 Depth=1
	s_or_b32 exec_lo, exec_lo, s0
	ds_bpermute_b32 v4, v17, v22
	v_add_nc_u32_e32 v1, v2, v1
	s_waitcnt lgkmcnt(0)
	s_waitcnt_vscnt null, 0x0
	buffer_gl0_inv
	buffer_gl0_inv
	v_min_i32_e32 v4, v4, v22
	ds_bpermute_b32 v5, v18, v4
	s_waitcnt lgkmcnt(0)
	v_min_i32_e32 v4, v5, v4
	ds_bpermute_b32 v5, v15, v4
	s_waitcnt lgkmcnt(0)
	;; [unrolled: 3-line block ×4, first 2 shown]
	v_cmp_le_i32_e32 vcc_lo, s5, v23
	s_or_b32 s1, vcc_lo, s1
	s_delay_alu instid0(SALU_CYCLE_1)
	s_and_not1_b32 exec_lo, exec_lo, s1
	s_cbranch_execz .LBB1_21
.LBB1_10:                               ; =>This Loop Header: Depth=1
                                        ;     Child Loop BB1_13 Depth 2
	v_dual_mov_b32 v11, v8 :: v_dual_add_nc_u32 v4, v11, v9
	v_mov_b32_e32 v22, s5
	s_mov_b32 s17, exec_lo
	ds_store_b8 v7, v3 offset:1024
	ds_store_b32 v14, v3
	s_waitcnt lgkmcnt(0)
	buffer_gl0_inv
	v_cmpx_lt_i32_e64 v4, v8
	s_cbranch_execz .LBB1_18
; %bb.11:                               ;   in Loop: Header=BB1_10 Depth=1
	v_mul_lo_u32 v2, v23, s6
	v_dual_mov_b32 v22, s5 :: v_dual_mov_b32 v11, v8
	s_mov_b32 s18, 0
	s_branch .LBB1_13
.LBB1_12:                               ;   in Loop: Header=BB1_13 Depth=2
	s_or_b32 exec_lo, exec_lo, s19
	v_add_nc_u32_e32 v4, 4, v4
	s_xor_b32 s19, vcc_lo, -1
	s_delay_alu instid0(VALU_DEP_1) | instskip(NEXT) | instid1(VALU_DEP_1)
	v_cmp_ge_i32_e64 s0, v4, v8
	s_or_b32 s0, s19, s0
	s_delay_alu instid0(SALU_CYCLE_1) | instskip(NEXT) | instid1(SALU_CYCLE_1)
	s_and_b32 s0, exec_lo, s0
	s_or_b32 s18, s0, s18
	s_delay_alu instid0(SALU_CYCLE_1)
	s_and_not1_b32 exec_lo, exec_lo, s18
	s_cbranch_execz .LBB1_17
.LBB1_13:                               ;   Parent Loop BB1_10 Depth=1
                                        ; =>  This Inner Loop Header: Depth=2
	v_ashrrev_i32_e32 v5, 31, v4
	s_delay_alu instid0(VALU_DEP_1) | instskip(NEXT) | instid1(VALU_DEP_1)
	v_lshlrev_b64 v[5:6], 2, v[4:5]
	v_add_co_u32 v24, vcc_lo, s8, v5
	s_delay_alu instid0(VALU_DEP_2) | instskip(SKIP_3) | instid1(VALU_DEP_1)
	v_add_co_ci_u32_e32 v25, vcc_lo, s9, v6, vcc_lo
	global_load_b32 v24, v[24:25], off
	s_waitcnt vmcnt(0)
	v_subrev_nc_u32_e32 v24, s7, v24
	v_sub_nc_u32_e32 v25, 0, v24
	s_delay_alu instid0(VALU_DEP_1) | instskip(NEXT) | instid1(VALU_DEP_1)
	v_max_i32_e32 v25, v24, v25
	v_mul_hi_u32 v26, v25, v21
	s_delay_alu instid0(VALU_DEP_1) | instskip(NEXT) | instid1(VALU_DEP_1)
	v_mul_lo_u32 v27, v26, s13
	v_sub_nc_u32_e32 v25, v25, v27
	v_add_nc_u32_e32 v27, 1, v26
	s_delay_alu instid0(VALU_DEP_2) | instskip(SKIP_1) | instid1(VALU_DEP_2)
	v_subrev_nc_u32_e32 v28, s13, v25
	v_cmp_le_u32_e32 vcc_lo, s13, v25
	v_dual_cndmask_b32 v26, v26, v27 :: v_dual_cndmask_b32 v25, v25, v28
	v_ashrrev_i32_e32 v27, 31, v24
	s_delay_alu instid0(VALU_DEP_2) | instskip(NEXT) | instid1(VALU_DEP_3)
	v_add_nc_u32_e32 v28, 1, v26
	v_cmp_le_u32_e32 vcc_lo, s13, v25
	s_delay_alu instid0(VALU_DEP_3) | instskip(NEXT) | instid1(VALU_DEP_3)
	v_xor_b32_e32 v27, s16, v27
	v_cndmask_b32_e32 v25, v26, v28, vcc_lo
	s_delay_alu instid0(VALU_DEP_1) | instskip(NEXT) | instid1(VALU_DEP_1)
	v_xor_b32_e32 v25, v25, v27
	v_sub_nc_u32_e32 v26, v25, v27
	v_mov_b32_e32 v25, v11
	s_delay_alu instid0(VALU_DEP_2) | instskip(SKIP_1) | instid1(VALU_DEP_1)
	v_cmp_eq_u32_e32 vcc_lo, v26, v23
	v_cmp_ne_u32_e64 s0, v26, v23
	s_and_saveexec_b32 s19, s0
	s_delay_alu instid0(SALU_CYCLE_1)
	s_xor_b32 s0, exec_lo, s19
; %bb.14:                               ;   in Loop: Header=BB1_13 Depth=2
	v_min_i32_e32 v22, v26, v22
                                        ; implicit-def: $vgpr5_vgpr6
                                        ; implicit-def: $vgpr24
                                        ; implicit-def: $vgpr25
; %bb.15:                               ;   in Loop: Header=BB1_13 Depth=2
	s_or_saveexec_b32 s19, s0
	v_mov_b32_e32 v11, v4
	s_xor_b32 exec_lo, exec_lo, s19
	s_cbranch_execz .LBB1_12
; %bb.16:                               ;   in Loop: Header=BB1_13 Depth=2
	v_add_co_u32 v5, s0, s10, v5
	s_delay_alu instid0(VALU_DEP_1) | instskip(SKIP_3) | instid1(VALU_DEP_1)
	v_add_co_ci_u32_e64 v6, s0, s11, v6, s0
	v_mov_b32_e32 v11, v25
	global_load_b32 v5, v[5:6], off
	v_sub_nc_u32_e32 v6, v24, v2
	v_add_lshl_u32 v6, v6, v0, 2
	ds_store_b8 v7, v10 offset:1024
	s_waitcnt vmcnt(0)
	ds_store_b32 v6, v5
	s_branch .LBB1_12
.LBB1_17:                               ;   in Loop: Header=BB1_10 Depth=1
	s_or_b32 exec_lo, exec_lo, s18
.LBB1_18:                               ;   in Loop: Header=BB1_10 Depth=1
	s_delay_alu instid0(SALU_CYCLE_1)
	s_or_b32 exec_lo, exec_lo, s17
	ds_bpermute_b32 v2, v15, v11
	s_waitcnt lgkmcnt(0)
	buffer_gl0_inv
	ds_load_u8 v5, v7 offset:1024
	v_min_i32_e32 v2, v2, v11
	ds_bpermute_b32 v4, v16, v2
	s_waitcnt lgkmcnt(0)
	v_min_i32_e32 v2, v4, v2
	ds_bpermute_b32 v11, v12, v2
	v_and_b32_e32 v2, 1, v5
	s_delay_alu instid0(VALU_DEP_1)
	v_cmp_eq_u32_e32 vcc_lo, 1, v2
	v_mov_b32_e32 v2, 0
	s_and_saveexec_b32 s0, vcc_lo
	s_cbranch_execz .LBB1_9
; %bb.19:                               ;   in Loop: Header=BB1_10 Depth=1
	v_ashrrev_i32_e32 v2, 31, v1
	v_add_nc_u32_e32 v6, s12, v23
	s_delay_alu instid0(VALU_DEP_2) | instskip(NEXT) | instid1(VALU_DEP_1)
	v_lshlrev_b64 v[4:5], 2, v[1:2]
	v_add_co_u32 v4, vcc_lo, s2, v4
	s_delay_alu instid0(VALU_DEP_2)
	v_add_co_ci_u32_e32 v5, vcc_lo, s3, v5, vcc_lo
	global_store_b32 v[4:5], v6, off
	s_and_saveexec_b32 s17, s4
	s_cbranch_execz .LBB1_8
; %bb.20:                               ;   in Loop: Header=BB1_10 Depth=1
	v_mul_lo_u32 v6, s14, v1
	v_mul_lo_u32 v2, s15, v2
	v_mad_u64_u32 v[4:5], null, s15, v1, 0
	ds_load_b32 v23, v14
	v_add3_u32 v5, v5, v2, v6
	s_delay_alu instid0(VALU_DEP_1) | instskip(NEXT) | instid1(VALU_DEP_1)
	v_lshlrev_b64 v[4:5], 2, v[4:5]
	v_add_co_u32 v4, vcc_lo, v20, v4
	s_delay_alu instid0(VALU_DEP_2)
	v_add_co_ci_u32_e32 v5, vcc_lo, v19, v5, vcc_lo
	s_waitcnt lgkmcnt(0)
	global_store_b32 v[4:5], v23, off
	s_branch .LBB1_8
.LBB1_21:
	s_endpgm
	.section	.rodata,"a",@progbits
	.p2align	6, 0x0
	.amdhsa_kernel _ZN9rocsparseL42csr2bsr_wavefront_per_row_multipass_kernelILj256ELj16ELj4EiiiEEv20rocsparse_direction_T4_S2_S2_S2_S2_21rocsparse_index_base_PKT2_PKT3_PKS2_S3_PS4_PS7_PS2_
		.amdhsa_group_segment_fixed_size 1040
		.amdhsa_private_segment_fixed_size 0
		.amdhsa_kernarg_size 88
		.amdhsa_user_sgpr_count 15
		.amdhsa_user_sgpr_dispatch_ptr 0
		.amdhsa_user_sgpr_queue_ptr 0
		.amdhsa_user_sgpr_kernarg_segment_ptr 1
		.amdhsa_user_sgpr_dispatch_id 0
		.amdhsa_user_sgpr_private_segment_size 0
		.amdhsa_wavefront_size32 1
		.amdhsa_uses_dynamic_stack 0
		.amdhsa_enable_private_segment 0
		.amdhsa_system_sgpr_workgroup_id_x 1
		.amdhsa_system_sgpr_workgroup_id_y 0
		.amdhsa_system_sgpr_workgroup_id_z 0
		.amdhsa_system_sgpr_workgroup_info 0
		.amdhsa_system_vgpr_workitem_id 0
		.amdhsa_next_free_vgpr 29
		.amdhsa_next_free_sgpr 20
		.amdhsa_reserve_vcc 1
		.amdhsa_float_round_mode_32 0
		.amdhsa_float_round_mode_16_64 0
		.amdhsa_float_denorm_mode_32 3
		.amdhsa_float_denorm_mode_16_64 3
		.amdhsa_dx10_clamp 1
		.amdhsa_ieee_mode 1
		.amdhsa_fp16_overflow 0
		.amdhsa_workgroup_processor_mode 1
		.amdhsa_memory_ordered 1
		.amdhsa_forward_progress 0
		.amdhsa_shared_vgpr_count 0
		.amdhsa_exception_fp_ieee_invalid_op 0
		.amdhsa_exception_fp_denorm_src 0
		.amdhsa_exception_fp_ieee_div_zero 0
		.amdhsa_exception_fp_ieee_overflow 0
		.amdhsa_exception_fp_ieee_underflow 0
		.amdhsa_exception_fp_ieee_inexact 0
		.amdhsa_exception_int_div_zero 0
	.end_amdhsa_kernel
	.section	.text._ZN9rocsparseL42csr2bsr_wavefront_per_row_multipass_kernelILj256ELj16ELj4EiiiEEv20rocsparse_direction_T4_S2_S2_S2_S2_21rocsparse_index_base_PKT2_PKT3_PKS2_S3_PS4_PS7_PS2_,"axG",@progbits,_ZN9rocsparseL42csr2bsr_wavefront_per_row_multipass_kernelILj256ELj16ELj4EiiiEEv20rocsparse_direction_T4_S2_S2_S2_S2_21rocsparse_index_base_PKT2_PKT3_PKS2_S3_PS4_PS7_PS2_,comdat
.Lfunc_end1:
	.size	_ZN9rocsparseL42csr2bsr_wavefront_per_row_multipass_kernelILj256ELj16ELj4EiiiEEv20rocsparse_direction_T4_S2_S2_S2_S2_21rocsparse_index_base_PKT2_PKT3_PKS2_S3_PS4_PS7_PS2_, .Lfunc_end1-_ZN9rocsparseL42csr2bsr_wavefront_per_row_multipass_kernelILj256ELj16ELj4EiiiEEv20rocsparse_direction_T4_S2_S2_S2_S2_21rocsparse_index_base_PKT2_PKT3_PKS2_S3_PS4_PS7_PS2_
                                        ; -- End function
	.section	.AMDGPU.csdata,"",@progbits
; Kernel info:
; codeLenInByte = 1504
; NumSgprs: 22
; NumVgprs: 29
; ScratchSize: 0
; MemoryBound: 0
; FloatMode: 240
; IeeeMode: 1
; LDSByteSize: 1040 bytes/workgroup (compile time only)
; SGPRBlocks: 2
; VGPRBlocks: 3
; NumSGPRsForWavesPerEU: 22
; NumVGPRsForWavesPerEU: 29
; Occupancy: 16
; WaveLimiterHint : 0
; COMPUTE_PGM_RSRC2:SCRATCH_EN: 0
; COMPUTE_PGM_RSRC2:USER_SGPR: 15
; COMPUTE_PGM_RSRC2:TRAP_HANDLER: 0
; COMPUTE_PGM_RSRC2:TGID_X_EN: 1
; COMPUTE_PGM_RSRC2:TGID_Y_EN: 0
; COMPUTE_PGM_RSRC2:TGID_Z_EN: 0
; COMPUTE_PGM_RSRC2:TIDIG_COMP_CNT: 0
	.section	.text._ZN9rocsparseL42csr2bsr_wavefront_per_row_multipass_kernelILj256ELj64ELj8EiiiEEv20rocsparse_direction_T4_S2_S2_S2_S2_21rocsparse_index_base_PKT2_PKT3_PKS2_S3_PS4_PS7_PS2_,"axG",@progbits,_ZN9rocsparseL42csr2bsr_wavefront_per_row_multipass_kernelILj256ELj64ELj8EiiiEEv20rocsparse_direction_T4_S2_S2_S2_S2_21rocsparse_index_base_PKT2_PKT3_PKS2_S3_PS4_PS7_PS2_,comdat
	.globl	_ZN9rocsparseL42csr2bsr_wavefront_per_row_multipass_kernelILj256ELj64ELj8EiiiEEv20rocsparse_direction_T4_S2_S2_S2_S2_21rocsparse_index_base_PKT2_PKT3_PKS2_S3_PS4_PS7_PS2_ ; -- Begin function _ZN9rocsparseL42csr2bsr_wavefront_per_row_multipass_kernelILj256ELj64ELj8EiiiEEv20rocsparse_direction_T4_S2_S2_S2_S2_21rocsparse_index_base_PKT2_PKT3_PKS2_S3_PS4_PS7_PS2_
	.p2align	8
	.type	_ZN9rocsparseL42csr2bsr_wavefront_per_row_multipass_kernelILj256ELj64ELj8EiiiEEv20rocsparse_direction_T4_S2_S2_S2_S2_21rocsparse_index_base_PKT2_PKT3_PKS2_S3_PS4_PS7_PS2_,@function
_ZN9rocsparseL42csr2bsr_wavefront_per_row_multipass_kernelILj256ELj64ELj8EiiiEEv20rocsparse_direction_T4_S2_S2_S2_S2_21rocsparse_index_base_PKT2_PKT3_PKS2_S3_PS4_PS7_PS2_: ; @_ZN9rocsparseL42csr2bsr_wavefront_per_row_multipass_kernelILj256ELj64ELj8EiiiEEv20rocsparse_direction_T4_S2_S2_S2_S2_21rocsparse_index_base_PKT2_PKT3_PKS2_S3_PS4_PS7_PS2_
; %bb.0:
	s_clause 0x1
	s_load_b128 s[4:7], s[0:1], 0xc
	s_load_b64 s[10:11], s[0:1], 0x0
	v_lshrrev_b32_e32 v7, 6, v0
	v_bfe_u32 v4, v0, 3, 3
	s_load_b64 s[8:9], s[0:1], 0x28
	v_mov_b32_e32 v8, 0
	v_mov_b32_e32 v10, 0
	v_lshl_or_b32 v2, s15, 2, v7
	s_waitcnt lgkmcnt(0)
	s_delay_alu instid0(VALU_DEP_1) | instskip(SKIP_1) | instid1(VALU_DEP_2)
	v_mad_u64_u32 v[5:6], null, v2, s6, v[4:5]
	v_cmp_gt_i32_e32 vcc_lo, s6, v4
	v_cmp_gt_i32_e64 s2, s11, v5
	s_delay_alu instid0(VALU_DEP_1) | instskip(NEXT) | instid1(SALU_CYCLE_1)
	s_and_b32 s3, vcc_lo, s2
	s_and_saveexec_b32 s11, s3
	s_cbranch_execz .LBB2_2
; %bb.1:
	v_ashrrev_i32_e32 v6, 31, v5
	s_delay_alu instid0(VALU_DEP_1) | instskip(NEXT) | instid1(VALU_DEP_1)
	v_lshlrev_b64 v[9:10], 2, v[5:6]
	v_add_co_u32 v9, s2, s8, v9
	s_delay_alu instid0(VALU_DEP_1)
	v_add_co_ci_u32_e64 v10, s2, s9, v10, s2
	global_load_b32 v1, v[9:10], off
	s_waitcnt vmcnt(0)
	v_subrev_nc_u32_e32 v10, s7, v1
.LBB2_2:
	s_or_b32 exec_lo, exec_lo, s11
	s_and_saveexec_b32 s11, s3
	s_cbranch_execz .LBB2_4
; %bb.3:
	v_ashrrev_i32_e32 v6, 31, v5
	s_delay_alu instid0(VALU_DEP_1) | instskip(NEXT) | instid1(VALU_DEP_1)
	v_lshlrev_b64 v[5:6], 2, v[5:6]
	v_add_co_u32 v5, s2, s8, v5
	s_delay_alu instid0(VALU_DEP_1)
	v_add_co_ci_u32_e64 v6, s2, s9, v6, s2
	global_load_b32 v1, v[5:6], off offset:4
	s_waitcnt vmcnt(0)
	v_subrev_nc_u32_e32 v8, s7, v1
.LBB2_4:
	s_or_b32 exec_lo, exec_lo, s11
	s_load_b32 s12, s[0:1], 0x38
	v_mov_b32_e32 v1, 0
	s_mov_b32 s3, exec_lo
	v_cmpx_gt_i32_e64 s4, v2
	s_cbranch_execz .LBB2_6
; %bb.5:
	s_load_b64 s[8:9], s[0:1], 0x48
	v_ashrrev_i32_e32 v3, 31, v2
	s_delay_alu instid0(VALU_DEP_1) | instskip(SKIP_1) | instid1(VALU_DEP_1)
	v_lshlrev_b64 v[1:2], 2, v[2:3]
	s_waitcnt lgkmcnt(0)
	v_add_co_u32 v1, s2, s8, v1
	s_delay_alu instid0(VALU_DEP_1)
	v_add_co_ci_u32_e64 v2, s2, s9, v2, s2
	global_load_b32 v1, v[1:2], off
	s_waitcnt vmcnt(0)
	v_subrev_nc_u32_e32 v1, s12, v1
.LBB2_6:
	s_or_b32 exec_lo, exec_lo, s3
	s_cmp_lt_i32 s5, 1
	s_cbranch_scc1 .LBB2_21
; %bb.7:
	v_and_b32_e32 v9, 7, v0
	s_load_b64 s[14:15], s[0:1], 0x40
	v_mov_b32_e32 v3, 0
	v_lshlrev_b32_e32 v13, 2, v4
	s_delay_alu instid0(VALU_DEP_3) | instskip(SKIP_2) | instid1(VALU_DEP_1)
	v_dual_mov_b32 v25, 0 :: v_dual_lshlrev_b32 v14, 2, v9
	v_mul_lo_u32 v2, v9, s6
	v_cmp_gt_u32_e64 s2, s6, v9
	s_and_b32 s4, vcc_lo, s2
	s_load_b64 s[2:3], s[0:1], 0x50
	s_delay_alu instid0(VALU_DEP_2)
	v_lshlrev_b64 v[5:6], 2, v[2:3]
	v_mul_lo_u32 v2, v4, s6
	s_load_b64 s[8:9], s[0:1], 0x30
	s_cmp_eq_u32 s10, 0
	s_load_b64 s[10:11], s[0:1], 0x20
	s_mov_b32 s1, 0
	s_delay_alu instid0(VALU_DEP_1) | instskip(SKIP_3) | instid1(VALU_DEP_3)
	v_lshlrev_b64 v[11:12], 2, v[2:3]
	s_waitcnt lgkmcnt(0)
	v_add_co_u32 v2, vcc_lo, s14, v5
	v_add_co_ci_u32_e32 v5, vcc_lo, s15, v6, vcc_lo
	v_add_co_u32 v6, vcc_lo, s14, v11
	s_delay_alu instid0(VALU_DEP_4) | instskip(NEXT) | instid1(VALU_DEP_4)
	v_add_co_ci_u32_e32 v11, vcc_lo, s15, v12, vcc_lo
	v_add_co_u32 v2, vcc_lo, v2, v13
	s_delay_alu instid0(VALU_DEP_4) | instskip(NEXT) | instid1(VALU_DEP_4)
	v_add_co_ci_u32_e32 v5, vcc_lo, 0, v5, vcc_lo
	v_add_co_u32 v6, vcc_lo, v6, v14
	s_delay_alu instid0(VALU_DEP_4)
	v_add_co_ci_u32_e32 v21, vcc_lo, 0, v11, vcc_lo
	s_cselect_b32 vcc_lo, -1, 0
	s_abs_i32 s13, s6
	v_and_b32_e32 v12, 0xc0, v0
	v_cvt_f32_u32_e32 v11, s13
	v_mbcnt_lo_u32_b32 v14, -1, 0
	s_sub_i32 s14, 0, s13
	v_bfrev_b32_e32 v0, 0.5
	v_cndmask_b32_e32 v21, v5, v21, vcc_lo
	v_rcp_iflag_f32_e32 v15, v11
	v_mov_b32_e32 v11, 1
	v_lshl_or_b32 v12, v4, 3, v12
	v_xor_b32_e32 v4, 4, v14
	v_xor_b32_e32 v16, 2, v14
	;; [unrolled: 1-line block ×3, first 2 shown]
	v_or_b32_e32 v18, 32, v14
	v_xor_b32_e32 v19, 16, v14
	v_cmp_gt_i32_e64 s0, 32, v4
	v_xor_b32_e32 v20, 8, v14
	v_or_b32_e32 v22, v12, v9
	v_mul_f32_e32 v15, 0x4f7ffffe, v15
	v_lshl_or_b32 v13, v14, 2, 28
	v_cndmask_b32_e64 v4, v14, v4, s0
	v_cmp_gt_i32_e64 s0, 32, v16
	s_mul_i32 s15, s6, s6
	s_ashr_i32 s16, s6, 31
	s_delay_alu instid0(VALU_DEP_1) | instskip(SKIP_1) | instid1(VALU_DEP_2)
	v_cndmask_b32_e64 v16, v14, v16, s0
	v_cmp_gt_i32_e64 s0, 32, v17
	v_lshlrev_b32_e32 v16, 2, v16
	s_delay_alu instid0(VALU_DEP_2) | instskip(SKIP_1) | instid1(VALU_DEP_2)
	v_cndmask_b32_e64 v17, v14, v17, s0
	v_cmp_gt_i32_e64 s0, 32, v18
	v_lshlrev_b32_e32 v17, 2, v17
	s_delay_alu instid0(VALU_DEP_2) | instskip(SKIP_1) | instid1(VALU_DEP_2)
	;; [unrolled: 4-line block ×3, first 2 shown]
	v_cndmask_b32_e64 v19, v14, v19, s0
	v_cmp_gt_i32_e64 s0, 32, v20
	v_lshlrev_b32_e32 v19, 2, v19
	s_delay_alu instid0(VALU_DEP_2) | instskip(SKIP_3) | instid1(VALU_DEP_4)
	v_cndmask_b32_e64 v20, v14, v20, s0
	v_lshlrev_b32_e32 v14, 2, v22
	v_cvt_u32_f32_e32 v23, v15
	v_dual_cndmask_b32 v22, v2, v6 :: v_dual_lshlrev_b32 v15, 2, v4
	v_lshlrev_b32_e32 v20, 2, v20
	s_delay_alu instid0(VALU_DEP_3) | instskip(SKIP_1) | instid1(VALU_DEP_1)
	v_mul_lo_u32 v24, s14, v23
	s_mul_hi_u32 s14, s6, s6
	v_mul_hi_u32 v4, v23, v24
	s_delay_alu instid0(VALU_DEP_1)
	v_add_nc_u32_e32 v23, v23, v4
	s_branch .LBB2_10
.LBB2_8:                                ;   in Loop: Header=BB2_10 Depth=1
	s_or_b32 exec_lo, exec_lo, s17
	v_mov_b32_e32 v2, 1
.LBB2_9:                                ;   in Loop: Header=BB2_10 Depth=1
	s_or_b32 exec_lo, exec_lo, s0
	ds_bpermute_b32 v4, v18, v24
	v_add_nc_u32_e32 v1, v2, v1
	s_waitcnt lgkmcnt(0)
	s_waitcnt_vscnt null, 0x0
	buffer_gl0_inv
	buffer_gl0_inv
	v_min_i32_e32 v4, v4, v24
	ds_bpermute_b32 v5, v19, v4
	s_waitcnt lgkmcnt(0)
	v_min_i32_e32 v4, v5, v4
	ds_bpermute_b32 v5, v20, v4
	s_waitcnt lgkmcnt(0)
	;; [unrolled: 3-line block ×6, first 2 shown]
	v_cmp_le_i32_e32 vcc_lo, s5, v25
	s_or_b32 s1, vcc_lo, s1
	s_delay_alu instid0(SALU_CYCLE_1)
	s_and_not1_b32 exec_lo, exec_lo, s1
	s_cbranch_execz .LBB2_21
.LBB2_10:                               ; =>This Loop Header: Depth=1
                                        ;     Child Loop BB2_13 Depth 2
	v_add_nc_u32_e32 v4, v10, v9
	v_mov_b32_e32 v24, s5
	v_mov_b32_e32 v10, v8
	s_mov_b32 s17, exec_lo
	ds_store_b8 v7, v3 offset:1024
	ds_store_b32 v14, v3
	s_waitcnt lgkmcnt(0)
	buffer_gl0_inv
	v_cmpx_lt_i32_e64 v4, v8
	s_cbranch_execz .LBB2_18
; %bb.11:                               ;   in Loop: Header=BB2_10 Depth=1
	v_mul_lo_u32 v2, v25, s6
	v_mov_b32_e32 v24, s5
	v_mov_b32_e32 v10, v8
	s_mov_b32 s18, 0
	s_branch .LBB2_13
.LBB2_12:                               ;   in Loop: Header=BB2_13 Depth=2
	s_or_b32 exec_lo, exec_lo, s19
	v_add_nc_u32_e32 v4, 8, v4
	s_xor_b32 s19, vcc_lo, -1
	s_delay_alu instid0(VALU_DEP_1) | instskip(NEXT) | instid1(VALU_DEP_1)
	v_cmp_ge_i32_e64 s0, v4, v8
	s_or_b32 s0, s19, s0
	s_delay_alu instid0(SALU_CYCLE_1) | instskip(NEXT) | instid1(SALU_CYCLE_1)
	s_and_b32 s0, exec_lo, s0
	s_or_b32 s18, s0, s18
	s_delay_alu instid0(SALU_CYCLE_1)
	s_and_not1_b32 exec_lo, exec_lo, s18
	s_cbranch_execz .LBB2_17
.LBB2_13:                               ;   Parent Loop BB2_10 Depth=1
                                        ; =>  This Inner Loop Header: Depth=2
	v_ashrrev_i32_e32 v5, 31, v4
	s_delay_alu instid0(VALU_DEP_1) | instskip(NEXT) | instid1(VALU_DEP_1)
	v_lshlrev_b64 v[5:6], 2, v[4:5]
	v_add_co_u32 v26, vcc_lo, s8, v5
	s_delay_alu instid0(VALU_DEP_2) | instskip(SKIP_3) | instid1(VALU_DEP_1)
	v_add_co_ci_u32_e32 v27, vcc_lo, s9, v6, vcc_lo
	global_load_b32 v26, v[26:27], off
	s_waitcnt vmcnt(0)
	v_subrev_nc_u32_e32 v26, s7, v26
	v_sub_nc_u32_e32 v27, 0, v26
	s_delay_alu instid0(VALU_DEP_1) | instskip(NEXT) | instid1(VALU_DEP_1)
	v_max_i32_e32 v27, v26, v27
	v_mul_hi_u32 v28, v27, v23
	s_delay_alu instid0(VALU_DEP_1) | instskip(NEXT) | instid1(VALU_DEP_1)
	v_mul_lo_u32 v29, v28, s13
	v_sub_nc_u32_e32 v27, v27, v29
	v_add_nc_u32_e32 v29, 1, v28
	s_delay_alu instid0(VALU_DEP_2) | instskip(SKIP_1) | instid1(VALU_DEP_2)
	v_subrev_nc_u32_e32 v30, s13, v27
	v_cmp_le_u32_e32 vcc_lo, s13, v27
	v_dual_cndmask_b32 v28, v28, v29 :: v_dual_cndmask_b32 v27, v27, v30
	v_ashrrev_i32_e32 v29, 31, v26
	s_delay_alu instid0(VALU_DEP_2) | instskip(NEXT) | instid1(VALU_DEP_3)
	v_add_nc_u32_e32 v30, 1, v28
	v_cmp_le_u32_e32 vcc_lo, s13, v27
	s_delay_alu instid0(VALU_DEP_3) | instskip(NEXT) | instid1(VALU_DEP_3)
	v_xor_b32_e32 v29, s16, v29
	v_cndmask_b32_e32 v27, v28, v30, vcc_lo
	s_delay_alu instid0(VALU_DEP_1) | instskip(NEXT) | instid1(VALU_DEP_1)
	v_xor_b32_e32 v27, v27, v29
	v_sub_nc_u32_e32 v28, v27, v29
	v_mov_b32_e32 v27, v10
	s_delay_alu instid0(VALU_DEP_2) | instskip(SKIP_1) | instid1(VALU_DEP_1)
	v_cmp_eq_u32_e32 vcc_lo, v28, v25
	v_cmp_ne_u32_e64 s0, v28, v25
	s_and_saveexec_b32 s19, s0
	s_delay_alu instid0(SALU_CYCLE_1)
	s_xor_b32 s0, exec_lo, s19
; %bb.14:                               ;   in Loop: Header=BB2_13 Depth=2
	v_min_i32_e32 v24, v28, v24
                                        ; implicit-def: $vgpr5_vgpr6
                                        ; implicit-def: $vgpr26
                                        ; implicit-def: $vgpr27
; %bb.15:                               ;   in Loop: Header=BB2_13 Depth=2
	s_or_saveexec_b32 s19, s0
	v_mov_b32_e32 v10, v4
	s_xor_b32 exec_lo, exec_lo, s19
	s_cbranch_execz .LBB2_12
; %bb.16:                               ;   in Loop: Header=BB2_13 Depth=2
	v_add_co_u32 v5, s0, s10, v5
	s_delay_alu instid0(VALU_DEP_1) | instskip(SKIP_3) | instid1(VALU_DEP_1)
	v_add_co_ci_u32_e64 v6, s0, s11, v6, s0
	v_mov_b32_e32 v10, v27
	global_load_b32 v5, v[5:6], off
	v_sub_nc_u32_e32 v6, v26, v2
	v_add_lshl_u32 v6, v6, v12, 2
	ds_store_b8 v7, v11 offset:1024
	s_waitcnt vmcnt(0)
	ds_store_b32 v6, v5
	s_branch .LBB2_12
.LBB2_17:                               ;   in Loop: Header=BB2_10 Depth=1
	s_or_b32 exec_lo, exec_lo, s18
.LBB2_18:                               ;   in Loop: Header=BB2_10 Depth=1
	s_delay_alu instid0(SALU_CYCLE_1)
	s_or_b32 exec_lo, exec_lo, s17
	ds_bpermute_b32 v2, v15, v10
	s_waitcnt lgkmcnt(0)
	buffer_gl0_inv
	ds_load_u8 v5, v7 offset:1024
	v_min_i32_e32 v2, v2, v10
	ds_bpermute_b32 v4, v16, v2
	s_waitcnt lgkmcnt(0)
	v_min_i32_e32 v2, v4, v2
	ds_bpermute_b32 v4, v17, v2
	s_waitcnt lgkmcnt(0)
	v_min_i32_e32 v2, v4, v2
	ds_bpermute_b32 v10, v13, v2
	v_and_b32_e32 v2, 1, v5
	s_delay_alu instid0(VALU_DEP_1)
	v_cmp_eq_u32_e32 vcc_lo, 1, v2
	v_mov_b32_e32 v2, 0
	s_and_saveexec_b32 s0, vcc_lo
	s_cbranch_execz .LBB2_9
; %bb.19:                               ;   in Loop: Header=BB2_10 Depth=1
	v_ashrrev_i32_e32 v2, 31, v1
	v_add_nc_u32_e32 v6, s12, v25
	s_delay_alu instid0(VALU_DEP_2) | instskip(NEXT) | instid1(VALU_DEP_1)
	v_lshlrev_b64 v[4:5], 2, v[1:2]
	v_add_co_u32 v4, vcc_lo, s2, v4
	s_delay_alu instid0(VALU_DEP_2)
	v_add_co_ci_u32_e32 v5, vcc_lo, s3, v5, vcc_lo
	global_store_b32 v[4:5], v6, off
	s_and_saveexec_b32 s17, s4
	s_cbranch_execz .LBB2_8
; %bb.20:                               ;   in Loop: Header=BB2_10 Depth=1
	v_mul_lo_u32 v6, s14, v1
	v_mul_lo_u32 v2, s15, v2
	v_mad_u64_u32 v[4:5], null, s15, v1, 0
	ds_load_b32 v25, v14
	v_add3_u32 v5, v5, v2, v6
	s_delay_alu instid0(VALU_DEP_1) | instskip(NEXT) | instid1(VALU_DEP_1)
	v_lshlrev_b64 v[4:5], 2, v[4:5]
	v_add_co_u32 v4, vcc_lo, v22, v4
	s_delay_alu instid0(VALU_DEP_2)
	v_add_co_ci_u32_e32 v5, vcc_lo, v21, v5, vcc_lo
	s_waitcnt lgkmcnt(0)
	global_store_b32 v[4:5], v25, off
	s_branch .LBB2_8
.LBB2_21:
	s_endpgm
	.section	.rodata,"a",@progbits
	.p2align	6, 0x0
	.amdhsa_kernel _ZN9rocsparseL42csr2bsr_wavefront_per_row_multipass_kernelILj256ELj64ELj8EiiiEEv20rocsparse_direction_T4_S2_S2_S2_S2_21rocsparse_index_base_PKT2_PKT3_PKS2_S3_PS4_PS7_PS2_
		.amdhsa_group_segment_fixed_size 1028
		.amdhsa_private_segment_fixed_size 0
		.amdhsa_kernarg_size 88
		.amdhsa_user_sgpr_count 15
		.amdhsa_user_sgpr_dispatch_ptr 0
		.amdhsa_user_sgpr_queue_ptr 0
		.amdhsa_user_sgpr_kernarg_segment_ptr 1
		.amdhsa_user_sgpr_dispatch_id 0
		.amdhsa_user_sgpr_private_segment_size 0
		.amdhsa_wavefront_size32 1
		.amdhsa_uses_dynamic_stack 0
		.amdhsa_enable_private_segment 0
		.amdhsa_system_sgpr_workgroup_id_x 1
		.amdhsa_system_sgpr_workgroup_id_y 0
		.amdhsa_system_sgpr_workgroup_id_z 0
		.amdhsa_system_sgpr_workgroup_info 0
		.amdhsa_system_vgpr_workitem_id 0
		.amdhsa_next_free_vgpr 31
		.amdhsa_next_free_sgpr 20
		.amdhsa_reserve_vcc 1
		.amdhsa_float_round_mode_32 0
		.amdhsa_float_round_mode_16_64 0
		.amdhsa_float_denorm_mode_32 3
		.amdhsa_float_denorm_mode_16_64 3
		.amdhsa_dx10_clamp 1
		.amdhsa_ieee_mode 1
		.amdhsa_fp16_overflow 0
		.amdhsa_workgroup_processor_mode 1
		.amdhsa_memory_ordered 1
		.amdhsa_forward_progress 0
		.amdhsa_shared_vgpr_count 0
		.amdhsa_exception_fp_ieee_invalid_op 0
		.amdhsa_exception_fp_denorm_src 0
		.amdhsa_exception_fp_ieee_div_zero 0
		.amdhsa_exception_fp_ieee_overflow 0
		.amdhsa_exception_fp_ieee_underflow 0
		.amdhsa_exception_fp_ieee_inexact 0
		.amdhsa_exception_int_div_zero 0
	.end_amdhsa_kernel
	.section	.text._ZN9rocsparseL42csr2bsr_wavefront_per_row_multipass_kernelILj256ELj64ELj8EiiiEEv20rocsparse_direction_T4_S2_S2_S2_S2_21rocsparse_index_base_PKT2_PKT3_PKS2_S3_PS4_PS7_PS2_,"axG",@progbits,_ZN9rocsparseL42csr2bsr_wavefront_per_row_multipass_kernelILj256ELj64ELj8EiiiEEv20rocsparse_direction_T4_S2_S2_S2_S2_21rocsparse_index_base_PKT2_PKT3_PKS2_S3_PS4_PS7_PS2_,comdat
.Lfunc_end2:
	.size	_ZN9rocsparseL42csr2bsr_wavefront_per_row_multipass_kernelILj256ELj64ELj8EiiiEEv20rocsparse_direction_T4_S2_S2_S2_S2_21rocsparse_index_base_PKT2_PKT3_PKS2_S3_PS4_PS7_PS2_, .Lfunc_end2-_ZN9rocsparseL42csr2bsr_wavefront_per_row_multipass_kernelILj256ELj64ELj8EiiiEEv20rocsparse_direction_T4_S2_S2_S2_S2_21rocsparse_index_base_PKT2_PKT3_PKS2_S3_PS4_PS7_PS2_
                                        ; -- End function
	.section	.AMDGPU.csdata,"",@progbits
; Kernel info:
; codeLenInByte = 1612
; NumSgprs: 22
; NumVgprs: 31
; ScratchSize: 0
; MemoryBound: 0
; FloatMode: 240
; IeeeMode: 1
; LDSByteSize: 1028 bytes/workgroup (compile time only)
; SGPRBlocks: 2
; VGPRBlocks: 3
; NumSGPRsForWavesPerEU: 22
; NumVGPRsForWavesPerEU: 31
; Occupancy: 16
; WaveLimiterHint : 0
; COMPUTE_PGM_RSRC2:SCRATCH_EN: 0
; COMPUTE_PGM_RSRC2:USER_SGPR: 15
; COMPUTE_PGM_RSRC2:TRAP_HANDLER: 0
; COMPUTE_PGM_RSRC2:TGID_X_EN: 1
; COMPUTE_PGM_RSRC2:TGID_Y_EN: 0
; COMPUTE_PGM_RSRC2:TGID_Z_EN: 0
; COMPUTE_PGM_RSRC2:TIDIG_COMP_CNT: 0
	.section	.text._ZN9rocsparseL42csr2bsr_wavefront_per_row_multipass_kernelILj256ELj32ELj8EiiiEEv20rocsparse_direction_T4_S2_S2_S2_S2_21rocsparse_index_base_PKT2_PKT3_PKS2_S3_PS4_PS7_PS2_,"axG",@progbits,_ZN9rocsparseL42csr2bsr_wavefront_per_row_multipass_kernelILj256ELj32ELj8EiiiEEv20rocsparse_direction_T4_S2_S2_S2_S2_21rocsparse_index_base_PKT2_PKT3_PKS2_S3_PS4_PS7_PS2_,comdat
	.globl	_ZN9rocsparseL42csr2bsr_wavefront_per_row_multipass_kernelILj256ELj32ELj8EiiiEEv20rocsparse_direction_T4_S2_S2_S2_S2_21rocsparse_index_base_PKT2_PKT3_PKS2_S3_PS4_PS7_PS2_ ; -- Begin function _ZN9rocsparseL42csr2bsr_wavefront_per_row_multipass_kernelILj256ELj32ELj8EiiiEEv20rocsparse_direction_T4_S2_S2_S2_S2_21rocsparse_index_base_PKT2_PKT3_PKS2_S3_PS4_PS7_PS2_
	.p2align	8
	.type	_ZN9rocsparseL42csr2bsr_wavefront_per_row_multipass_kernelILj256ELj32ELj8EiiiEEv20rocsparse_direction_T4_S2_S2_S2_S2_21rocsparse_index_base_PKT2_PKT3_PKS2_S3_PS4_PS7_PS2_,@function
_ZN9rocsparseL42csr2bsr_wavefront_per_row_multipass_kernelILj256ELj32ELj8EiiiEEv20rocsparse_direction_T4_S2_S2_S2_S2_21rocsparse_index_base_PKT2_PKT3_PKS2_S3_PS4_PS7_PS2_: ; @_ZN9rocsparseL42csr2bsr_wavefront_per_row_multipass_kernelILj256ELj32ELj8EiiiEEv20rocsparse_direction_T4_S2_S2_S2_S2_21rocsparse_index_base_PKT2_PKT3_PKS2_S3_PS4_PS7_PS2_
; %bb.0:
	s_clause 0x1
	s_load_b128 s[4:7], s[0:1], 0xc
	s_load_b64 s[12:13], s[0:1], 0x0
	v_lshrrev_b32_e32 v11, 5, v0
	v_bfe_u32 v4, v0, 2, 3
	s_load_b64 s[8:9], s[0:1], 0x28
	v_mov_b32_e32 v12, 0
	v_mov_b32_e32 v8, 0
	v_lshl_or_b32 v2, s15, 3, v11
	s_waitcnt lgkmcnt(0)
	s_delay_alu instid0(VALU_DEP_1) | instskip(SKIP_1) | instid1(VALU_DEP_2)
	v_mad_u64_u32 v[5:6], null, v2, s6, v[4:5]
	v_cmp_gt_i32_e32 vcc_lo, s6, v4
	v_cmp_gt_i32_e64 s2, s13, v5
	s_delay_alu instid0(VALU_DEP_1) | instskip(NEXT) | instid1(SALU_CYCLE_1)
	s_and_b32 s3, vcc_lo, s2
	s_and_saveexec_b32 s10, s3
	s_cbranch_execz .LBB3_2
; %bb.1:
	v_ashrrev_i32_e32 v6, 31, v5
	s_delay_alu instid0(VALU_DEP_1) | instskip(NEXT) | instid1(VALU_DEP_1)
	v_lshlrev_b64 v[6:7], 2, v[5:6]
	v_add_co_u32 v6, s2, s8, v6
	s_delay_alu instid0(VALU_DEP_1)
	v_add_co_ci_u32_e64 v7, s2, s9, v7, s2
	global_load_b32 v1, v[6:7], off
	s_waitcnt vmcnt(0)
	v_subrev_nc_u32_e32 v8, s7, v1
.LBB3_2:
	s_or_b32 exec_lo, exec_lo, s10
	s_and_saveexec_b32 s10, s3
	s_cbranch_execz .LBB3_4
; %bb.3:
	v_ashrrev_i32_e32 v6, 31, v5
	s_delay_alu instid0(VALU_DEP_1) | instskip(NEXT) | instid1(VALU_DEP_1)
	v_lshlrev_b64 v[5:6], 2, v[5:6]
	v_add_co_u32 v5, s2, s8, v5
	s_delay_alu instid0(VALU_DEP_1)
	v_add_co_ci_u32_e64 v6, s2, s9, v6, s2
	global_load_b32 v1, v[5:6], off offset:4
	s_waitcnt vmcnt(0)
	v_subrev_nc_u32_e32 v12, s7, v1
.LBB3_4:
	s_or_b32 exec_lo, exec_lo, s10
	s_load_b32 s13, s[0:1], 0x38
	v_mov_b32_e32 v1, 0
	s_mov_b32 s3, exec_lo
	v_cmpx_gt_i32_e64 s4, v2
	s_cbranch_execz .LBB3_6
; %bb.5:
	s_load_b64 s[8:9], s[0:1], 0x48
	v_ashrrev_i32_e32 v3, 31, v2
	s_delay_alu instid0(VALU_DEP_1) | instskip(SKIP_1) | instid1(VALU_DEP_1)
	v_lshlrev_b64 v[1:2], 2, v[2:3]
	s_waitcnt lgkmcnt(0)
	v_add_co_u32 v1, s2, s8, v1
	s_delay_alu instid0(VALU_DEP_1)
	v_add_co_ci_u32_e64 v2, s2, s9, v2, s2
	global_load_b32 v1, v[1:2], off
	s_waitcnt vmcnt(0)
	v_subrev_nc_u32_e32 v1, s13, v1
.LBB3_6:
	s_or_b32 exec_lo, exec_lo, s3
	s_cmp_lt_i32 s5, 1
	s_cbranch_scc1 .LBB3_30
; %bb.7:
	v_mbcnt_lo_u32_b32 v6, -1, 0
	s_clause 0x3
	s_load_b64 s[2:3], s[0:1], 0x20
	s_load_b64 s[8:9], s[0:1], 0x50
	;; [unrolled: 1-line block ×4, first 2 shown]
	v_lshlrev_b32_e32 v2, 6, v11
	s_cmp_lg_u32 s12, 0
	v_xor_b32_e32 v3, 2, v6
	s_cselect_b32 s12, -1, 0
	s_abs_i32 s14, s6
	v_dual_mov_b32 v30, 0 :: v_dual_lshlrev_b32 v9, 2, v4
	s_delay_alu instid0(VALU_DEP_2)
	v_cmp_gt_i32_e64 s0, 32, v3
	v_cvt_f32_u32_e32 v7, s14
	s_sub_i32 s1, 0, s14
	v_lshl_or_b32 v16, v6, 2, 12
	s_mov_b32 s4, 0
	v_cndmask_b32_e64 v3, v6, v3, s0
	v_rcp_iflag_f32_e32 v7, v7
	v_and_b32_e32 v0, 3, v0
	s_mul_hi_u32 s15, s6, s6
	s_mul_i32 s16, s6, s6
	v_dual_mov_b32 v3, 0 :: v_dual_lshlrev_b32 v14, 2, v3
	v_lshl_or_b32 v13, v4, 3, v2
	v_xor_b32_e32 v2, 1, v6
	v_dual_mov_b32 v24, 0x7c :: v_dual_mov_b32 v27, 1
	s_waitcnt_depctr 0xfff
	v_mul_f32_e32 v7, 0x4f7ffffe, v7
	v_or_b32_e32 v10, 4, v0
	v_cmp_gt_i32_e64 s0, 32, v2
	v_lshlrev_b32_e32 v28, 2, v0
	s_delay_alu instid0(VALU_DEP_2) | instskip(SKIP_3) | instid1(VALU_DEP_1)
	v_cndmask_b32_e64 v5, v6, v2, s0
	v_mul_lo_u32 v2, v4, s6
	s_waitcnt lgkmcnt(0)
	v_add_co_u32 v17, s0, s18, v9
	v_add_co_ci_u32_e64 v18, null, s19, 0, s0
	v_lshlrev_b32_e32 v15, 2, v5
	s_delay_alu instid0(VALU_DEP_4) | instskip(SKIP_1) | instid1(VALU_DEP_2)
	v_lshlrev_b64 v[4:5], 2, v[2:3]
	v_xor_b32_e32 v2, 16, v6
	v_add_co_u32 v19, s0, s18, v4
	s_delay_alu instid0(VALU_DEP_1) | instskip(SKIP_1) | instid1(VALU_DEP_4)
	v_add_co_ci_u32_e64 v20, s0, s19, v5, s0
	v_xor_b32_e32 v4, 8, v6
	v_cmp_gt_i32_e64 s0, 32, v2
	v_cvt_u32_f32_e32 v5, v7
	v_xor_b32_e32 v7, 4, v6
	s_ashr_i32 s18, s6, 31
	s_delay_alu instid0(VALU_DEP_3) | instskip(SKIP_3) | instid1(VALU_DEP_4)
	v_cndmask_b32_e64 v2, v6, v2, s0
	v_cmp_gt_i32_e64 s0, 32, v4
	v_mul_lo_u32 v9, s1, v5
	v_cmp_gt_u32_e64 s1, s6, v10
	v_lshlrev_b32_e32 v21, 2, v2
	s_delay_alu instid0(VALU_DEP_4)
	v_cndmask_b32_e64 v4, v6, v4, s0
	v_cmp_gt_i32_e64 s0, 32, v7
	v_mul_lo_u32 v2, v0, s6
	s_and_b32 s1, vcc_lo, s1
	v_mul_hi_u32 v9, v5, v9
	v_lshlrev_b32_e32 v22, 2, v4
	v_cndmask_b32_e64 v6, v6, v7, s0
	v_or_b32_e32 v4, v13, v0
	v_mov_b32_e32 v7, v3
	v_cmp_gt_u32_e64 s0, s6, v0
	s_delay_alu instid0(VALU_DEP_4)
	v_lshlrev_b32_e32 v23, 2, v6
	v_lshl_add_u32 v6, s6, 2, v2
	v_lshlrev_b32_e32 v25, 2, v4
	v_add_nc_u32_e32 v26, v5, v9
	v_lshlrev_b64 v[4:5], 2, v[2:3]
	s_and_b32 s17, s0, vcc_lo
	v_lshlrev_b64 v[6:7], 2, v[6:7]
	s_branch .LBB3_11
.LBB3_8:                                ;   in Loop: Header=BB3_11 Depth=1
	v_mov_b32_e32 v31, s20
.LBB3_9:                                ;   in Loop: Header=BB3_11 Depth=1
	s_or_b32 exec_lo, exec_lo, s19
.LBB3_10:                               ;   in Loop: Header=BB3_11 Depth=1
	s_delay_alu instid0(SALU_CYCLE_1)
	s_or_b32 exec_lo, exec_lo, s0
	ds_bpermute_b32 v2, v21, v29
	v_add_nc_u32_e32 v1, v31, v1
	s_waitcnt lgkmcnt(0)
	s_waitcnt_vscnt null, 0x0
	buffer_gl0_inv
	buffer_gl0_inv
	v_min_i32_e32 v2, v2, v29
	ds_bpermute_b32 v9, v22, v2
	s_waitcnt lgkmcnt(0)
	v_min_i32_e32 v2, v9, v2
	ds_bpermute_b32 v9, v23, v2
	s_waitcnt lgkmcnt(0)
	;; [unrolled: 3-line block ×5, first 2 shown]
	v_cmp_le_i32_e32 vcc_lo, s5, v30
	s_or_b32 s4, vcc_lo, s4
	s_delay_alu instid0(SALU_CYCLE_1)
	s_and_not1_b32 exec_lo, exec_lo, s4
	s_cbranch_execz .LBB3_30
.LBB3_11:                               ; =>This Loop Header: Depth=1
                                        ;     Child Loop BB3_14 Depth 2
	v_dual_mov_b32 v29, s5 :: v_dual_add_nc_u32 v8, v8, v0
	v_mov_b32_e32 v31, v12
	s_mov_b32 s19, exec_lo
	ds_store_b8 v11, v3 offset:2048
	ds_store_2addr_b32 v25, v3, v3 offset1:4
	s_waitcnt lgkmcnt(0)
	buffer_gl0_inv
	v_cmpx_lt_i32_e64 v8, v12
	s_cbranch_execz .LBB3_19
; %bb.12:                               ;   in Loop: Header=BB3_11 Depth=1
	v_mul_lo_u32 v2, v30, s6
	v_mov_b32_e32 v29, s5
	v_mov_b32_e32 v31, v12
	s_mov_b32 s20, 0
	s_branch .LBB3_14
.LBB3_13:                               ;   in Loop: Header=BB3_14 Depth=2
	s_or_b32 exec_lo, exec_lo, s21
	v_add_nc_u32_e32 v8, 4, v8
	s_xor_b32 s21, vcc_lo, -1
	s_delay_alu instid0(VALU_DEP_1) | instskip(NEXT) | instid1(VALU_DEP_1)
	v_cmp_ge_i32_e64 s0, v8, v12
	s_or_b32 s0, s21, s0
	s_delay_alu instid0(SALU_CYCLE_1) | instskip(NEXT) | instid1(SALU_CYCLE_1)
	s_and_b32 s0, exec_lo, s0
	s_or_b32 s20, s0, s20
	s_delay_alu instid0(SALU_CYCLE_1)
	s_and_not1_b32 exec_lo, exec_lo, s20
	s_cbranch_execz .LBB3_18
.LBB3_14:                               ;   Parent Loop BB3_11 Depth=1
                                        ; =>  This Inner Loop Header: Depth=2
	v_ashrrev_i32_e32 v9, 31, v8
	s_delay_alu instid0(VALU_DEP_1) | instskip(NEXT) | instid1(VALU_DEP_1)
	v_lshlrev_b64 v[9:10], 2, v[8:9]
	v_add_co_u32 v32, vcc_lo, s10, v9
	s_delay_alu instid0(VALU_DEP_2) | instskip(SKIP_3) | instid1(VALU_DEP_1)
	v_add_co_ci_u32_e32 v33, vcc_lo, s11, v10, vcc_lo
	global_load_b32 v32, v[32:33], off
	s_waitcnt vmcnt(0)
	v_subrev_nc_u32_e32 v32, s7, v32
	v_sub_nc_u32_e32 v33, 0, v32
	s_delay_alu instid0(VALU_DEP_1) | instskip(NEXT) | instid1(VALU_DEP_1)
	v_max_i32_e32 v33, v32, v33
	v_mul_hi_u32 v34, v33, v26
	s_delay_alu instid0(VALU_DEP_1) | instskip(NEXT) | instid1(VALU_DEP_1)
	v_mul_lo_u32 v35, v34, s14
	v_sub_nc_u32_e32 v33, v33, v35
	v_add_nc_u32_e32 v35, 1, v34
	s_delay_alu instid0(VALU_DEP_2) | instskip(SKIP_1) | instid1(VALU_DEP_2)
	v_subrev_nc_u32_e32 v36, s14, v33
	v_cmp_le_u32_e32 vcc_lo, s14, v33
	v_dual_cndmask_b32 v34, v34, v35 :: v_dual_cndmask_b32 v33, v33, v36
	v_ashrrev_i32_e32 v35, 31, v32
	s_delay_alu instid0(VALU_DEP_2) | instskip(NEXT) | instid1(VALU_DEP_3)
	v_add_nc_u32_e32 v36, 1, v34
	v_cmp_le_u32_e32 vcc_lo, s14, v33
	s_delay_alu instid0(VALU_DEP_3) | instskip(NEXT) | instid1(VALU_DEP_3)
	v_xor_b32_e32 v35, s18, v35
	v_cndmask_b32_e32 v33, v34, v36, vcc_lo
	s_delay_alu instid0(VALU_DEP_1) | instskip(NEXT) | instid1(VALU_DEP_1)
	v_xor_b32_e32 v33, v33, v35
	v_sub_nc_u32_e32 v34, v33, v35
	v_mov_b32_e32 v33, v31
	s_delay_alu instid0(VALU_DEP_2) | instskip(SKIP_1) | instid1(VALU_DEP_1)
	v_cmp_eq_u32_e32 vcc_lo, v34, v30
	v_cmp_ne_u32_e64 s0, v34, v30
	s_and_saveexec_b32 s21, s0
	s_delay_alu instid0(SALU_CYCLE_1)
	s_xor_b32 s0, exec_lo, s21
; %bb.15:                               ;   in Loop: Header=BB3_14 Depth=2
	v_min_i32_e32 v29, v34, v29
                                        ; implicit-def: $vgpr9_vgpr10
                                        ; implicit-def: $vgpr32
                                        ; implicit-def: $vgpr33
; %bb.16:                               ;   in Loop: Header=BB3_14 Depth=2
	s_or_saveexec_b32 s21, s0
	v_mov_b32_e32 v31, v8
	s_xor_b32 exec_lo, exec_lo, s21
	s_cbranch_execz .LBB3_13
; %bb.17:                               ;   in Loop: Header=BB3_14 Depth=2
	v_add_co_u32 v9, s0, s2, v9
	s_delay_alu instid0(VALU_DEP_1) | instskip(SKIP_3) | instid1(VALU_DEP_1)
	v_add_co_ci_u32_e64 v10, s0, s3, v10, s0
	v_mov_b32_e32 v31, v33
	global_load_b32 v9, v[9:10], off
	v_sub_nc_u32_e32 v10, v32, v2
	v_add_lshl_u32 v10, v13, v10, 2
	ds_store_b8 v11, v27 offset:2048
	s_waitcnt vmcnt(0)
	ds_store_b32 v10, v9
	s_branch .LBB3_13
.LBB3_18:                               ;   in Loop: Header=BB3_11 Depth=1
	s_or_b32 exec_lo, exec_lo, s20
.LBB3_19:                               ;   in Loop: Header=BB3_11 Depth=1
	s_delay_alu instid0(SALU_CYCLE_1)
	s_or_b32 exec_lo, exec_lo, s19
	ds_bpermute_b32 v2, v14, v31
	s_waitcnt lgkmcnt(0)
	buffer_gl0_inv
	ds_load_u8 v9, v11 offset:2048
	s_mov_b32 s0, exec_lo
	v_min_i32_e32 v2, v2, v31
	v_mov_b32_e32 v31, 0
	ds_bpermute_b32 v8, v15, v2
	s_waitcnt lgkmcnt(0)
	v_min_i32_e32 v2, v8, v2
	ds_bpermute_b32 v8, v16, v2
	v_and_b32_e32 v2, 1, v9
	s_delay_alu instid0(VALU_DEP_1)
	v_cmpx_eq_u32_e32 1, v2
	s_cbranch_execz .LBB3_10
; %bb.20:                               ;   in Loop: Header=BB3_11 Depth=1
	v_ashrrev_i32_e32 v2, 31, v1
	v_mul_lo_u32 v31, s15, v1
	v_mad_u64_u32 v[9:10], null, s16, v1, 0
	v_add_nc_u32_e32 v35, s13, v30
	s_delay_alu instid0(VALU_DEP_4) | instskip(NEXT) | instid1(VALU_DEP_1)
	v_mul_lo_u32 v32, s16, v2
	v_add3_u32 v10, v10, v32, v31
	v_lshlrev_b64 v[31:32], 2, v[1:2]
	s_delay_alu instid0(VALU_DEP_2) | instskip(NEXT) | instid1(VALU_DEP_2)
	v_lshlrev_b64 v[33:34], 2, v[9:10]
	v_add_co_u32 v31, vcc_lo, s8, v31
	s_delay_alu instid0(VALU_DEP_3) | instskip(NEXT) | instid1(VALU_DEP_3)
	v_add_co_ci_u32_e32 v32, vcc_lo, s9, v32, vcc_lo
	v_add_co_u32 v10, vcc_lo, v17, v33
	s_delay_alu instid0(VALU_DEP_4)
	v_add_co_ci_u32_e32 v30, vcc_lo, v18, v34, vcc_lo
	v_add_co_u32 v2, vcc_lo, v19, v33
	v_add_co_ci_u32_e32 v9, vcc_lo, v20, v34, vcc_lo
	global_store_b32 v[31:32], v35, off
	s_and_saveexec_b32 s19, s17
	s_cbranch_execz .LBB3_24
; %bb.21:                               ;   in Loop: Header=BB3_11 Depth=1
	s_and_b32 vcc_lo, exec_lo, s12
	s_cbranch_vccz .LBB3_27
; %bb.22:                               ;   in Loop: Header=BB3_11 Depth=1
	ds_load_b32 v33, v25
	v_add_co_u32 v31, vcc_lo, v10, v4
	v_add_co_ci_u32_e32 v32, vcc_lo, v30, v5, vcc_lo
	s_waitcnt lgkmcnt(0)
	global_store_b32 v[31:32], v33, off
	s_cbranch_execnz .LBB3_24
.LBB3_23:                               ;   in Loop: Header=BB3_11 Depth=1
	ds_load_b32 v33, v25
	v_add_co_u32 v31, vcc_lo, v2, v28
	v_add_co_ci_u32_e32 v32, vcc_lo, 0, v9, vcc_lo
	s_waitcnt lgkmcnt(0)
	global_store_b32 v[31:32], v33, off
.LBB3_24:                               ;   in Loop: Header=BB3_11 Depth=1
	s_or_b32 exec_lo, exec_lo, s19
	v_mov_b32_e32 v31, 1
	s_and_saveexec_b32 s19, s1
	s_cbranch_execz .LBB3_9
; %bb.25:                               ;   in Loop: Header=BB3_11 Depth=1
	s_and_not1_b32 vcc_lo, exec_lo, s12
	s_cbranch_vccnz .LBB3_28
; %bb.26:                               ;   in Loop: Header=BB3_11 Depth=1
	ds_load_b32 v33, v25 offset:16
	v_add_co_u32 v31, vcc_lo, v10, v6
	v_add_co_ci_u32_e32 v32, vcc_lo, v30, v7, vcc_lo
	s_mov_b32 s20, 1
	s_waitcnt lgkmcnt(0)
	global_store_b32 v[31:32], v33, off
	s_cbranch_execnz .LBB3_8
	s_branch .LBB3_29
.LBB3_27:                               ;   in Loop: Header=BB3_11 Depth=1
	s_branch .LBB3_23
.LBB3_28:                               ;   in Loop: Header=BB3_11 Depth=1
                                        ; implicit-def: $sgpr20
.LBB3_29:                               ;   in Loop: Header=BB3_11 Depth=1
	ds_load_b32 v10, v25 offset:16
	v_add_co_u32 v30, vcc_lo, v2, v28
	v_add_co_ci_u32_e32 v31, vcc_lo, 0, v9, vcc_lo
	s_mov_b32 s20, 1
	s_waitcnt lgkmcnt(0)
	global_store_b32 v[30:31], v10, off offset:16
	s_branch .LBB3_8
.LBB3_30:
	s_endpgm
	.section	.rodata,"a",@progbits
	.p2align	6, 0x0
	.amdhsa_kernel _ZN9rocsparseL42csr2bsr_wavefront_per_row_multipass_kernelILj256ELj32ELj8EiiiEEv20rocsparse_direction_T4_S2_S2_S2_S2_21rocsparse_index_base_PKT2_PKT3_PKS2_S3_PS4_PS7_PS2_
		.amdhsa_group_segment_fixed_size 2056
		.amdhsa_private_segment_fixed_size 0
		.amdhsa_kernarg_size 88
		.amdhsa_user_sgpr_count 15
		.amdhsa_user_sgpr_dispatch_ptr 0
		.amdhsa_user_sgpr_queue_ptr 0
		.amdhsa_user_sgpr_kernarg_segment_ptr 1
		.amdhsa_user_sgpr_dispatch_id 0
		.amdhsa_user_sgpr_private_segment_size 0
		.amdhsa_wavefront_size32 1
		.amdhsa_uses_dynamic_stack 0
		.amdhsa_enable_private_segment 0
		.amdhsa_system_sgpr_workgroup_id_x 1
		.amdhsa_system_sgpr_workgroup_id_y 0
		.amdhsa_system_sgpr_workgroup_id_z 0
		.amdhsa_system_sgpr_workgroup_info 0
		.amdhsa_system_vgpr_workitem_id 0
		.amdhsa_next_free_vgpr 37
		.amdhsa_next_free_sgpr 22
		.amdhsa_reserve_vcc 1
		.amdhsa_float_round_mode_32 0
		.amdhsa_float_round_mode_16_64 0
		.amdhsa_float_denorm_mode_32 3
		.amdhsa_float_denorm_mode_16_64 3
		.amdhsa_dx10_clamp 1
		.amdhsa_ieee_mode 1
		.amdhsa_fp16_overflow 0
		.amdhsa_workgroup_processor_mode 1
		.amdhsa_memory_ordered 1
		.amdhsa_forward_progress 0
		.amdhsa_shared_vgpr_count 0
		.amdhsa_exception_fp_ieee_invalid_op 0
		.amdhsa_exception_fp_denorm_src 0
		.amdhsa_exception_fp_ieee_div_zero 0
		.amdhsa_exception_fp_ieee_overflow 0
		.amdhsa_exception_fp_ieee_underflow 0
		.amdhsa_exception_fp_ieee_inexact 0
		.amdhsa_exception_int_div_zero 0
	.end_amdhsa_kernel
	.section	.text._ZN9rocsparseL42csr2bsr_wavefront_per_row_multipass_kernelILj256ELj32ELj8EiiiEEv20rocsparse_direction_T4_S2_S2_S2_S2_21rocsparse_index_base_PKT2_PKT3_PKS2_S3_PS4_PS7_PS2_,"axG",@progbits,_ZN9rocsparseL42csr2bsr_wavefront_per_row_multipass_kernelILj256ELj32ELj8EiiiEEv20rocsparse_direction_T4_S2_S2_S2_S2_21rocsparse_index_base_PKT2_PKT3_PKS2_S3_PS4_PS7_PS2_,comdat
.Lfunc_end3:
	.size	_ZN9rocsparseL42csr2bsr_wavefront_per_row_multipass_kernelILj256ELj32ELj8EiiiEEv20rocsparse_direction_T4_S2_S2_S2_S2_21rocsparse_index_base_PKT2_PKT3_PKS2_S3_PS4_PS7_PS2_, .Lfunc_end3-_ZN9rocsparseL42csr2bsr_wavefront_per_row_multipass_kernelILj256ELj32ELj8EiiiEEv20rocsparse_direction_T4_S2_S2_S2_S2_21rocsparse_index_base_PKT2_PKT3_PKS2_S3_PS4_PS7_PS2_
                                        ; -- End function
	.section	.AMDGPU.csdata,"",@progbits
; Kernel info:
; codeLenInByte = 1732
; NumSgprs: 24
; NumVgprs: 37
; ScratchSize: 0
; MemoryBound: 0
; FloatMode: 240
; IeeeMode: 1
; LDSByteSize: 2056 bytes/workgroup (compile time only)
; SGPRBlocks: 2
; VGPRBlocks: 4
; NumSGPRsForWavesPerEU: 24
; NumVGPRsForWavesPerEU: 37
; Occupancy: 16
; WaveLimiterHint : 0
; COMPUTE_PGM_RSRC2:SCRATCH_EN: 0
; COMPUTE_PGM_RSRC2:USER_SGPR: 15
; COMPUTE_PGM_RSRC2:TRAP_HANDLER: 0
; COMPUTE_PGM_RSRC2:TGID_X_EN: 1
; COMPUTE_PGM_RSRC2:TGID_Y_EN: 0
; COMPUTE_PGM_RSRC2:TGID_Z_EN: 0
; COMPUTE_PGM_RSRC2:TIDIG_COMP_CNT: 0
	.section	.text._ZN9rocsparseL42csr2bsr_wavefront_per_row_multipass_kernelILj256ELj64ELj16EiiiEEv20rocsparse_direction_T4_S2_S2_S2_S2_21rocsparse_index_base_PKT2_PKT3_PKS2_S3_PS4_PS7_PS2_,"axG",@progbits,_ZN9rocsparseL42csr2bsr_wavefront_per_row_multipass_kernelILj256ELj64ELj16EiiiEEv20rocsparse_direction_T4_S2_S2_S2_S2_21rocsparse_index_base_PKT2_PKT3_PKS2_S3_PS4_PS7_PS2_,comdat
	.globl	_ZN9rocsparseL42csr2bsr_wavefront_per_row_multipass_kernelILj256ELj64ELj16EiiiEEv20rocsparse_direction_T4_S2_S2_S2_S2_21rocsparse_index_base_PKT2_PKT3_PKS2_S3_PS4_PS7_PS2_ ; -- Begin function _ZN9rocsparseL42csr2bsr_wavefront_per_row_multipass_kernelILj256ELj64ELj16EiiiEEv20rocsparse_direction_T4_S2_S2_S2_S2_21rocsparse_index_base_PKT2_PKT3_PKS2_S3_PS4_PS7_PS2_
	.p2align	8
	.type	_ZN9rocsparseL42csr2bsr_wavefront_per_row_multipass_kernelILj256ELj64ELj16EiiiEEv20rocsparse_direction_T4_S2_S2_S2_S2_21rocsparse_index_base_PKT2_PKT3_PKS2_S3_PS4_PS7_PS2_,@function
_ZN9rocsparseL42csr2bsr_wavefront_per_row_multipass_kernelILj256ELj64ELj16EiiiEEv20rocsparse_direction_T4_S2_S2_S2_S2_21rocsparse_index_base_PKT2_PKT3_PKS2_S3_PS4_PS7_PS2_: ; @_ZN9rocsparseL42csr2bsr_wavefront_per_row_multipass_kernelILj256ELj64ELj16EiiiEEv20rocsparse_direction_T4_S2_S2_S2_S2_21rocsparse_index_base_PKT2_PKT3_PKS2_S3_PS4_PS7_PS2_
; %bb.0:
	s_clause 0x1
	s_load_b128 s[4:7], s[0:1], 0xc
	s_load_b64 s[16:17], s[0:1], 0x0
	v_lshrrev_b32_e32 v15, 6, v0
	v_bfe_u32 v4, v0, 2, 4
	s_load_b64 s[8:9], s[0:1], 0x28
	v_mov_b32_e32 v16, 0
	v_mov_b32_e32 v12, 0
	v_lshl_or_b32 v2, s15, 2, v15
	s_waitcnt lgkmcnt(0)
	s_delay_alu instid0(VALU_DEP_1) | instskip(SKIP_1) | instid1(VALU_DEP_2)
	v_mad_u64_u32 v[5:6], null, v2, s6, v[4:5]
	v_cmp_gt_i32_e32 vcc_lo, s6, v4
	v_cmp_gt_i32_e64 s2, s17, v5
	s_delay_alu instid0(VALU_DEP_1) | instskip(NEXT) | instid1(SALU_CYCLE_1)
	s_and_b32 s3, vcc_lo, s2
	s_and_saveexec_b32 s10, s3
	s_cbranch_execz .LBB4_2
; %bb.1:
	v_ashrrev_i32_e32 v6, 31, v5
	s_delay_alu instid0(VALU_DEP_1) | instskip(NEXT) | instid1(VALU_DEP_1)
	v_lshlrev_b64 v[6:7], 2, v[5:6]
	v_add_co_u32 v6, s2, s8, v6
	s_delay_alu instid0(VALU_DEP_1)
	v_add_co_ci_u32_e64 v7, s2, s9, v7, s2
	global_load_b32 v1, v[6:7], off
	s_waitcnt vmcnt(0)
	v_subrev_nc_u32_e32 v12, s7, v1
.LBB4_2:
	s_or_b32 exec_lo, exec_lo, s10
	s_and_saveexec_b32 s10, s3
	s_cbranch_execz .LBB4_4
; %bb.3:
	v_ashrrev_i32_e32 v6, 31, v5
	s_delay_alu instid0(VALU_DEP_1) | instskip(NEXT) | instid1(VALU_DEP_1)
	v_lshlrev_b64 v[5:6], 2, v[5:6]
	v_add_co_u32 v5, s2, s8, v5
	s_delay_alu instid0(VALU_DEP_1)
	v_add_co_ci_u32_e64 v6, s2, s9, v6, s2
	global_load_b32 v1, v[5:6], off offset:4
	s_waitcnt vmcnt(0)
	v_subrev_nc_u32_e32 v16, s7, v1
.LBB4_4:
	s_or_b32 exec_lo, exec_lo, s10
	s_load_b32 s14, s[0:1], 0x38
	v_mov_b32_e32 v1, 0
	s_mov_b32 s3, exec_lo
	v_cmpx_gt_i32_e64 s4, v2
	s_cbranch_execz .LBB4_6
; %bb.5:
	s_load_b64 s[8:9], s[0:1], 0x48
	v_ashrrev_i32_e32 v3, 31, v2
	s_delay_alu instid0(VALU_DEP_1) | instskip(SKIP_1) | instid1(VALU_DEP_1)
	v_lshlrev_b64 v[1:2], 2, v[2:3]
	s_waitcnt lgkmcnt(0)
	v_add_co_u32 v1, s2, s8, v1
	s_delay_alu instid0(VALU_DEP_1)
	v_add_co_ci_u32_e64 v2, s2, s9, v2, s2
	global_load_b32 v1, v[1:2], off
	s_waitcnt vmcnt(0)
	v_subrev_nc_u32_e32 v1, s14, v1
.LBB4_6:
	s_or_b32 exec_lo, exec_lo, s3
	s_cmp_lt_i32 s5, 1
	s_cbranch_scc1 .LBB4_40
; %bb.7:
	v_mbcnt_lo_u32_b32 v6, -1, 0
	s_clause 0x3
	s_load_b64 s[8:9], s[0:1], 0x20
	s_load_b64 s[10:11], s[0:1], 0x50
	;; [unrolled: 1-line block ×4, first 2 shown]
	v_and_b32_e32 v0, 3, v0
	v_dual_mov_b32 v32, 1 :: v_dual_lshlrev_b32 v5, 8, v15
	v_xor_b32_e32 v2, 2, v6
	v_xor_b32_e32 v3, 1, v6
	v_lshlrev_b32_e32 v7, 2, v4
	s_delay_alu instid0(VALU_DEP_4)
	v_lshl_or_b32 v17, v4, 4, v5
	s_cmp_lg_u32 s16, 0
	v_cmp_gt_i32_e64 s0, 32, v2
	s_cselect_b32 s15, -1, 0
	s_abs_i32 s18, s6
	v_xor_b32_e32 v8, 4, v6
	s_lshl_b32 s19, s6, 2
	v_cndmask_b32_e64 v2, v6, v2, s0
	v_cmp_gt_i32_e64 s0, 32, v3
	v_lshl_or_b32 v20, v6, 2, 12
	v_bfrev_b32_e32 v29, 0.5
	s_mov_b32 s4, 0
	s_mul_hi_u32 s16, s6, s6
	v_cndmask_b32_e64 v3, v6, v3, s0
	s_waitcnt lgkmcnt(0)
	v_add_co_u32 v21, s0, s2, v7
	s_delay_alu instid0(VALU_DEP_1) | instskip(NEXT) | instid1(VALU_DEP_3)
	v_add_co_ci_u32_e64 v22, null, s3, 0, s0
	v_lshlrev_b32_e32 v19, 2, v3
	v_dual_mov_b32 v3, 0 :: v_dual_lshlrev_b32 v18, 2, v2
	v_mul_lo_u32 v2, v4, s6
	v_xor_b32_e32 v7, 8, v6
	v_or_b32_e32 v10, 12, v0
	v_lshlrev_b32_e32 v33, 2, v0
	s_mul_i32 s17, s6, s6
	s_ashr_i32 s20, s6, 31
	v_mov_b32_e32 v35, 0
	v_mov_b32_e32 v11, v3
	v_lshlrev_b64 v[4:5], 2, v[2:3]
	v_or_b32_e32 v2, 32, v6
	s_delay_alu instid0(VALU_DEP_2) | instskip(NEXT) | instid1(VALU_DEP_1)
	v_add_co_u32 v23, s0, s2, v4
	v_add_co_ci_u32_e64 v24, s0, s3, v5, s0
	v_xor_b32_e32 v4, 16, v6
	s_delay_alu instid0(VALU_DEP_4) | instskip(SKIP_2) | instid1(VALU_DEP_3)
	v_cmp_gt_i32_e64 s0, 32, v2
	v_cvt_f32_u32_e32 v5, s18
	v_cmp_gt_u32_e64 s3, s6, v10
	v_cndmask_b32_e64 v2, v6, v2, s0
	v_cmp_gt_i32_e64 s0, 32, v4
	s_delay_alu instid0(VALU_DEP_4) | instskip(NEXT) | instid1(VALU_DEP_3)
	v_rcp_iflag_f32_e32 v5, v5
	s_and_b32 s3, vcc_lo, s3
	s_delay_alu instid0(VALU_DEP_2) | instskip(NEXT) | instid1(VALU_DEP_2)
	v_lshlrev_b32_e32 v25, 2, v2
	v_cndmask_b32_e64 v4, v6, v4, s0
	v_cmp_gt_i32_e64 s0, 32, v7
	s_delay_alu instid0(VALU_DEP_2) | instskip(NEXT) | instid1(VALU_DEP_2)
	v_lshlrev_b32_e32 v26, 2, v4
	v_cndmask_b32_e64 v7, v6, v7, s0
	v_cmp_gt_i32_e64 s0, 32, v8
	s_delay_alu instid0(TRANS32_DEP_1) | instskip(SKIP_1) | instid1(VALU_DEP_4)
	v_mul_f32_e32 v4, 0x4f7ffffe, v5
	v_or_b32_e32 v5, v17, v0
	v_lshlrev_b32_e32 v27, 2, v7
	s_delay_alu instid0(VALU_DEP_4) | instskip(NEXT) | instid1(VALU_DEP_4)
	v_cndmask_b32_e64 v2, v6, v8, s0
	v_cvt_u32_f32_e32 v4, v4
	s_sub_i32 s0, 0, s18
	v_lshlrev_b32_e32 v30, 2, v5
	v_or_b32_e32 v5, 4, v0
	v_lshlrev_b32_e32 v28, 2, v2
	v_mul_lo_u32 v2, v0, s6
	v_mul_lo_u32 v9, s0, v4
	v_mov_b32_e32 v7, v3
	v_cmp_gt_u32_e64 s1, s6, v5
	v_or_b32_e32 v5, 8, v0
	v_cmp_gt_u32_e64 s0, s6, v0
	v_add_nc_u32_e32 v6, s19, v2
	v_mul_hi_u32 v13, v4, v9
	v_mov_b32_e32 v9, v3
	v_cmp_gt_u32_e64 s2, s6, v5
	s_and_b32 s1, vcc_lo, s1
	v_add_nc_u32_e32 v8, s19, v6
	v_lshlrev_b64 v[6:7], 2, v[6:7]
	s_delay_alu instid0(VALU_DEP_3) | instskip(SKIP_1) | instid1(VALU_DEP_3)
	s_and_b32 s2, vcc_lo, s2
	v_add_nc_u32_e32 v31, v4, v13
	v_add_nc_u32_e32 v10, s19, v8
	v_lshlrev_b64 v[4:5], 2, v[2:3]
	v_lshlrev_b64 v[8:9], 2, v[8:9]
	s_and_b32 s19, s0, vcc_lo
	s_delay_alu instid0(VALU_DEP_3)
	v_lshlrev_b64 v[10:11], 2, v[10:11]
	s_branch .LBB4_11
.LBB4_8:                                ;   in Loop: Header=BB4_11 Depth=1
	v_mov_b32_e32 v36, s22
.LBB4_9:                                ;   in Loop: Header=BB4_11 Depth=1
	s_or_b32 exec_lo, exec_lo, s21
.LBB4_10:                               ;   in Loop: Header=BB4_11 Depth=1
	s_delay_alu instid0(SALU_CYCLE_1)
	s_or_b32 exec_lo, exec_lo, s0
	ds_bpermute_b32 v2, v25, v34
	v_add_nc_u32_e32 v1, v36, v1
	s_waitcnt lgkmcnt(0)
	s_waitcnt_vscnt null, 0x0
	buffer_gl0_inv
	buffer_gl0_inv
	v_min_i32_e32 v2, v2, v34
	ds_bpermute_b32 v13, v26, v2
	s_waitcnt lgkmcnt(0)
	v_min_i32_e32 v2, v13, v2
	ds_bpermute_b32 v13, v27, v2
	s_waitcnt lgkmcnt(0)
	;; [unrolled: 3-line block ×6, first 2 shown]
	v_cmp_le_i32_e32 vcc_lo, s5, v35
	s_or_b32 s4, vcc_lo, s4
	s_delay_alu instid0(SALU_CYCLE_1)
	s_and_not1_b32 exec_lo, exec_lo, s4
	s_cbranch_execz .LBB4_40
.LBB4_11:                               ; =>This Loop Header: Depth=1
                                        ;     Child Loop BB4_14 Depth 2
	v_add_nc_u32_e32 v12, v12, v0
	v_mov_b32_e32 v34, s5
	v_mov_b32_e32 v36, v16
	s_mov_b32 s21, exec_lo
	ds_store_b8 v15, v3 offset:4096
	ds_store_2addr_b32 v30, v3, v3 offset1:4
	ds_store_2addr_b32 v30, v3, v3 offset0:8 offset1:12
	s_waitcnt lgkmcnt(0)
	buffer_gl0_inv
	v_cmpx_lt_i32_e64 v12, v16
	s_cbranch_execz .LBB4_19
; %bb.12:                               ;   in Loop: Header=BB4_11 Depth=1
	v_mul_lo_u32 v2, v35, s6
	v_mov_b32_e32 v34, s5
	v_mov_b32_e32 v36, v16
	s_mov_b32 s22, 0
	s_branch .LBB4_14
.LBB4_13:                               ;   in Loop: Header=BB4_14 Depth=2
	s_or_b32 exec_lo, exec_lo, s23
	v_add_nc_u32_e32 v12, 4, v12
	s_xor_b32 s23, vcc_lo, -1
	s_delay_alu instid0(VALU_DEP_1) | instskip(NEXT) | instid1(VALU_DEP_1)
	v_cmp_ge_i32_e64 s0, v12, v16
	s_or_b32 s0, s23, s0
	s_delay_alu instid0(SALU_CYCLE_1) | instskip(NEXT) | instid1(SALU_CYCLE_1)
	s_and_b32 s0, exec_lo, s0
	s_or_b32 s22, s0, s22
	s_delay_alu instid0(SALU_CYCLE_1)
	s_and_not1_b32 exec_lo, exec_lo, s22
	s_cbranch_execz .LBB4_18
.LBB4_14:                               ;   Parent Loop BB4_11 Depth=1
                                        ; =>  This Inner Loop Header: Depth=2
	v_ashrrev_i32_e32 v13, 31, v12
	s_delay_alu instid0(VALU_DEP_1) | instskip(NEXT) | instid1(VALU_DEP_1)
	v_lshlrev_b64 v[13:14], 2, v[12:13]
	v_add_co_u32 v37, vcc_lo, s12, v13
	s_delay_alu instid0(VALU_DEP_2) | instskip(SKIP_3) | instid1(VALU_DEP_1)
	v_add_co_ci_u32_e32 v38, vcc_lo, s13, v14, vcc_lo
	global_load_b32 v37, v[37:38], off
	s_waitcnt vmcnt(0)
	v_subrev_nc_u32_e32 v37, s7, v37
	v_sub_nc_u32_e32 v38, 0, v37
	s_delay_alu instid0(VALU_DEP_1) | instskip(NEXT) | instid1(VALU_DEP_1)
	v_max_i32_e32 v38, v37, v38
	v_mul_hi_u32 v39, v38, v31
	s_delay_alu instid0(VALU_DEP_1) | instskip(NEXT) | instid1(VALU_DEP_1)
	v_mul_lo_u32 v40, v39, s18
	v_sub_nc_u32_e32 v38, v38, v40
	v_add_nc_u32_e32 v40, 1, v39
	s_delay_alu instid0(VALU_DEP_2) | instskip(SKIP_1) | instid1(VALU_DEP_2)
	v_subrev_nc_u32_e32 v41, s18, v38
	v_cmp_le_u32_e32 vcc_lo, s18, v38
	v_dual_cndmask_b32 v39, v39, v40 :: v_dual_cndmask_b32 v38, v38, v41
	v_ashrrev_i32_e32 v40, 31, v37
	s_delay_alu instid0(VALU_DEP_2) | instskip(NEXT) | instid1(VALU_DEP_3)
	v_add_nc_u32_e32 v41, 1, v39
	v_cmp_le_u32_e32 vcc_lo, s18, v38
	s_delay_alu instid0(VALU_DEP_3) | instskip(NEXT) | instid1(VALU_DEP_3)
	v_xor_b32_e32 v40, s20, v40
	v_cndmask_b32_e32 v38, v39, v41, vcc_lo
	s_delay_alu instid0(VALU_DEP_1) | instskip(NEXT) | instid1(VALU_DEP_1)
	v_xor_b32_e32 v38, v38, v40
	v_sub_nc_u32_e32 v39, v38, v40
	v_mov_b32_e32 v38, v36
	s_delay_alu instid0(VALU_DEP_2) | instskip(SKIP_1) | instid1(VALU_DEP_1)
	v_cmp_eq_u32_e32 vcc_lo, v39, v35
	v_cmp_ne_u32_e64 s0, v39, v35
	s_and_saveexec_b32 s23, s0
	s_delay_alu instid0(SALU_CYCLE_1)
	s_xor_b32 s0, exec_lo, s23
; %bb.15:                               ;   in Loop: Header=BB4_14 Depth=2
	v_min_i32_e32 v34, v39, v34
                                        ; implicit-def: $vgpr13_vgpr14
                                        ; implicit-def: $vgpr37
                                        ; implicit-def: $vgpr38
; %bb.16:                               ;   in Loop: Header=BB4_14 Depth=2
	s_or_saveexec_b32 s23, s0
	v_mov_b32_e32 v36, v12
	s_xor_b32 exec_lo, exec_lo, s23
	s_cbranch_execz .LBB4_13
; %bb.17:                               ;   in Loop: Header=BB4_14 Depth=2
	v_add_co_u32 v13, s0, s8, v13
	s_delay_alu instid0(VALU_DEP_1) | instskip(SKIP_3) | instid1(VALU_DEP_1)
	v_add_co_ci_u32_e64 v14, s0, s9, v14, s0
	v_mov_b32_e32 v36, v38
	global_load_b32 v13, v[13:14], off
	v_sub_nc_u32_e32 v14, v37, v2
	v_add_lshl_u32 v14, v17, v14, 2
	ds_store_b8 v15, v32 offset:4096
	s_waitcnt vmcnt(0)
	ds_store_b32 v14, v13
	s_branch .LBB4_13
.LBB4_18:                               ;   in Loop: Header=BB4_11 Depth=1
	s_or_b32 exec_lo, exec_lo, s22
.LBB4_19:                               ;   in Loop: Header=BB4_11 Depth=1
	s_delay_alu instid0(SALU_CYCLE_1)
	s_or_b32 exec_lo, exec_lo, s21
	ds_bpermute_b32 v2, v18, v36
	s_waitcnt lgkmcnt(0)
	buffer_gl0_inv
	ds_load_u8 v13, v15 offset:4096
	s_mov_b32 s0, exec_lo
	v_min_i32_e32 v2, v2, v36
	v_mov_b32_e32 v36, 0
	ds_bpermute_b32 v12, v19, v2
	s_waitcnt lgkmcnt(0)
	v_min_i32_e32 v2, v12, v2
	ds_bpermute_b32 v12, v20, v2
	v_and_b32_e32 v2, 1, v13
	s_delay_alu instid0(VALU_DEP_1)
	v_cmpx_eq_u32_e32 1, v2
	s_cbranch_execz .LBB4_10
; %bb.20:                               ;   in Loop: Header=BB4_11 Depth=1
	v_ashrrev_i32_e32 v2, 31, v1
	v_mul_lo_u32 v36, s16, v1
	v_mad_u64_u32 v[13:14], null, s17, v1, 0
	v_add_nc_u32_e32 v40, s14, v35
	s_delay_alu instid0(VALU_DEP_4) | instskip(NEXT) | instid1(VALU_DEP_1)
	v_mul_lo_u32 v37, s17, v2
	v_add3_u32 v14, v14, v37, v36
	v_lshlrev_b64 v[36:37], 2, v[1:2]
	s_delay_alu instid0(VALU_DEP_2) | instskip(NEXT) | instid1(VALU_DEP_2)
	v_lshlrev_b64 v[38:39], 2, v[13:14]
	v_add_co_u32 v36, vcc_lo, s10, v36
	s_delay_alu instid0(VALU_DEP_3) | instskip(NEXT) | instid1(VALU_DEP_3)
	v_add_co_ci_u32_e32 v37, vcc_lo, s11, v37, vcc_lo
	v_add_co_u32 v14, vcc_lo, v21, v38
	s_delay_alu instid0(VALU_DEP_4)
	v_add_co_ci_u32_e32 v35, vcc_lo, v22, v39, vcc_lo
	v_add_co_u32 v2, vcc_lo, v23, v38
	v_add_co_ci_u32_e32 v13, vcc_lo, v24, v39, vcc_lo
	global_store_b32 v[36:37], v40, off
	s_and_saveexec_b32 s21, s19
	s_cbranch_execz .LBB4_24
; %bb.21:                               ;   in Loop: Header=BB4_11 Depth=1
	s_and_b32 vcc_lo, exec_lo, s15
	s_cbranch_vccz .LBB4_35
; %bb.22:                               ;   in Loop: Header=BB4_11 Depth=1
	ds_load_b32 v38, v30
	v_add_co_u32 v36, vcc_lo, v14, v4
	v_add_co_ci_u32_e32 v37, vcc_lo, v35, v5, vcc_lo
	s_waitcnt lgkmcnt(0)
	global_store_b32 v[36:37], v38, off
	s_cbranch_execnz .LBB4_24
.LBB4_23:                               ;   in Loop: Header=BB4_11 Depth=1
	ds_load_b32 v38, v30
	v_add_co_u32 v36, vcc_lo, v2, v33
	v_add_co_ci_u32_e32 v37, vcc_lo, 0, v13, vcc_lo
	s_waitcnt lgkmcnt(0)
	global_store_b32 v[36:37], v38, off
.LBB4_24:                               ;   in Loop: Header=BB4_11 Depth=1
	s_or_b32 exec_lo, exec_lo, s21
	s_and_saveexec_b32 s21, s1
	s_cbranch_execz .LBB4_28
; %bb.25:                               ;   in Loop: Header=BB4_11 Depth=1
	s_and_not1_b32 vcc_lo, exec_lo, s15
	s_cbranch_vccnz .LBB4_36
; %bb.26:                               ;   in Loop: Header=BB4_11 Depth=1
	ds_load_b32 v38, v30 offset:16
	v_add_co_u32 v36, vcc_lo, v14, v6
	v_add_co_ci_u32_e32 v37, vcc_lo, v35, v7, vcc_lo
	s_waitcnt lgkmcnt(0)
	global_store_b32 v[36:37], v38, off
	s_cbranch_execnz .LBB4_28
.LBB4_27:                               ;   in Loop: Header=BB4_11 Depth=1
	ds_load_b32 v38, v30 offset:16
	v_add_co_u32 v36, vcc_lo, v2, v33
	v_add_co_ci_u32_e32 v37, vcc_lo, 0, v13, vcc_lo
	s_waitcnt lgkmcnt(0)
	global_store_b32 v[36:37], v38, off offset:16
.LBB4_28:                               ;   in Loop: Header=BB4_11 Depth=1
	s_or_b32 exec_lo, exec_lo, s21
	s_and_saveexec_b32 s21, s2
	s_cbranch_execz .LBB4_32
; %bb.29:                               ;   in Loop: Header=BB4_11 Depth=1
	s_and_not1_b32 vcc_lo, exec_lo, s15
	s_cbranch_vccnz .LBB4_37
; %bb.30:                               ;   in Loop: Header=BB4_11 Depth=1
	ds_load_b32 v38, v30 offset:32
	v_add_co_u32 v36, vcc_lo, v14, v8
	v_add_co_ci_u32_e32 v37, vcc_lo, v35, v9, vcc_lo
	s_waitcnt lgkmcnt(0)
	global_store_b32 v[36:37], v38, off
	s_cbranch_execnz .LBB4_32
.LBB4_31:                               ;   in Loop: Header=BB4_11 Depth=1
	ds_load_b32 v38, v30 offset:32
	v_add_co_u32 v36, vcc_lo, v2, v33
	v_add_co_ci_u32_e32 v37, vcc_lo, 0, v13, vcc_lo
	s_waitcnt lgkmcnt(0)
	global_store_b32 v[36:37], v38, off offset:32
.LBB4_32:                               ;   in Loop: Header=BB4_11 Depth=1
	s_or_b32 exec_lo, exec_lo, s21
	v_mov_b32_e32 v36, 1
	s_and_saveexec_b32 s21, s3
	s_cbranch_execz .LBB4_9
; %bb.33:                               ;   in Loop: Header=BB4_11 Depth=1
	s_and_not1_b32 vcc_lo, exec_lo, s15
	s_cbranch_vccnz .LBB4_38
; %bb.34:                               ;   in Loop: Header=BB4_11 Depth=1
	ds_load_b32 v38, v30 offset:48
	v_add_co_u32 v36, vcc_lo, v14, v10
	v_add_co_ci_u32_e32 v37, vcc_lo, v35, v11, vcc_lo
	s_mov_b32 s22, 1
	s_waitcnt lgkmcnt(0)
	global_store_b32 v[36:37], v38, off
	s_cbranch_execnz .LBB4_8
	s_branch .LBB4_39
.LBB4_35:                               ;   in Loop: Header=BB4_11 Depth=1
	s_branch .LBB4_23
.LBB4_36:                               ;   in Loop: Header=BB4_11 Depth=1
	s_branch .LBB4_27
.LBB4_37:                               ;   in Loop: Header=BB4_11 Depth=1
	s_branch .LBB4_31
.LBB4_38:                               ;   in Loop: Header=BB4_11 Depth=1
                                        ; implicit-def: $sgpr22
.LBB4_39:                               ;   in Loop: Header=BB4_11 Depth=1
	ds_load_b32 v14, v30 offset:48
	v_add_co_u32 v35, vcc_lo, v2, v33
	v_add_co_ci_u32_e32 v36, vcc_lo, 0, v13, vcc_lo
	s_mov_b32 s22, 1
	s_waitcnt lgkmcnt(0)
	global_store_b32 v[35:36], v14, off offset:48
	s_branch .LBB4_8
.LBB4_40:
	s_endpgm
	.section	.rodata,"a",@progbits
	.p2align	6, 0x0
	.amdhsa_kernel _ZN9rocsparseL42csr2bsr_wavefront_per_row_multipass_kernelILj256ELj64ELj16EiiiEEv20rocsparse_direction_T4_S2_S2_S2_S2_21rocsparse_index_base_PKT2_PKT3_PKS2_S3_PS4_PS7_PS2_
		.amdhsa_group_segment_fixed_size 4100
		.amdhsa_private_segment_fixed_size 0
		.amdhsa_kernarg_size 88
		.amdhsa_user_sgpr_count 15
		.amdhsa_user_sgpr_dispatch_ptr 0
		.amdhsa_user_sgpr_queue_ptr 0
		.amdhsa_user_sgpr_kernarg_segment_ptr 1
		.amdhsa_user_sgpr_dispatch_id 0
		.amdhsa_user_sgpr_private_segment_size 0
		.amdhsa_wavefront_size32 1
		.amdhsa_uses_dynamic_stack 0
		.amdhsa_enable_private_segment 0
		.amdhsa_system_sgpr_workgroup_id_x 1
		.amdhsa_system_sgpr_workgroup_id_y 0
		.amdhsa_system_sgpr_workgroup_id_z 0
		.amdhsa_system_sgpr_workgroup_info 0
		.amdhsa_system_vgpr_workitem_id 0
		.amdhsa_next_free_vgpr 42
		.amdhsa_next_free_sgpr 24
		.amdhsa_reserve_vcc 1
		.amdhsa_float_round_mode_32 0
		.amdhsa_float_round_mode_16_64 0
		.amdhsa_float_denorm_mode_32 3
		.amdhsa_float_denorm_mode_16_64 3
		.amdhsa_dx10_clamp 1
		.amdhsa_ieee_mode 1
		.amdhsa_fp16_overflow 0
		.amdhsa_workgroup_processor_mode 1
		.amdhsa_memory_ordered 1
		.amdhsa_forward_progress 0
		.amdhsa_shared_vgpr_count 0
		.amdhsa_exception_fp_ieee_invalid_op 0
		.amdhsa_exception_fp_denorm_src 0
		.amdhsa_exception_fp_ieee_div_zero 0
		.amdhsa_exception_fp_ieee_overflow 0
		.amdhsa_exception_fp_ieee_underflow 0
		.amdhsa_exception_fp_ieee_inexact 0
		.amdhsa_exception_int_div_zero 0
	.end_amdhsa_kernel
	.section	.text._ZN9rocsparseL42csr2bsr_wavefront_per_row_multipass_kernelILj256ELj64ELj16EiiiEEv20rocsparse_direction_T4_S2_S2_S2_S2_21rocsparse_index_base_PKT2_PKT3_PKS2_S3_PS4_PS7_PS2_,"axG",@progbits,_ZN9rocsparseL42csr2bsr_wavefront_per_row_multipass_kernelILj256ELj64ELj16EiiiEEv20rocsparse_direction_T4_S2_S2_S2_S2_21rocsparse_index_base_PKT2_PKT3_PKS2_S3_PS4_PS7_PS2_,comdat
.Lfunc_end4:
	.size	_ZN9rocsparseL42csr2bsr_wavefront_per_row_multipass_kernelILj256ELj64ELj16EiiiEEv20rocsparse_direction_T4_S2_S2_S2_S2_21rocsparse_index_base_PKT2_PKT3_PKS2_S3_PS4_PS7_PS2_, .Lfunc_end4-_ZN9rocsparseL42csr2bsr_wavefront_per_row_multipass_kernelILj256ELj64ELj16EiiiEEv20rocsparse_direction_T4_S2_S2_S2_S2_21rocsparse_index_base_PKT2_PKT3_PKS2_S3_PS4_PS7_PS2_
                                        ; -- End function
	.section	.AMDGPU.csdata,"",@progbits
; Kernel info:
; codeLenInByte = 2036
; NumSgprs: 26
; NumVgprs: 42
; ScratchSize: 0
; MemoryBound: 0
; FloatMode: 240
; IeeeMode: 1
; LDSByteSize: 4100 bytes/workgroup (compile time only)
; SGPRBlocks: 3
; VGPRBlocks: 5
; NumSGPRsForWavesPerEU: 26
; NumVGPRsForWavesPerEU: 42
; Occupancy: 16
; WaveLimiterHint : 0
; COMPUTE_PGM_RSRC2:SCRATCH_EN: 0
; COMPUTE_PGM_RSRC2:USER_SGPR: 15
; COMPUTE_PGM_RSRC2:TRAP_HANDLER: 0
; COMPUTE_PGM_RSRC2:TGID_X_EN: 1
; COMPUTE_PGM_RSRC2:TGID_Y_EN: 0
; COMPUTE_PGM_RSRC2:TGID_Z_EN: 0
; COMPUTE_PGM_RSRC2:TIDIG_COMP_CNT: 0
	.section	.text._ZN9rocsparseL42csr2bsr_wavefront_per_row_multipass_kernelILj256ELj32ELj16EiiiEEv20rocsparse_direction_T4_S2_S2_S2_S2_21rocsparse_index_base_PKT2_PKT3_PKS2_S3_PS4_PS7_PS2_,"axG",@progbits,_ZN9rocsparseL42csr2bsr_wavefront_per_row_multipass_kernelILj256ELj32ELj16EiiiEEv20rocsparse_direction_T4_S2_S2_S2_S2_21rocsparse_index_base_PKT2_PKT3_PKS2_S3_PS4_PS7_PS2_,comdat
	.globl	_ZN9rocsparseL42csr2bsr_wavefront_per_row_multipass_kernelILj256ELj32ELj16EiiiEEv20rocsparse_direction_T4_S2_S2_S2_S2_21rocsparse_index_base_PKT2_PKT3_PKS2_S3_PS4_PS7_PS2_ ; -- Begin function _ZN9rocsparseL42csr2bsr_wavefront_per_row_multipass_kernelILj256ELj32ELj16EiiiEEv20rocsparse_direction_T4_S2_S2_S2_S2_21rocsparse_index_base_PKT2_PKT3_PKS2_S3_PS4_PS7_PS2_
	.p2align	8
	.type	_ZN9rocsparseL42csr2bsr_wavefront_per_row_multipass_kernelILj256ELj32ELj16EiiiEEv20rocsparse_direction_T4_S2_S2_S2_S2_21rocsparse_index_base_PKT2_PKT3_PKS2_S3_PS4_PS7_PS2_,@function
_ZN9rocsparseL42csr2bsr_wavefront_per_row_multipass_kernelILj256ELj32ELj16EiiiEEv20rocsparse_direction_T4_S2_S2_S2_S2_21rocsparse_index_base_PKT2_PKT3_PKS2_S3_PS4_PS7_PS2_: ; @_ZN9rocsparseL42csr2bsr_wavefront_per_row_multipass_kernelILj256ELj32ELj16EiiiEEv20rocsparse_direction_T4_S2_S2_S2_S2_21rocsparse_index_base_PKT2_PKT3_PKS2_S3_PS4_PS7_PS2_
; %bb.0:
	s_clause 0x1
	s_load_b128 s[8:11], s[0:1], 0xc
	s_load_b64 s[4:5], s[0:1], 0x0
	v_lshrrev_b32_e32 v23, 5, v0
	v_bfe_u32 v4, v0, 1, 4
	s_load_b64 s[6:7], s[0:1], 0x28
	v_mov_b32_e32 v24, 0
	v_mov_b32_e32 v20, 0
	v_lshl_or_b32 v2, s15, 3, v23
	s_waitcnt lgkmcnt(0)
	s_delay_alu instid0(VALU_DEP_1) | instskip(SKIP_1) | instid1(VALU_DEP_2)
	v_mad_u64_u32 v[5:6], null, v2, s10, v[4:5]
	v_cmp_gt_i32_e32 vcc_lo, s10, v4
	v_cmp_gt_i32_e64 s2, s5, v5
	s_delay_alu instid0(VALU_DEP_1) | instskip(NEXT) | instid1(SALU_CYCLE_1)
	s_and_b32 s3, vcc_lo, s2
	s_and_saveexec_b32 s5, s3
	s_cbranch_execz .LBB5_2
; %bb.1:
	v_ashrrev_i32_e32 v6, 31, v5
	s_delay_alu instid0(VALU_DEP_1) | instskip(NEXT) | instid1(VALU_DEP_1)
	v_lshlrev_b64 v[6:7], 2, v[5:6]
	v_add_co_u32 v6, s2, s6, v6
	s_delay_alu instid0(VALU_DEP_1)
	v_add_co_ci_u32_e64 v7, s2, s7, v7, s2
	global_load_b32 v1, v[6:7], off
	s_waitcnt vmcnt(0)
	v_subrev_nc_u32_e32 v20, s11, v1
.LBB5_2:
	s_or_b32 exec_lo, exec_lo, s5
	s_and_saveexec_b32 s5, s3
	s_cbranch_execz .LBB5_4
; %bb.3:
	v_ashrrev_i32_e32 v6, 31, v5
	s_delay_alu instid0(VALU_DEP_1) | instskip(NEXT) | instid1(VALU_DEP_1)
	v_lshlrev_b64 v[5:6], 2, v[5:6]
	v_add_co_u32 v5, s2, s6, v5
	s_delay_alu instid0(VALU_DEP_1)
	v_add_co_ci_u32_e64 v6, s2, s7, v6, s2
	global_load_b32 v1, v[5:6], off offset:4
	s_waitcnt vmcnt(0)
	v_subrev_nc_u32_e32 v24, s11, v1
.LBB5_4:
	s_or_b32 exec_lo, exec_lo, s5
	s_load_b32 s18, s[0:1], 0x38
	v_mov_b32_e32 v1, 0
	s_mov_b32 s3, exec_lo
	v_cmpx_gt_i32_e64 s8, v2
	s_cbranch_execz .LBB5_6
; %bb.5:
	s_load_b64 s[6:7], s[0:1], 0x48
	v_ashrrev_i32_e32 v3, 31, v2
	s_delay_alu instid0(VALU_DEP_1) | instskip(SKIP_1) | instid1(VALU_DEP_1)
	v_lshlrev_b64 v[1:2], 2, v[2:3]
	s_waitcnt lgkmcnt(0)
	v_add_co_u32 v1, s2, s6, v1
	s_delay_alu instid0(VALU_DEP_1)
	v_add_co_ci_u32_e64 v2, s2, s7, v2, s2
	global_load_b32 v1, v[1:2], off
	s_waitcnt vmcnt(0)
	v_subrev_nc_u32_e32 v1, s18, v1
.LBB5_6:
	s_or_b32 exec_lo, exec_lo, s3
	s_cmp_lt_i32 s9, 1
	s_cbranch_scc1 .LBB5_60
; %bb.7:
	v_mbcnt_lo_u32_b32 v6, -1, 0
	s_clause 0x3
	s_load_b64 s[12:13], s[0:1], 0x20
	s_load_b64 s[14:15], s[0:1], 0x50
	s_load_b64 s[2:3], s[0:1], 0x40
	s_load_b64 s[16:17], s[0:1], 0x30
	v_dual_mov_b32 v36, 0x7c :: v_dual_lshlrev_b32 v3, 8, v23
	v_xor_b32_e32 v2, 1, v6
	v_and_b32_e32 v0, 1, v0
	v_lshlrev_b32_e32 v7, 2, v4
	s_delay_alu instid0(VALU_DEP_4)
	v_lshl_or_b32 v25, v4, 4, v3
	v_mov_b32_e32 v3, 0
	v_cmp_gt_i32_e64 s0, 32, v2
	s_cmp_lg_u32 s4, 0
	v_lshl_or_b32 v26, v6, 2, 4
	s_cselect_b32 s19, -1, 0
	s_abs_i32 s22, s10
	v_cndmask_b32_e64 v5, v6, v2, s0
	v_mul_lo_u32 v2, v4, s10
	s_lshl_b32 s23, s10, 1
	v_or_b32_e32 v10, 6, v0
	v_or_b32_e32 v14, 10, v0
	v_lshlrev_b32_e32 v27, 2, v5
	s_waitcnt lgkmcnt(0)
	v_add_co_u32 v28, s0, s2, v7
	s_delay_alu instid0(VALU_DEP_1)
	v_add_co_ci_u32_e64 v29, null, s3, 0, s0
	v_lshlrev_b64 v[4:5], 2, v[2:3]
	v_xor_b32_e32 v2, 16, v6
	v_xor_b32_e32 v7, 2, v6
	s_sub_i32 s6, 0, s22
	v_cmp_gt_u32_e64 s5, s10, v14
	v_or_b32_e32 v18, 14, v0
	v_add_co_u32 v30, s0, s2, v4
	s_delay_alu instid0(VALU_DEP_1)
	v_add_co_ci_u32_e64 v31, s0, s3, v5, s0
	v_xor_b32_e32 v4, 8, v6
	v_cmp_gt_i32_e64 s0, 32, v2
	v_xor_b32_e32 v5, 4, v6
	v_cmp_gt_u32_e64 s3, s10, v10
	v_cmp_gt_u32_e64 s7, s10, v18
	s_mov_b32 s8, 0
	v_cndmask_b32_e64 v2, v6, v2, s0
	v_cmp_gt_i32_e64 s0, 32, v4
	s_mul_hi_u32 s20, s10, s10
	s_mul_i32 s21, s10, s10
	s_and_b32 s3, vcc_lo, s3
	v_lshlrev_b32_e32 v32, 2, v2
	v_cndmask_b32_e64 v4, v6, v4, s0
	v_cmp_gt_i32_e64 s0, 32, v5
	v_mul_lo_u32 v2, v0, s10
	s_and_b32 s5, vcc_lo, s5
	s_and_b32 s7, vcc_lo, s7
	v_lshlrev_b32_e32 v33, 2, v4
	v_cndmask_b32_e64 v5, v6, v5, s0
	v_cmp_gt_i32_e64 s0, 32, v7
	v_or_b32_e32 v4, v25, v0
	v_mov_b32_e32 v9, v3
	s_delay_alu instid0(VALU_DEP_4)
	v_dual_mov_b32 v11, v3 :: v_dual_lshlrev_b32 v34, 2, v5
	v_cvt_f32_u32_e32 v5, s22
	v_cndmask_b32_e64 v6, v6, v7, s0
	v_lshlrev_b32_e32 v37, 2, v4
	v_or_b32_e32 v4, 2, v0
	v_mov_b32_e32 v7, v3
	v_rcp_iflag_f32_e32 v5, v5
	v_lshlrev_b32_e32 v35, 2, v6
	v_add_nc_u32_e32 v6, s23, v2
	v_cmp_gt_u32_e64 s1, s10, v4
	v_or_b32_e32 v4, 4, v0
	v_mov_b32_e32 v13, v3
	v_cmp_gt_u32_e64 s0, s10, v0
	v_dual_mov_b32 v15, v3 :: v_dual_add_nc_u32 v8, s23, v6
	s_delay_alu instid0(VALU_DEP_4) | instskip(NEXT) | instid1(TRANS32_DEP_1)
	v_cmp_gt_u32_e64 s2, s10, v4
	v_mul_f32_e32 v5, 0x4f7ffffe, v5
	v_or_b32_e32 v4, 8, v0
	s_delay_alu instid0(VALU_DEP_4) | instskip(SKIP_2) | instid1(VALU_DEP_4)
	v_dual_mov_b32 v17, v3 :: v_dual_add_nc_u32 v10, s23, v8
	v_lshlrev_b64 v[6:7], 2, v[6:7]
	v_lshlrev_b64 v[8:9], 2, v[8:9]
	v_cmp_gt_u32_e64 s4, s10, v4
	v_cvt_u32_f32_e32 v4, v5
	v_add_nc_u32_e32 v12, s23, v10
	v_or_b32_e32 v5, 12, v0
	v_lshlrev_b64 v[10:11], 2, v[10:11]
	s_and_b32 s1, vcc_lo, s1
	v_mul_lo_u32 v19, s6, v4
	v_add_nc_u32_e32 v14, s23, v12
	v_cmp_gt_u32_e64 s6, s10, v5
	v_lshlrev_b64 v[12:13], 2, v[12:13]
	v_mov_b32_e32 v39, 1
	s_and_b32 s2, vcc_lo, s2
	v_add_nc_u32_e32 v16, s23, v14
	v_lshlrev_b64 v[14:15], 2, v[14:15]
	v_mul_hi_u32 v5, v4, v19
	v_mov_b32_e32 v19, v3
	s_delay_alu instid0(VALU_DEP_4) | instskip(SKIP_4) | instid1(VALU_DEP_4)
	v_dual_mov_b32 v41, 0 :: v_dual_add_nc_u32 v18, s23, v16
	v_lshlrev_b64 v[16:17], 2, v[16:17]
	s_and_b32 s23, s0, vcc_lo
	s_and_b32 s4, vcc_lo, s4
	s_and_b32 s6, vcc_lo, s6
	v_add_nc_u32_e32 v38, v4, v5
	v_lshlrev_b64 v[4:5], 2, v[2:3]
	v_lshlrev_b64 v[18:19], 2, v[18:19]
	s_ashr_i32 s24, s10, 31
	s_branch .LBB5_11
.LBB5_8:                                ;   in Loop: Header=BB5_11 Depth=1
	v_mov_b32_e32 v42, s26
.LBB5_9:                                ;   in Loop: Header=BB5_11 Depth=1
	s_or_b32 exec_lo, exec_lo, s25
.LBB5_10:                               ;   in Loop: Header=BB5_11 Depth=1
	s_delay_alu instid0(SALU_CYCLE_1)
	s_or_b32 exec_lo, exec_lo, s0
	ds_bpermute_b32 v2, v32, v40
	v_add_nc_u32_e32 v1, v42, v1
	s_waitcnt lgkmcnt(0)
	s_waitcnt_vscnt null, 0x0
	buffer_gl0_inv
	buffer_gl0_inv
	v_min_i32_e32 v2, v2, v40
	ds_bpermute_b32 v21, v33, v2
	s_waitcnt lgkmcnt(0)
	v_min_i32_e32 v2, v21, v2
	ds_bpermute_b32 v21, v34, v2
	s_waitcnt lgkmcnt(0)
	;; [unrolled: 3-line block ×5, first 2 shown]
	v_cmp_le_i32_e32 vcc_lo, s9, v41
	s_or_b32 s8, vcc_lo, s8
	s_delay_alu instid0(SALU_CYCLE_1)
	s_and_not1_b32 exec_lo, exec_lo, s8
	s_cbranch_execz .LBB5_60
.LBB5_11:                               ; =>This Loop Header: Depth=1
                                        ;     Child Loop BB5_14 Depth 2
	v_add_nc_u32_e32 v20, v20, v0
	v_mov_b32_e32 v40, s9
	v_mov_b32_e32 v42, v24
	s_mov_b32 s25, exec_lo
	ds_store_b8 v23, v3 offset:8192
	ds_store_2addr_b32 v37, v3, v3 offset1:2
	ds_store_2addr_b32 v37, v3, v3 offset0:4 offset1:6
	ds_store_2addr_b32 v37, v3, v3 offset0:8 offset1:10
	;; [unrolled: 1-line block ×3, first 2 shown]
	s_waitcnt lgkmcnt(0)
	buffer_gl0_inv
	v_cmpx_lt_i32_e64 v20, v24
	s_cbranch_execz .LBB5_19
; %bb.12:                               ;   in Loop: Header=BB5_11 Depth=1
	v_mul_lo_u32 v2, v41, s10
	v_mov_b32_e32 v40, s9
	v_mov_b32_e32 v42, v24
	s_mov_b32 s26, 0
	s_branch .LBB5_14
.LBB5_13:                               ;   in Loop: Header=BB5_14 Depth=2
	s_or_b32 exec_lo, exec_lo, s27
	v_add_nc_u32_e32 v20, 2, v20
	s_xor_b32 s27, vcc_lo, -1
	s_delay_alu instid0(VALU_DEP_1) | instskip(NEXT) | instid1(VALU_DEP_1)
	v_cmp_ge_i32_e64 s0, v20, v24
	s_or_b32 s0, s27, s0
	s_delay_alu instid0(SALU_CYCLE_1) | instskip(NEXT) | instid1(SALU_CYCLE_1)
	s_and_b32 s0, exec_lo, s0
	s_or_b32 s26, s0, s26
	s_delay_alu instid0(SALU_CYCLE_1)
	s_and_not1_b32 exec_lo, exec_lo, s26
	s_cbranch_execz .LBB5_18
.LBB5_14:                               ;   Parent Loop BB5_11 Depth=1
                                        ; =>  This Inner Loop Header: Depth=2
	v_ashrrev_i32_e32 v21, 31, v20
	s_delay_alu instid0(VALU_DEP_1) | instskip(NEXT) | instid1(VALU_DEP_1)
	v_lshlrev_b64 v[21:22], 2, v[20:21]
	v_add_co_u32 v43, vcc_lo, s16, v21
	s_delay_alu instid0(VALU_DEP_2) | instskip(SKIP_3) | instid1(VALU_DEP_1)
	v_add_co_ci_u32_e32 v44, vcc_lo, s17, v22, vcc_lo
	global_load_b32 v43, v[43:44], off
	s_waitcnt vmcnt(0)
	v_subrev_nc_u32_e32 v43, s11, v43
	v_sub_nc_u32_e32 v44, 0, v43
	s_delay_alu instid0(VALU_DEP_1) | instskip(NEXT) | instid1(VALU_DEP_1)
	v_max_i32_e32 v44, v43, v44
	v_mul_hi_u32 v45, v44, v38
	s_delay_alu instid0(VALU_DEP_1) | instskip(NEXT) | instid1(VALU_DEP_1)
	v_mul_lo_u32 v46, v45, s22
	v_sub_nc_u32_e32 v44, v44, v46
	v_add_nc_u32_e32 v46, 1, v45
	s_delay_alu instid0(VALU_DEP_2) | instskip(SKIP_1) | instid1(VALU_DEP_2)
	v_subrev_nc_u32_e32 v47, s22, v44
	v_cmp_le_u32_e32 vcc_lo, s22, v44
	v_dual_cndmask_b32 v45, v45, v46 :: v_dual_cndmask_b32 v44, v44, v47
	v_ashrrev_i32_e32 v46, 31, v43
	s_delay_alu instid0(VALU_DEP_2) | instskip(NEXT) | instid1(VALU_DEP_3)
	v_add_nc_u32_e32 v47, 1, v45
	v_cmp_le_u32_e32 vcc_lo, s22, v44
	s_delay_alu instid0(VALU_DEP_3) | instskip(NEXT) | instid1(VALU_DEP_3)
	v_xor_b32_e32 v46, s24, v46
	v_cndmask_b32_e32 v44, v45, v47, vcc_lo
	s_delay_alu instid0(VALU_DEP_1) | instskip(NEXT) | instid1(VALU_DEP_1)
	v_xor_b32_e32 v44, v44, v46
	v_sub_nc_u32_e32 v45, v44, v46
	v_mov_b32_e32 v44, v42
	s_delay_alu instid0(VALU_DEP_2) | instskip(SKIP_1) | instid1(VALU_DEP_1)
	v_cmp_eq_u32_e32 vcc_lo, v45, v41
	v_cmp_ne_u32_e64 s0, v45, v41
	s_and_saveexec_b32 s27, s0
	s_delay_alu instid0(SALU_CYCLE_1)
	s_xor_b32 s0, exec_lo, s27
; %bb.15:                               ;   in Loop: Header=BB5_14 Depth=2
	v_min_i32_e32 v40, v45, v40
                                        ; implicit-def: $vgpr21_vgpr22
                                        ; implicit-def: $vgpr43
                                        ; implicit-def: $vgpr44
; %bb.16:                               ;   in Loop: Header=BB5_14 Depth=2
	s_or_saveexec_b32 s27, s0
	v_mov_b32_e32 v42, v20
	s_xor_b32 exec_lo, exec_lo, s27
	s_cbranch_execz .LBB5_13
; %bb.17:                               ;   in Loop: Header=BB5_14 Depth=2
	v_add_co_u32 v21, s0, s12, v21
	s_delay_alu instid0(VALU_DEP_1) | instskip(SKIP_3) | instid1(VALU_DEP_1)
	v_add_co_ci_u32_e64 v22, s0, s13, v22, s0
	v_mov_b32_e32 v42, v44
	global_load_b32 v21, v[21:22], off
	v_sub_nc_u32_e32 v22, v43, v2
	v_add_lshl_u32 v22, v25, v22, 2
	ds_store_b8 v23, v39 offset:8192
	s_waitcnt vmcnt(0)
	ds_store_b32 v22, v21
	s_branch .LBB5_13
.LBB5_18:                               ;   in Loop: Header=BB5_11 Depth=1
	s_or_b32 exec_lo, exec_lo, s26
.LBB5_19:                               ;   in Loop: Header=BB5_11 Depth=1
	s_delay_alu instid0(SALU_CYCLE_1)
	s_or_b32 exec_lo, exec_lo, s25
	ds_bpermute_b32 v2, v27, v42
	s_waitcnt lgkmcnt(0)
	buffer_gl0_inv
	ds_load_u8 v21, v23 offset:8192
	s_mov_b32 s0, exec_lo
	v_min_i32_e32 v2, v2, v42
	v_mov_b32_e32 v42, 0
	ds_bpermute_b32 v20, v26, v2
	s_waitcnt lgkmcnt(1)
	v_and_b32_e32 v2, 1, v21
	s_delay_alu instid0(VALU_DEP_1)
	v_cmpx_eq_u32_e32 1, v2
	s_cbranch_execz .LBB5_10
; %bb.20:                               ;   in Loop: Header=BB5_11 Depth=1
	v_ashrrev_i32_e32 v2, 31, v1
	v_mul_lo_u32 v42, s20, v1
	v_mad_u64_u32 v[21:22], null, s21, v1, 0
	v_add_nc_u32_e32 v46, s18, v41
	s_delay_alu instid0(VALU_DEP_4) | instskip(NEXT) | instid1(VALU_DEP_1)
	v_mul_lo_u32 v43, s21, v2
	v_add3_u32 v22, v22, v43, v42
	v_lshlrev_b64 v[42:43], 2, v[1:2]
	s_delay_alu instid0(VALU_DEP_2) | instskip(NEXT) | instid1(VALU_DEP_2)
	v_lshlrev_b64 v[44:45], 2, v[21:22]
	v_add_co_u32 v42, vcc_lo, s14, v42
	s_delay_alu instid0(VALU_DEP_3) | instskip(NEXT) | instid1(VALU_DEP_3)
	v_add_co_ci_u32_e32 v43, vcc_lo, s15, v43, vcc_lo
	v_add_co_u32 v22, vcc_lo, v28, v44
	s_delay_alu instid0(VALU_DEP_4)
	v_add_co_ci_u32_e32 v41, vcc_lo, v29, v45, vcc_lo
	v_add_co_u32 v2, vcc_lo, v30, v44
	v_add_co_ci_u32_e32 v21, vcc_lo, v31, v45, vcc_lo
	global_store_b32 v[42:43], v46, off
	s_and_saveexec_b32 s25, s23
	s_cbranch_execz .LBB5_24
; %bb.21:                               ;   in Loop: Header=BB5_11 Depth=1
	s_and_b32 vcc_lo, exec_lo, s19
	s_cbranch_vccz .LBB5_51
; %bb.22:                               ;   in Loop: Header=BB5_11 Depth=1
	ds_load_b32 v44, v37
	v_add_co_u32 v42, vcc_lo, v22, v4
	v_add_co_ci_u32_e32 v43, vcc_lo, v41, v5, vcc_lo
	s_waitcnt lgkmcnt(0)
	global_store_b32 v[42:43], v44, off
	s_cbranch_execnz .LBB5_24
.LBB5_23:                               ;   in Loop: Header=BB5_11 Depth=1
	ds_load_b32 v44, v37
	v_lshlrev_b32_e32 v42, 2, v0
	s_delay_alu instid0(VALU_DEP_1)
	v_add_co_u32 v42, vcc_lo, v2, v42
	v_add_co_ci_u32_e32 v43, vcc_lo, 0, v21, vcc_lo
	s_waitcnt lgkmcnt(0)
	global_store_b32 v[42:43], v44, off
.LBB5_24:                               ;   in Loop: Header=BB5_11 Depth=1
	s_or_b32 exec_lo, exec_lo, s25
	s_and_saveexec_b32 s25, s1
	s_cbranch_execz .LBB5_28
; %bb.25:                               ;   in Loop: Header=BB5_11 Depth=1
	s_and_not1_b32 vcc_lo, exec_lo, s19
	s_cbranch_vccnz .LBB5_52
; %bb.26:                               ;   in Loop: Header=BB5_11 Depth=1
	ds_load_b32 v44, v37 offset:8
	v_add_co_u32 v42, vcc_lo, v22, v6
	v_add_co_ci_u32_e32 v43, vcc_lo, v41, v7, vcc_lo
	s_waitcnt lgkmcnt(0)
	global_store_b32 v[42:43], v44, off
	s_cbranch_execnz .LBB5_28
.LBB5_27:                               ;   in Loop: Header=BB5_11 Depth=1
	ds_load_b32 v44, v37 offset:8
	v_lshlrev_b32_e32 v42, 2, v0
	s_delay_alu instid0(VALU_DEP_1)
	v_add_co_u32 v42, vcc_lo, v2, v42
	v_add_co_ci_u32_e32 v43, vcc_lo, 0, v21, vcc_lo
	s_waitcnt lgkmcnt(0)
	global_store_b32 v[42:43], v44, off offset:8
.LBB5_28:                               ;   in Loop: Header=BB5_11 Depth=1
	s_or_b32 exec_lo, exec_lo, s25
	s_and_saveexec_b32 s25, s2
	s_cbranch_execz .LBB5_32
; %bb.29:                               ;   in Loop: Header=BB5_11 Depth=1
	s_and_not1_b32 vcc_lo, exec_lo, s19
	s_cbranch_vccnz .LBB5_53
; %bb.30:                               ;   in Loop: Header=BB5_11 Depth=1
	ds_load_b32 v44, v37 offset:16
	v_add_co_u32 v42, vcc_lo, v22, v8
	v_add_co_ci_u32_e32 v43, vcc_lo, v41, v9, vcc_lo
	s_waitcnt lgkmcnt(0)
	global_store_b32 v[42:43], v44, off
	s_cbranch_execnz .LBB5_32
.LBB5_31:                               ;   in Loop: Header=BB5_11 Depth=1
	ds_load_b32 v44, v37 offset:16
	v_lshlrev_b32_e32 v42, 2, v0
	s_delay_alu instid0(VALU_DEP_1)
	v_add_co_u32 v42, vcc_lo, v2, v42
	v_add_co_ci_u32_e32 v43, vcc_lo, 0, v21, vcc_lo
	s_waitcnt lgkmcnt(0)
	global_store_b32 v[42:43], v44, off offset:16
.LBB5_32:                               ;   in Loop: Header=BB5_11 Depth=1
	s_or_b32 exec_lo, exec_lo, s25
	s_and_saveexec_b32 s25, s3
	s_cbranch_execz .LBB5_36
; %bb.33:                               ;   in Loop: Header=BB5_11 Depth=1
	s_and_not1_b32 vcc_lo, exec_lo, s19
	s_cbranch_vccnz .LBB5_54
; %bb.34:                               ;   in Loop: Header=BB5_11 Depth=1
	ds_load_b32 v44, v37 offset:24
	v_add_co_u32 v42, vcc_lo, v22, v10
	v_add_co_ci_u32_e32 v43, vcc_lo, v41, v11, vcc_lo
	s_waitcnt lgkmcnt(0)
	global_store_b32 v[42:43], v44, off
	s_cbranch_execnz .LBB5_36
.LBB5_35:                               ;   in Loop: Header=BB5_11 Depth=1
	ds_load_b32 v44, v37 offset:24
	v_lshlrev_b32_e32 v42, 2, v0
	s_delay_alu instid0(VALU_DEP_1)
	v_add_co_u32 v42, vcc_lo, v2, v42
	v_add_co_ci_u32_e32 v43, vcc_lo, 0, v21, vcc_lo
	s_waitcnt lgkmcnt(0)
	global_store_b32 v[42:43], v44, off offset:24
.LBB5_36:                               ;   in Loop: Header=BB5_11 Depth=1
	s_or_b32 exec_lo, exec_lo, s25
	s_and_saveexec_b32 s25, s4
	s_cbranch_execz .LBB5_40
; %bb.37:                               ;   in Loop: Header=BB5_11 Depth=1
	s_and_not1_b32 vcc_lo, exec_lo, s19
	s_cbranch_vccnz .LBB5_55
; %bb.38:                               ;   in Loop: Header=BB5_11 Depth=1
	ds_load_b32 v44, v37 offset:32
	v_add_co_u32 v42, vcc_lo, v22, v12
	v_add_co_ci_u32_e32 v43, vcc_lo, v41, v13, vcc_lo
	s_waitcnt lgkmcnt(0)
	global_store_b32 v[42:43], v44, off
	s_cbranch_execnz .LBB5_40
.LBB5_39:                               ;   in Loop: Header=BB5_11 Depth=1
	ds_load_b32 v44, v37 offset:32
	v_lshlrev_b32_e32 v42, 2, v0
	s_delay_alu instid0(VALU_DEP_1)
	v_add_co_u32 v42, vcc_lo, v2, v42
	v_add_co_ci_u32_e32 v43, vcc_lo, 0, v21, vcc_lo
	s_waitcnt lgkmcnt(0)
	global_store_b32 v[42:43], v44, off offset:32
.LBB5_40:                               ;   in Loop: Header=BB5_11 Depth=1
	s_or_b32 exec_lo, exec_lo, s25
	s_and_saveexec_b32 s25, s5
	s_cbranch_execz .LBB5_44
; %bb.41:                               ;   in Loop: Header=BB5_11 Depth=1
	s_and_not1_b32 vcc_lo, exec_lo, s19
	s_cbranch_vccnz .LBB5_56
; %bb.42:                               ;   in Loop: Header=BB5_11 Depth=1
	ds_load_b32 v44, v37 offset:40
	v_add_co_u32 v42, vcc_lo, v22, v14
	v_add_co_ci_u32_e32 v43, vcc_lo, v41, v15, vcc_lo
	s_waitcnt lgkmcnt(0)
	global_store_b32 v[42:43], v44, off
	s_cbranch_execnz .LBB5_44
.LBB5_43:                               ;   in Loop: Header=BB5_11 Depth=1
	ds_load_b32 v44, v37 offset:40
	v_lshlrev_b32_e32 v42, 2, v0
	s_delay_alu instid0(VALU_DEP_1)
	v_add_co_u32 v42, vcc_lo, v2, v42
	v_add_co_ci_u32_e32 v43, vcc_lo, 0, v21, vcc_lo
	s_waitcnt lgkmcnt(0)
	global_store_b32 v[42:43], v44, off offset:40
.LBB5_44:                               ;   in Loop: Header=BB5_11 Depth=1
	s_or_b32 exec_lo, exec_lo, s25
	s_and_saveexec_b32 s25, s6
	s_cbranch_execz .LBB5_48
; %bb.45:                               ;   in Loop: Header=BB5_11 Depth=1
	s_and_not1_b32 vcc_lo, exec_lo, s19
	s_cbranch_vccnz .LBB5_57
; %bb.46:                               ;   in Loop: Header=BB5_11 Depth=1
	ds_load_b32 v44, v37 offset:48
	v_add_co_u32 v42, vcc_lo, v22, v16
	v_add_co_ci_u32_e32 v43, vcc_lo, v41, v17, vcc_lo
	s_waitcnt lgkmcnt(0)
	global_store_b32 v[42:43], v44, off
	s_cbranch_execnz .LBB5_48
.LBB5_47:                               ;   in Loop: Header=BB5_11 Depth=1
	ds_load_b32 v44, v37 offset:48
	v_lshlrev_b32_e32 v42, 2, v0
	s_delay_alu instid0(VALU_DEP_1)
	v_add_co_u32 v42, vcc_lo, v2, v42
	v_add_co_ci_u32_e32 v43, vcc_lo, 0, v21, vcc_lo
	s_waitcnt lgkmcnt(0)
	global_store_b32 v[42:43], v44, off offset:48
.LBB5_48:                               ;   in Loop: Header=BB5_11 Depth=1
	s_or_b32 exec_lo, exec_lo, s25
	v_mov_b32_e32 v42, 1
	s_and_saveexec_b32 s25, s7
	s_cbranch_execz .LBB5_9
; %bb.49:                               ;   in Loop: Header=BB5_11 Depth=1
	s_and_not1_b32 vcc_lo, exec_lo, s19
	s_cbranch_vccnz .LBB5_58
; %bb.50:                               ;   in Loop: Header=BB5_11 Depth=1
	ds_load_b32 v44, v37 offset:56
	v_add_co_u32 v42, vcc_lo, v22, v18
	v_add_co_ci_u32_e32 v43, vcc_lo, v41, v19, vcc_lo
	s_mov_b32 s26, 1
	s_waitcnt lgkmcnt(0)
	global_store_b32 v[42:43], v44, off
	s_cbranch_execnz .LBB5_8
	s_branch .LBB5_59
.LBB5_51:                               ;   in Loop: Header=BB5_11 Depth=1
	s_branch .LBB5_23
.LBB5_52:                               ;   in Loop: Header=BB5_11 Depth=1
	s_branch .LBB5_27
.LBB5_53:                               ;   in Loop: Header=BB5_11 Depth=1
	s_branch .LBB5_31
.LBB5_54:                               ;   in Loop: Header=BB5_11 Depth=1
	s_branch .LBB5_35
.LBB5_55:                               ;   in Loop: Header=BB5_11 Depth=1
	s_branch .LBB5_39
.LBB5_56:                               ;   in Loop: Header=BB5_11 Depth=1
	s_branch .LBB5_43
.LBB5_57:                               ;   in Loop: Header=BB5_11 Depth=1
	s_branch .LBB5_47
.LBB5_58:                               ;   in Loop: Header=BB5_11 Depth=1
                                        ; implicit-def: $sgpr26
.LBB5_59:                               ;   in Loop: Header=BB5_11 Depth=1
	ds_load_b32 v22, v37 offset:56
	v_lshlrev_b32_e32 v41, 2, v0
	s_mov_b32 s26, 1
	s_delay_alu instid0(VALU_DEP_1)
	v_add_co_u32 v41, vcc_lo, v2, v41
	v_add_co_ci_u32_e32 v42, vcc_lo, 0, v21, vcc_lo
	s_waitcnt lgkmcnt(0)
	global_store_b32 v[41:42], v22, off offset:56
	s_branch .LBB5_8
.LBB5_60:
	s_endpgm
	.section	.rodata,"a",@progbits
	.p2align	6, 0x0
	.amdhsa_kernel _ZN9rocsparseL42csr2bsr_wavefront_per_row_multipass_kernelILj256ELj32ELj16EiiiEEv20rocsparse_direction_T4_S2_S2_S2_S2_21rocsparse_index_base_PKT2_PKT3_PKS2_S3_PS4_PS7_PS2_
		.amdhsa_group_segment_fixed_size 8200
		.amdhsa_private_segment_fixed_size 0
		.amdhsa_kernarg_size 88
		.amdhsa_user_sgpr_count 15
		.amdhsa_user_sgpr_dispatch_ptr 0
		.amdhsa_user_sgpr_queue_ptr 0
		.amdhsa_user_sgpr_kernarg_segment_ptr 1
		.amdhsa_user_sgpr_dispatch_id 0
		.amdhsa_user_sgpr_private_segment_size 0
		.amdhsa_wavefront_size32 1
		.amdhsa_uses_dynamic_stack 0
		.amdhsa_enable_private_segment 0
		.amdhsa_system_sgpr_workgroup_id_x 1
		.amdhsa_system_sgpr_workgroup_id_y 0
		.amdhsa_system_sgpr_workgroup_id_z 0
		.amdhsa_system_sgpr_workgroup_info 0
		.amdhsa_system_vgpr_workitem_id 0
		.amdhsa_next_free_vgpr 48
		.amdhsa_next_free_sgpr 28
		.amdhsa_reserve_vcc 1
		.amdhsa_float_round_mode_32 0
		.amdhsa_float_round_mode_16_64 0
		.amdhsa_float_denorm_mode_32 3
		.amdhsa_float_denorm_mode_16_64 3
		.amdhsa_dx10_clamp 1
		.amdhsa_ieee_mode 1
		.amdhsa_fp16_overflow 0
		.amdhsa_workgroup_processor_mode 1
		.amdhsa_memory_ordered 1
		.amdhsa_forward_progress 0
		.amdhsa_shared_vgpr_count 0
		.amdhsa_exception_fp_ieee_invalid_op 0
		.amdhsa_exception_fp_denorm_src 0
		.amdhsa_exception_fp_ieee_div_zero 0
		.amdhsa_exception_fp_ieee_overflow 0
		.amdhsa_exception_fp_ieee_underflow 0
		.amdhsa_exception_fp_ieee_inexact 0
		.amdhsa_exception_int_div_zero 0
	.end_amdhsa_kernel
	.section	.text._ZN9rocsparseL42csr2bsr_wavefront_per_row_multipass_kernelILj256ELj32ELj16EiiiEEv20rocsparse_direction_T4_S2_S2_S2_S2_21rocsparse_index_base_PKT2_PKT3_PKS2_S3_PS4_PS7_PS2_,"axG",@progbits,_ZN9rocsparseL42csr2bsr_wavefront_per_row_multipass_kernelILj256ELj32ELj16EiiiEEv20rocsparse_direction_T4_S2_S2_S2_S2_21rocsparse_index_base_PKT2_PKT3_PKS2_S3_PS4_PS7_PS2_,comdat
.Lfunc_end5:
	.size	_ZN9rocsparseL42csr2bsr_wavefront_per_row_multipass_kernelILj256ELj32ELj16EiiiEEv20rocsparse_direction_T4_S2_S2_S2_S2_21rocsparse_index_base_PKT2_PKT3_PKS2_S3_PS4_PS7_PS2_, .Lfunc_end5-_ZN9rocsparseL42csr2bsr_wavefront_per_row_multipass_kernelILj256ELj32ELj16EiiiEEv20rocsparse_direction_T4_S2_S2_S2_S2_21rocsparse_index_base_PKT2_PKT3_PKS2_S3_PS4_PS7_PS2_
                                        ; -- End function
	.section	.AMDGPU.csdata,"",@progbits
; Kernel info:
; codeLenInByte = 2544
; NumSgprs: 30
; NumVgprs: 48
; ScratchSize: 0
; MemoryBound: 0
; FloatMode: 240
; IeeeMode: 1
; LDSByteSize: 8200 bytes/workgroup (compile time only)
; SGPRBlocks: 3
; VGPRBlocks: 5
; NumSGPRsForWavesPerEU: 30
; NumVGPRsForWavesPerEU: 48
; Occupancy: 16
; WaveLimiterHint : 0
; COMPUTE_PGM_RSRC2:SCRATCH_EN: 0
; COMPUTE_PGM_RSRC2:USER_SGPR: 15
; COMPUTE_PGM_RSRC2:TRAP_HANDLER: 0
; COMPUTE_PGM_RSRC2:TGID_X_EN: 1
; COMPUTE_PGM_RSRC2:TGID_Y_EN: 0
; COMPUTE_PGM_RSRC2:TGID_Z_EN: 0
; COMPUTE_PGM_RSRC2:TIDIG_COMP_CNT: 0
	.section	.text._ZN9rocsparseL38csr2bsr_block_per_row_multipass_kernelILj256ELj32EiiiEEv20rocsparse_direction_T3_S2_S2_S2_S2_21rocsparse_index_base_PKT1_PKT2_PKS2_S3_PS4_PS7_PS2_,"axG",@progbits,_ZN9rocsparseL38csr2bsr_block_per_row_multipass_kernelILj256ELj32EiiiEEv20rocsparse_direction_T3_S2_S2_S2_S2_21rocsparse_index_base_PKT1_PKT2_PKS2_S3_PS4_PS7_PS2_,comdat
	.globl	_ZN9rocsparseL38csr2bsr_block_per_row_multipass_kernelILj256ELj32EiiiEEv20rocsparse_direction_T3_S2_S2_S2_S2_21rocsparse_index_base_PKT1_PKT2_PKS2_S3_PS4_PS7_PS2_ ; -- Begin function _ZN9rocsparseL38csr2bsr_block_per_row_multipass_kernelILj256ELj32EiiiEEv20rocsparse_direction_T3_S2_S2_S2_S2_21rocsparse_index_base_PKT1_PKT2_PKS2_S3_PS4_PS7_PS2_
	.p2align	8
	.type	_ZN9rocsparseL38csr2bsr_block_per_row_multipass_kernelILj256ELj32EiiiEEv20rocsparse_direction_T3_S2_S2_S2_S2_21rocsparse_index_base_PKT1_PKT2_PKS2_S3_PS4_PS7_PS2_,@function
_ZN9rocsparseL38csr2bsr_block_per_row_multipass_kernelILj256ELj32EiiiEEv20rocsparse_direction_T3_S2_S2_S2_S2_21rocsparse_index_base_PKT1_PKT2_PKS2_S3_PS4_PS7_PS2_: ; @_ZN9rocsparseL38csr2bsr_block_per_row_multipass_kernelILj256ELj32EiiiEEv20rocsparse_direction_T3_S2_S2_S2_S2_21rocsparse_index_base_PKT1_PKT2_PKS2_S3_PS4_PS7_PS2_
; %bb.0:
	s_clause 0x1
	s_load_b128 s[16:19], s[0:1], 0x10
	s_load_b64 s[8:9], s[0:1], 0x0
	v_lshrrev_b32_e32 v1, 3, v0
	s_load_b64 s[6:7], s[0:1], 0x28
	s_mov_b32 s4, s15
	v_dual_mov_b32 v12, 0 :: v_dual_mov_b32 v9, 0
	s_waitcnt lgkmcnt(0)
	v_mad_u64_u32 v[2:3], null, s4, s17, v[1:2]
	v_cmp_gt_i32_e32 vcc_lo, s17, v1
	s_delay_alu instid0(VALU_DEP_2) | instskip(NEXT) | instid1(VALU_DEP_1)
	v_cmp_gt_i32_e64 s2, s9, v2
	s_and_b32 s3, vcc_lo, s2
	s_delay_alu instid0(SALU_CYCLE_1)
	s_and_saveexec_b32 s5, s3
	s_cbranch_execnz .LBB6_3
; %bb.1:
	s_or_b32 exec_lo, exec_lo, s5
	s_and_saveexec_b32 s5, s3
	s_cbranch_execnz .LBB6_4
.LBB6_2:
	s_or_b32 exec_lo, exec_lo, s5
	s_cmp_lt_i32 s16, 1
	s_cbranch_scc0 .LBB6_5
	s_branch .LBB6_41
.LBB6_3:
	v_ashrrev_i32_e32 v3, 31, v2
	s_delay_alu instid0(VALU_DEP_1) | instskip(NEXT) | instid1(VALU_DEP_1)
	v_lshlrev_b64 v[3:4], 2, v[2:3]
	v_add_co_u32 v3, s2, s6, v3
	s_delay_alu instid0(VALU_DEP_1)
	v_add_co_ci_u32_e64 v4, s2, s7, v4, s2
	global_load_b32 v3, v[3:4], off
	s_waitcnt vmcnt(0)
	v_subrev_nc_u32_e32 v9, s18, v3
	s_or_b32 exec_lo, exec_lo, s5
	s_and_saveexec_b32 s5, s3
	s_cbranch_execz .LBB6_2
.LBB6_4:
	v_ashrrev_i32_e32 v3, 31, v2
	s_delay_alu instid0(VALU_DEP_1) | instskip(NEXT) | instid1(VALU_DEP_1)
	v_lshlrev_b64 v[2:3], 2, v[2:3]
	v_add_co_u32 v2, s2, s6, v2
	s_delay_alu instid0(VALU_DEP_1)
	v_add_co_ci_u32_e64 v3, s2, s7, v3, s2
	global_load_b32 v2, v[2:3], off offset:4
	s_waitcnt vmcnt(0)
	v_subrev_nc_u32_e32 v12, s18, v2
	s_or_b32 exec_lo, exec_lo, s5
	s_cmp_lt_i32 s16, 1
	s_cbranch_scc1 .LBB6_41
.LBB6_5:
	s_clause 0x4
	s_load_b128 s[20:23], s[0:1], 0x40
	s_load_b64 s[14:15], s[0:1], 0x50
	s_load_b64 s[24:25], s[0:1], 0x20
	;; [unrolled: 1-line block ×3, first 2 shown]
	s_load_b32 s19, s[0:1], 0x38
	s_ashr_i32 s5, s4, 31
	v_mbcnt_lo_u32_b32 v3, -1, 0
	s_lshl_b64 s[0:1], s[4:5], 2
	v_dual_mov_b32 v2, 0 :: v_dual_and_b32 v13, 7, v0
	v_lshlrev_b32_e32 v15, 2, v0
	v_cmp_gt_u32_e64 s2, 32, v0
	v_cmp_gt_u32_e64 s3, 16, v0
	;; [unrolled: 1-line block ×3, first 2 shown]
	v_mov_b32_e32 v6, v2
	v_cmp_gt_u32_e64 s5, 4, v0
	v_cmp_gt_u32_e64 s6, 2, v0
	v_cmp_eq_u32_e64 s7, 0, v0
	v_xor_b32_e32 v4, 2, v3
	v_xor_b32_e32 v7, 1, v3
	s_waitcnt lgkmcnt(0)
	s_add_u32 s0, s22, s0
	s_addc_u32 s1, s23, s1
	v_dual_mov_b32 v11, v2 :: v_dual_lshlrev_b32 v14, 5, v1
	s_load_b32 s10, s[0:1], 0x0
	v_cmp_gt_u32_e64 s0, 0x80, v0
	v_cmp_gt_u32_e64 s1, 64, v0
	v_xor_b32_e32 v0, 4, v3
	v_dual_mov_b32 v16, 1 :: v_dual_lshlrev_b32 v5, 2, v1
	v_mul_lo_u32 v1, v1, s17
	v_lshl_or_b32 v17, v3, 2, 28
	v_or_b32_e32 v19, 8, v13
	v_or_b32_e32 v22, 24, v13
	;; [unrolled: 1-line block ×3, first 2 shown]
	v_lshlrev_b32_e32 v10, 2, v13
	v_or_b32_e32 v18, v14, v13
	v_cmp_gt_u32_e64 s9, s17, v13
	v_lshlrev_b64 v[24:25], 2, v[1:2]
	v_mul_lo_u32 v1, v13, s17
	v_cmp_gt_u32_e64 s12, s17, v22
	v_cmp_gt_u32_e64 s11, s17, v20
	v_lshlrev_b32_e32 v18, 2, v18
	s_mul_hi_u32 s28, s17, s17
	s_waitcnt lgkmcnt(0)
	s_sub_i32 s22, s10, s19
	s_cmp_eq_u32 s8, 0
	v_cmp_gt_i32_e64 s10, 32, v0
	s_cselect_b32 s8, -1, 0
	s_abs_i32 s30, s17
	s_lshl_b32 s23, s17, 3
	v_cvt_f32_u32_e32 v21, s30
	v_cndmask_b32_e64 v0, v3, v0, s10
	v_cmp_gt_i32_e64 s10, 32, v4
	s_sub_i32 s13, 0, s30
	s_mul_i32 s29, s17, s17
	v_rcp_iflag_f32_e32 v21, v21
	v_mov_b32_e32 v8, v2
	v_cndmask_b32_e64 v4, v3, v4, s10
	v_cmp_gt_i32_e64 s10, 32, v7
	v_mov_b32_e32 v28, 0
	s_and_b32 s11, vcc_lo, s11
	s_and_b32 s12, vcc_lo, s12
	v_lshlrev_b32_e32 v20, 2, v4
	v_cndmask_b32_e64 v3, v3, v7, s10
	v_cmp_gt_u32_e64 s10, s17, v19
	v_mul_f32_e32 v7, 0x4f7ffffe, v21
	v_lshlrev_b32_e32 v19, 2, v0
	s_delay_alu instid0(VALU_DEP_4) | instskip(SKIP_1) | instid1(VALU_DEP_4)
	v_lshlrev_b32_e32 v21, 2, v3
	v_lshlrev_b64 v[3:4], 2, v[1:2]
	v_cvt_u32_f32_e32 v26, v7
	s_and_b32 s10, vcc_lo, s10
	s_delay_alu instid0(VALU_DEP_1) | instskip(SKIP_4) | instid1(VALU_DEP_3)
	v_mul_lo_u32 v0, s13, v26
	v_add_co_u32 v22, s13, s20, v5
	v_add_nc_u32_e32 v5, s23, v1
	v_add_co_ci_u32_e64 v23, null, s21, 0, s13
	v_add_co_u32 v1, s13, s20, v24
	v_add_nc_u32_e32 v7, s23, v5
	v_mul_hi_u32 v27, v26, v0
	v_add_co_ci_u32_e64 v25, s13, s21, v25, s13
	s_delay_alu instid0(VALU_DEP_4) | instskip(NEXT) | instid1(VALU_DEP_4)
	v_add_co_u32 v24, s13, v1, v10
	v_add_nc_u32_e32 v10, s23, v7
	v_lshlrev_b64 v[0:1], 2, v[5:6]
	v_lshlrev_b64 v[5:6], 2, v[7:8]
	v_add_co_ci_u32_e64 v25, s13, 0, v25, s13
	s_delay_alu instid0(VALU_DEP_4)
	v_lshlrev_b64 v[7:8], 2, v[10:11]
	v_add_nc_u32_e32 v26, v26, v27
	s_and_b32 s13, vcc_lo, s9
	s_ashr_i32 s20, s17, 31
	s_branch .LBB6_7
.LBB6_6:                                ;   in Loop: Header=BB6_7 Depth=1
	s_or_b32 exec_lo, exec_lo, s21
	s_waitcnt lgkmcnt(0)
	s_barrier
	buffer_gl0_inv
	ds_load_b32 v28, v2
	s_add_i32 s22, s9, s22
	s_waitcnt lgkmcnt(0)
	s_barrier
	buffer_gl0_inv
	v_cmp_gt_i32_e32 vcc_lo, s16, v28
	s_cbranch_vccz .LBB6_41
.LBB6_7:                                ; =>This Loop Header: Depth=1
                                        ;     Child Loop BB6_10 Depth 2
	v_dual_mov_b32 v30, v12 :: v_dual_add_nc_u32 v9, v9, v13
	v_mov_b32_e32 v27, s16
	s_mov_b32 s21, exec_lo
	ds_store_b8 v2, v2 offset:4096
	ds_store_2addr_b32 v18, v2, v2 offset1:8
	ds_store_2addr_b32 v18, v2, v2 offset0:16 offset1:24
	s_waitcnt lgkmcnt(0)
	s_barrier
	buffer_gl0_inv
	v_cmpx_lt_i32_e64 v9, v12
	s_cbranch_execz .LBB6_15
; %bb.8:                                ;   in Loop: Header=BB6_7 Depth=1
	v_mul_lo_u32 v29, v28, s17
	v_dual_mov_b32 v27, s16 :: v_dual_mov_b32 v30, v12
	s_mov_b32 s23, 0
	s_branch .LBB6_10
.LBB6_9:                                ;   in Loop: Header=BB6_10 Depth=2
	s_or_b32 exec_lo, exec_lo, s31
	v_add_nc_u32_e32 v9, 8, v9
	s_xor_b32 s31, vcc_lo, -1
	s_delay_alu instid0(VALU_DEP_1) | instskip(NEXT) | instid1(VALU_DEP_1)
	v_cmp_ge_i32_e64 s9, v9, v12
	s_or_b32 s9, s31, s9
	s_delay_alu instid0(SALU_CYCLE_1) | instskip(NEXT) | instid1(SALU_CYCLE_1)
	s_and_b32 s9, exec_lo, s9
	s_or_b32 s23, s9, s23
	s_delay_alu instid0(SALU_CYCLE_1)
	s_and_not1_b32 exec_lo, exec_lo, s23
	s_cbranch_execz .LBB6_14
.LBB6_10:                               ;   Parent Loop BB6_7 Depth=1
                                        ; =>  This Inner Loop Header: Depth=2
	v_ashrrev_i32_e32 v10, 31, v9
	s_delay_alu instid0(VALU_DEP_1) | instskip(NEXT) | instid1(VALU_DEP_1)
	v_lshlrev_b64 v[10:11], 2, v[9:10]
	v_add_co_u32 v31, vcc_lo, s26, v10
	s_delay_alu instid0(VALU_DEP_2) | instskip(SKIP_3) | instid1(VALU_DEP_1)
	v_add_co_ci_u32_e32 v32, vcc_lo, s27, v11, vcc_lo
	global_load_b32 v31, v[31:32], off
	s_waitcnt vmcnt(0)
	v_subrev_nc_u32_e32 v31, s18, v31
	v_sub_nc_u32_e32 v32, 0, v31
	s_delay_alu instid0(VALU_DEP_1) | instskip(NEXT) | instid1(VALU_DEP_1)
	v_max_i32_e32 v32, v31, v32
	v_mul_hi_u32 v33, v32, v26
	s_delay_alu instid0(VALU_DEP_1) | instskip(NEXT) | instid1(VALU_DEP_1)
	v_mul_lo_u32 v34, v33, s30
	v_sub_nc_u32_e32 v32, v32, v34
	v_add_nc_u32_e32 v34, 1, v33
	s_delay_alu instid0(VALU_DEP_2) | instskip(SKIP_1) | instid1(VALU_DEP_2)
	v_subrev_nc_u32_e32 v35, s30, v32
	v_cmp_le_u32_e32 vcc_lo, s30, v32
	v_dual_cndmask_b32 v33, v33, v34 :: v_dual_cndmask_b32 v32, v32, v35
	v_ashrrev_i32_e32 v34, 31, v31
	s_delay_alu instid0(VALU_DEP_2) | instskip(NEXT) | instid1(VALU_DEP_3)
	v_add_nc_u32_e32 v35, 1, v33
	v_cmp_le_u32_e32 vcc_lo, s30, v32
	s_delay_alu instid0(VALU_DEP_3) | instskip(NEXT) | instid1(VALU_DEP_3)
	v_xor_b32_e32 v34, s20, v34
	v_cndmask_b32_e32 v32, v33, v35, vcc_lo
	s_delay_alu instid0(VALU_DEP_1) | instskip(NEXT) | instid1(VALU_DEP_1)
	v_xor_b32_e32 v32, v32, v34
	v_sub_nc_u32_e32 v33, v32, v34
	v_mov_b32_e32 v32, v30
	s_delay_alu instid0(VALU_DEP_2) | instskip(SKIP_1) | instid1(VALU_DEP_1)
	v_cmp_eq_u32_e32 vcc_lo, v33, v28
	v_cmp_ne_u32_e64 s9, v33, v28
	s_and_saveexec_b32 s31, s9
	s_delay_alu instid0(SALU_CYCLE_1)
	s_xor_b32 s9, exec_lo, s31
; %bb.11:                               ;   in Loop: Header=BB6_10 Depth=2
	v_min_i32_e32 v27, v33, v27
                                        ; implicit-def: $vgpr10_vgpr11
                                        ; implicit-def: $vgpr31
                                        ; implicit-def: $vgpr32
; %bb.12:                               ;   in Loop: Header=BB6_10 Depth=2
	s_or_saveexec_b32 s31, s9
	v_mov_b32_e32 v30, v9
	s_xor_b32 exec_lo, exec_lo, s31
	s_cbranch_execz .LBB6_9
; %bb.13:                               ;   in Loop: Header=BB6_10 Depth=2
	v_add_co_u32 v10, s9, s24, v10
	s_delay_alu instid0(VALU_DEP_1) | instskip(SKIP_3) | instid1(VALU_DEP_1)
	v_add_co_ci_u32_e64 v11, s9, s25, v11, s9
	v_mov_b32_e32 v30, v32
	global_load_b32 v10, v[10:11], off
	v_sub_nc_u32_e32 v11, v31, v29
	v_add_lshl_u32 v11, v11, v14, 2
	ds_store_b8 v2, v16 offset:4096
	s_waitcnt vmcnt(0)
	ds_store_b32 v11, v10
	s_branch .LBB6_9
.LBB6_14:                               ;   in Loop: Header=BB6_7 Depth=1
	s_or_b32 exec_lo, exec_lo, s23
.LBB6_15:                               ;   in Loop: Header=BB6_7 Depth=1
	s_delay_alu instid0(SALU_CYCLE_1)
	s_or_b32 exec_lo, exec_lo, s21
	ds_bpermute_b32 v9, v19, v30
	s_waitcnt lgkmcnt(0)
	s_barrier
	buffer_gl0_inv
	ds_load_u8 v11, v2 offset:4096
	s_mov_b32 s9, 0
	v_min_i32_e32 v9, v9, v30
	s_waitcnt lgkmcnt(0)
	v_cmp_eq_u32_e32 vcc_lo, 0, v11
	ds_bpermute_b32 v10, v20, v9
	s_and_b32 vcc_lo, exec_lo, vcc_lo
	s_waitcnt lgkmcnt(0)
	v_min_i32_e32 v9, v10, v9
	ds_bpermute_b32 v10, v21, v9
	s_waitcnt lgkmcnt(0)
	v_min_i32_e32 v9, v10, v9
	ds_bpermute_b32 v9, v17, v9
	s_cbranch_vccnz .LBB6_22
; %bb.16:                               ;   in Loop: Header=BB6_7 Depth=1
	s_ashr_i32 s23, s22, 31
	s_mul_hi_u32 s9, s29, s22
	s_lshl_b64 s[34:35], s[22:23], 2
	s_mul_i32 s21, s29, s23
	s_add_u32 s34, s14, s34
	s_addc_u32 s35, s15, s35
	s_add_i32 s9, s9, s21
	s_mul_i32 s21, s28, s22
	s_mul_i32 s36, s29, s22
	s_add_i32 s37, s9, s21
	v_add_nc_u32_e32 v30, s19, v28
	s_lshl_b64 s[36:37], s[36:37], 2
	s_delay_alu instid0(SALU_CYCLE_1)
	v_add_co_u32 v10, vcc_lo, v22, s36
	v_add_co_ci_u32_e32 v11, vcc_lo, s37, v23, vcc_lo
	v_add_co_u32 v28, vcc_lo, v24, s36
	v_add_co_ci_u32_e32 v29, vcc_lo, s37, v25, vcc_lo
	global_store_b32 v2, v30, s[34:35]
	s_and_saveexec_b32 s9, s13
	s_cbranch_execnz .LBB6_38
; %bb.17:                               ;   in Loop: Header=BB6_7 Depth=1
	s_or_b32 exec_lo, exec_lo, s9
	s_and_saveexec_b32 s9, s10
	s_cbranch_execnz .LBB6_39
.LBB6_18:                               ;   in Loop: Header=BB6_7 Depth=1
	s_or_b32 exec_lo, exec_lo, s9
	s_and_saveexec_b32 s9, s11
	s_cbranch_execnz .LBB6_40
.LBB6_19:                               ;   in Loop: Header=BB6_7 Depth=1
	s_or_b32 exec_lo, exec_lo, s9
	s_and_saveexec_b32 s9, s12
	s_cbranch_execz .LBB6_21
.LBB6_20:                               ;   in Loop: Header=BB6_7 Depth=1
	ds_load_b32 v30, v18 offset:96
	v_add_co_u32 v28, vcc_lo, 0x60, v28
	v_add_co_ci_u32_e32 v29, vcc_lo, 0, v29, vcc_lo
	v_add_co_u32 v10, vcc_lo, v10, v7
	v_add_co_ci_u32_e32 v11, vcc_lo, v11, v8, vcc_lo
	s_delay_alu instid0(VALU_DEP_2) | instskip(NEXT) | instid1(VALU_DEP_2)
	v_cndmask_b32_e64 v10, v10, v28, s8
	v_cndmask_b32_e64 v11, v11, v29, s8
	s_waitcnt lgkmcnt(0)
	global_store_b32 v[10:11], v30, off
.LBB6_21:                               ;   in Loop: Header=BB6_7 Depth=1
	s_or_b32 exec_lo, exec_lo, s9
	s_mov_b32 s9, 1
.LBB6_22:                               ;   in Loop: Header=BB6_7 Depth=1
	s_waitcnt lgkmcnt(0)
	s_waitcnt_vscnt null, 0x0
	s_barrier
	buffer_gl0_inv
	ds_store_b32 v15, v27
	s_waitcnt lgkmcnt(0)
	s_barrier
	buffer_gl0_inv
	s_and_saveexec_b32 s21, s0
	s_cbranch_execz .LBB6_24
; %bb.23:                               ;   in Loop: Header=BB6_7 Depth=1
	ds_load_2addr_stride64_b32 v[10:11], v15 offset1:2
	s_waitcnt lgkmcnt(0)
	v_min_i32_e32 v10, v11, v10
	ds_store_b32 v15, v10
.LBB6_24:                               ;   in Loop: Header=BB6_7 Depth=1
	s_or_b32 exec_lo, exec_lo, s21
	s_waitcnt lgkmcnt(0)
	s_barrier
	buffer_gl0_inv
	s_and_saveexec_b32 s21, s1
	s_cbranch_execz .LBB6_26
; %bb.25:                               ;   in Loop: Header=BB6_7 Depth=1
	ds_load_2addr_stride64_b32 v[10:11], v15 offset1:1
	s_waitcnt lgkmcnt(0)
	v_min_i32_e32 v10, v11, v10
	ds_store_b32 v15, v10
.LBB6_26:                               ;   in Loop: Header=BB6_7 Depth=1
	s_or_b32 exec_lo, exec_lo, s21
	s_waitcnt lgkmcnt(0)
	s_barrier
	buffer_gl0_inv
	s_and_saveexec_b32 s21, s2
	s_cbranch_execz .LBB6_28
; %bb.27:                               ;   in Loop: Header=BB6_7 Depth=1
	ds_load_2addr_b32 v[10:11], v15 offset1:32
	s_waitcnt lgkmcnt(0)
	v_min_i32_e32 v10, v11, v10
	ds_store_b32 v15, v10
.LBB6_28:                               ;   in Loop: Header=BB6_7 Depth=1
	s_or_b32 exec_lo, exec_lo, s21
	s_waitcnt lgkmcnt(0)
	s_barrier
	buffer_gl0_inv
	s_and_saveexec_b32 s21, s3
	s_cbranch_execz .LBB6_30
; %bb.29:                               ;   in Loop: Header=BB6_7 Depth=1
	ds_load_2addr_b32 v[10:11], v15 offset1:16
	s_waitcnt lgkmcnt(0)
	v_min_i32_e32 v10, v11, v10
	ds_store_b32 v15, v10
.LBB6_30:                               ;   in Loop: Header=BB6_7 Depth=1
	;; [unrolled: 12-line block ×5, first 2 shown]
	s_or_b32 exec_lo, exec_lo, s21
	s_waitcnt lgkmcnt(0)
	s_barrier
	buffer_gl0_inv
	s_and_saveexec_b32 s21, s7
	s_cbranch_execz .LBB6_6
; %bb.37:                               ;   in Loop: Header=BB6_7 Depth=1
	ds_load_b64 v[10:11], v2
	s_waitcnt lgkmcnt(0)
	v_min_i32_e32 v10, v11, v10
	ds_store_b32 v2, v10
	s_branch .LBB6_6
.LBB6_38:                               ;   in Loop: Header=BB6_7 Depth=1
	ds_load_b32 v32, v18
	v_add_co_u32 v30, vcc_lo, v10, v3
	v_add_co_ci_u32_e32 v31, vcc_lo, v11, v4, vcc_lo
	s_delay_alu instid0(VALU_DEP_2) | instskip(NEXT) | instid1(VALU_DEP_2)
	v_cndmask_b32_e64 v30, v30, v28, s8
	v_cndmask_b32_e64 v31, v31, v29, s8
	s_waitcnt lgkmcnt(0)
	global_store_b32 v[30:31], v32, off
	s_or_b32 exec_lo, exec_lo, s9
	s_and_saveexec_b32 s9, s10
	s_cbranch_execz .LBB6_18
.LBB6_39:                               ;   in Loop: Header=BB6_7 Depth=1
	ds_load_b32 v32, v18 offset:32
	v_add_co_u32 v30, vcc_lo, v28, 32
	v_add_co_ci_u32_e32 v31, vcc_lo, 0, v29, vcc_lo
	v_add_co_u32 v33, vcc_lo, v10, v0
	v_add_co_ci_u32_e32 v34, vcc_lo, v11, v1, vcc_lo
	s_delay_alu instid0(VALU_DEP_2) | instskip(NEXT) | instid1(VALU_DEP_2)
	v_cndmask_b32_e64 v30, v33, v30, s8
	v_cndmask_b32_e64 v31, v34, v31, s8
	s_waitcnt lgkmcnt(0)
	global_store_b32 v[30:31], v32, off
	s_or_b32 exec_lo, exec_lo, s9
	s_and_saveexec_b32 s9, s11
	s_cbranch_execz .LBB6_19
.LBB6_40:                               ;   in Loop: Header=BB6_7 Depth=1
	ds_load_b32 v32, v18 offset:64
	v_add_co_u32 v30, vcc_lo, v28, 64
	v_add_co_ci_u32_e32 v31, vcc_lo, 0, v29, vcc_lo
	v_add_co_u32 v33, vcc_lo, v10, v5
	v_add_co_ci_u32_e32 v34, vcc_lo, v11, v6, vcc_lo
	s_delay_alu instid0(VALU_DEP_2) | instskip(NEXT) | instid1(VALU_DEP_2)
	v_cndmask_b32_e64 v30, v33, v30, s8
	v_cndmask_b32_e64 v31, v34, v31, s8
	s_waitcnt lgkmcnt(0)
	global_store_b32 v[30:31], v32, off
	s_or_b32 exec_lo, exec_lo, s9
	s_and_saveexec_b32 s9, s12
	s_cbranch_execnz .LBB6_20
	s_branch .LBB6_21
.LBB6_41:
	s_endpgm
	.section	.rodata,"a",@progbits
	.p2align	6, 0x0
	.amdhsa_kernel _ZN9rocsparseL38csr2bsr_block_per_row_multipass_kernelILj256ELj32EiiiEEv20rocsparse_direction_T3_S2_S2_S2_S2_21rocsparse_index_base_PKT1_PKT2_PKS2_S3_PS4_PS7_PS2_
		.amdhsa_group_segment_fixed_size 4100
		.amdhsa_private_segment_fixed_size 0
		.amdhsa_kernarg_size 88
		.amdhsa_user_sgpr_count 15
		.amdhsa_user_sgpr_dispatch_ptr 0
		.amdhsa_user_sgpr_queue_ptr 0
		.amdhsa_user_sgpr_kernarg_segment_ptr 1
		.amdhsa_user_sgpr_dispatch_id 0
		.amdhsa_user_sgpr_private_segment_size 0
		.amdhsa_wavefront_size32 1
		.amdhsa_uses_dynamic_stack 0
		.amdhsa_enable_private_segment 0
		.amdhsa_system_sgpr_workgroup_id_x 1
		.amdhsa_system_sgpr_workgroup_id_y 0
		.amdhsa_system_sgpr_workgroup_id_z 0
		.amdhsa_system_sgpr_workgroup_info 0
		.amdhsa_system_vgpr_workitem_id 0
		.amdhsa_next_free_vgpr 36
		.amdhsa_next_free_sgpr 38
		.amdhsa_reserve_vcc 1
		.amdhsa_float_round_mode_32 0
		.amdhsa_float_round_mode_16_64 0
		.amdhsa_float_denorm_mode_32 3
		.amdhsa_float_denorm_mode_16_64 3
		.amdhsa_dx10_clamp 1
		.amdhsa_ieee_mode 1
		.amdhsa_fp16_overflow 0
		.amdhsa_workgroup_processor_mode 1
		.amdhsa_memory_ordered 1
		.amdhsa_forward_progress 0
		.amdhsa_shared_vgpr_count 0
		.amdhsa_exception_fp_ieee_invalid_op 0
		.amdhsa_exception_fp_denorm_src 0
		.amdhsa_exception_fp_ieee_div_zero 0
		.amdhsa_exception_fp_ieee_overflow 0
		.amdhsa_exception_fp_ieee_underflow 0
		.amdhsa_exception_fp_ieee_inexact 0
		.amdhsa_exception_int_div_zero 0
	.end_amdhsa_kernel
	.section	.text._ZN9rocsparseL38csr2bsr_block_per_row_multipass_kernelILj256ELj32EiiiEEv20rocsparse_direction_T3_S2_S2_S2_S2_21rocsparse_index_base_PKT1_PKT2_PKS2_S3_PS4_PS7_PS2_,"axG",@progbits,_ZN9rocsparseL38csr2bsr_block_per_row_multipass_kernelILj256ELj32EiiiEEv20rocsparse_direction_T3_S2_S2_S2_S2_21rocsparse_index_base_PKT1_PKT2_PKS2_S3_PS4_PS7_PS2_,comdat
.Lfunc_end6:
	.size	_ZN9rocsparseL38csr2bsr_block_per_row_multipass_kernelILj256ELj32EiiiEEv20rocsparse_direction_T3_S2_S2_S2_S2_21rocsparse_index_base_PKT1_PKT2_PKS2_S3_PS4_PS7_PS2_, .Lfunc_end6-_ZN9rocsparseL38csr2bsr_block_per_row_multipass_kernelILj256ELj32EiiiEEv20rocsparse_direction_T3_S2_S2_S2_S2_21rocsparse_index_base_PKT1_PKT2_PKS2_S3_PS4_PS7_PS2_
                                        ; -- End function
	.section	.AMDGPU.csdata,"",@progbits
; Kernel info:
; codeLenInByte = 2248
; NumSgprs: 40
; NumVgprs: 36
; ScratchSize: 0
; MemoryBound: 0
; FloatMode: 240
; IeeeMode: 1
; LDSByteSize: 4100 bytes/workgroup (compile time only)
; SGPRBlocks: 4
; VGPRBlocks: 4
; NumSGPRsForWavesPerEU: 40
; NumVGPRsForWavesPerEU: 36
; Occupancy: 16
; WaveLimiterHint : 0
; COMPUTE_PGM_RSRC2:SCRATCH_EN: 0
; COMPUTE_PGM_RSRC2:USER_SGPR: 15
; COMPUTE_PGM_RSRC2:TRAP_HANDLER: 0
; COMPUTE_PGM_RSRC2:TGID_X_EN: 1
; COMPUTE_PGM_RSRC2:TGID_Y_EN: 0
; COMPUTE_PGM_RSRC2:TGID_Z_EN: 0
; COMPUTE_PGM_RSRC2:TIDIG_COMP_CNT: 0
	.section	.text._ZN9rocsparseL38csr2bsr_block_per_row_multipass_kernelILj256ELj64EiiiEEv20rocsparse_direction_T3_S2_S2_S2_S2_21rocsparse_index_base_PKT1_PKT2_PKS2_S3_PS4_PS7_PS2_,"axG",@progbits,_ZN9rocsparseL38csr2bsr_block_per_row_multipass_kernelILj256ELj64EiiiEEv20rocsparse_direction_T3_S2_S2_S2_S2_21rocsparse_index_base_PKT1_PKT2_PKS2_S3_PS4_PS7_PS2_,comdat
	.globl	_ZN9rocsparseL38csr2bsr_block_per_row_multipass_kernelILj256ELj64EiiiEEv20rocsparse_direction_T3_S2_S2_S2_S2_21rocsparse_index_base_PKT1_PKT2_PKS2_S3_PS4_PS7_PS2_ ; -- Begin function _ZN9rocsparseL38csr2bsr_block_per_row_multipass_kernelILj256ELj64EiiiEEv20rocsparse_direction_T3_S2_S2_S2_S2_21rocsparse_index_base_PKT1_PKT2_PKS2_S3_PS4_PS7_PS2_
	.p2align	8
	.type	_ZN9rocsparseL38csr2bsr_block_per_row_multipass_kernelILj256ELj64EiiiEEv20rocsparse_direction_T3_S2_S2_S2_S2_21rocsparse_index_base_PKT1_PKT2_PKS2_S3_PS4_PS7_PS2_,@function
_ZN9rocsparseL38csr2bsr_block_per_row_multipass_kernelILj256ELj64EiiiEEv20rocsparse_direction_T3_S2_S2_S2_S2_21rocsparse_index_base_PKT1_PKT2_PKS2_S3_PS4_PS7_PS2_: ; @_ZN9rocsparseL38csr2bsr_block_per_row_multipass_kernelILj256ELj64EiiiEEv20rocsparse_direction_T3_S2_S2_S2_S2_21rocsparse_index_base_PKT1_PKT2_PKS2_S3_PS4_PS7_PS2_
; %bb.0:
	s_mov_b32 s10, s15
	s_clause 0x1
	s_load_b128 s[12:15], s[0:1], 0x10
	s_load_b64 s[8:9], s[0:1], 0x0
	v_lshrrev_b32_e32 v1, 2, v0
	s_load_b64 s[4:5], s[0:1], 0x28
	v_dual_mov_b32 v36, 0 :: v_dual_mov_b32 v33, 0
	s_waitcnt lgkmcnt(0)
	s_delay_alu instid0(VALU_DEP_2) | instskip(SKIP_1) | instid1(VALU_DEP_2)
	v_mad_u64_u32 v[2:3], null, s10, s13, v[1:2]
	v_cmp_gt_i32_e32 vcc_lo, s13, v1
	v_cmp_gt_i32_e64 s2, s9, v2
	s_delay_alu instid0(VALU_DEP_1) | instskip(NEXT) | instid1(SALU_CYCLE_1)
	s_and_b32 s3, vcc_lo, s2
	s_and_saveexec_b32 s6, s3
	s_cbranch_execnz .LBB7_3
; %bb.1:
	s_or_b32 exec_lo, exec_lo, s6
	s_and_saveexec_b32 s6, s3
	s_cbranch_execnz .LBB7_4
.LBB7_2:
	s_or_b32 exec_lo, exec_lo, s6
	s_cmp_lt_i32 s12, 1
	s_cbranch_scc0 .LBB7_5
	s_branch .LBB7_65
.LBB7_3:
	v_ashrrev_i32_e32 v3, 31, v2
	s_delay_alu instid0(VALU_DEP_1) | instskip(NEXT) | instid1(VALU_DEP_1)
	v_lshlrev_b64 v[3:4], 2, v[2:3]
	v_add_co_u32 v3, s2, s4, v3
	s_delay_alu instid0(VALU_DEP_1)
	v_add_co_ci_u32_e64 v4, s2, s5, v4, s2
	global_load_b32 v3, v[3:4], off
	s_waitcnt vmcnt(0)
	v_subrev_nc_u32_e32 v33, s14, v3
	s_or_b32 exec_lo, exec_lo, s6
	s_and_saveexec_b32 s6, s3
	s_cbranch_execz .LBB7_2
.LBB7_4:
	v_ashrrev_i32_e32 v3, 31, v2
	s_delay_alu instid0(VALU_DEP_1) | instskip(NEXT) | instid1(VALU_DEP_1)
	v_lshlrev_b64 v[2:3], 2, v[2:3]
	v_add_co_u32 v2, s2, s4, v2
	s_delay_alu instid0(VALU_DEP_1)
	v_add_co_ci_u32_e64 v3, s2, s5, v3, s2
	global_load_b32 v2, v[2:3], off offset:4
	s_waitcnt vmcnt(0)
	v_subrev_nc_u32_e32 v36, s14, v2
	s_or_b32 exec_lo, exec_lo, s6
	s_cmp_lt_i32 s12, 1
	s_cbranch_scc1 .LBB7_65
.LBB7_5:
	s_clause 0x4
	s_load_b128 s[4:7], s[0:1], 0x40
	s_load_b64 s[16:17], s[0:1], 0x50
	s_load_b64 s[18:19], s[0:1], 0x20
	;; [unrolled: 1-line block ×3, first 2 shown]
	s_load_b32 s15, s[0:1], 0x38
	v_mbcnt_lo_u32_b32 v3, -1, 0
	s_ashr_i32 s11, s10, 31
	v_dual_mov_b32 v2, 0 :: v_dual_and_b32 v37, 3, v0
	s_lshl_b64 s[0:1], s[10:11], 2
	s_delay_alu instid0(VALU_DEP_2) | instskip(SKIP_3) | instid1(VALU_DEP_4)
	v_xor_b32_e32 v4, 2, v3
	v_xor_b32_e32 v6, 1, v3
	v_dual_mov_b32 v49, 1 :: v_dual_lshlrev_b32 v38, 6, v1
	v_lshlrev_b32_e32 v5, 2, v1
	v_cmp_gt_i32_e64 s2, 32, v4
	v_mul_lo_u32 v1, v1, s13
	v_lshl_or_b32 v40, v3, 2, 12
	v_dual_mov_b32 v51, 0 :: v_dual_lshlrev_b32 v8, 2, v37
	s_waitcnt lgkmcnt(0)
	s_add_u32 s0, s6, s0
	s_addc_u32 s1, s7, s1
	v_cndmask_b32_e64 v7, v3, v4, s2
	s_load_b32 s3, s[0:1], 0x0
	v_cmp_gt_i32_e64 s2, 32, v6
	v_lshlrev_b32_e32 v39, 2, v0
	v_cmp_gt_u32_e64 s0, 0x80, v0
	v_cmp_gt_u32_e64 s1, 64, v0
	;; [unrolled: 1-line block ×3, first 2 shown]
	v_cndmask_b32_e64 v6, v3, v6, s2
	v_lshlrev_b64 v[3:4], 2, v[1:2]
	v_add_co_u32 v43, s2, s4, v5
	s_delay_alu instid0(VALU_DEP_1) | instskip(SKIP_1) | instid1(VALU_DEP_4)
	v_add_co_ci_u32_e64 v44, null, s5, 0, s2
	v_cmp_gt_u32_e64 s7, 2, v0
	v_add_co_u32 v1, s2, s4, v3
	s_delay_alu instid0(VALU_DEP_1) | instskip(SKIP_1) | instid1(VALU_DEP_3)
	v_add_co_ci_u32_e64 v3, s2, s5, v4, s2
	v_cmp_gt_u32_e64 s4, 16, v0
	v_add_co_u32 v45, s2, v1, v8
	s_waitcnt lgkmcnt(0)
	s_sub_i32 s22, s3, s15
	s_cmp_eq_u32 s8, 0
	v_cmp_gt_u32_e64 s3, 32, v0
	v_cmp_gt_u32_e64 s5, 8, v0
	v_cmp_eq_u32_e64 s8, 0, v0
	v_or_b32_e32 v0, 4, v37
	v_cmp_gt_u32_e64 s9, s13, v37
	v_mul_lo_u32 v1, v37, s13
	v_or_b32_e32 v4, 8, v37
	v_add_co_ci_u32_e64 v46, s2, 0, v3, s2
	v_or_b32_e32 v3, v38, v37
	s_cselect_b32 s2, -1, 0
	v_cmp_gt_u32_e64 s10, s13, v0
	s_and_b32 s11, vcc_lo, s9
	v_cmp_gt_u32_e64 s9, s13, v4
	v_or_b32_e32 v0, 12, v37
	s_lshl_b32 s23, s13, 2
	v_dual_mov_b32 v10, v2 :: v_dual_lshlrev_b32 v47, 2, v3
	v_dual_mov_b32 v12, v2 :: v_dual_add_nc_u32 v3, s23, v1
	s_and_b32 s27, vcc_lo, s9
	v_cmp_gt_u32_e64 s9, s13, v0
	v_or_b32_e32 v0, 20, v37
	v_dual_mov_b32 v8, v2 :: v_dual_lshlrev_b32 v41, 2, v7
	v_or_b32_e32 v7, 16, v37
	v_dual_mov_b32 v14, v2 :: v_dual_add_nc_u32 v5, s23, v3
	s_and_b32 s28, vcc_lo, s9
	v_cmp_gt_u32_e64 s9, s13, v0
	v_or_b32_e32 v0, 24, v37
	s_and_b32 s26, vcc_lo, s10
	v_cmp_gt_u32_e64 s10, s13, v7
	v_dual_mov_b32 v16, v2 :: v_dual_add_nc_u32 v7, s23, v5
	s_and_b32 s30, vcc_lo, s9
	v_cmp_gt_u32_e64 s9, s13, v0
	v_or_b32_e32 v0, 32, v37
	s_delay_alu instid0(VALU_DEP_3)
	v_dual_mov_b32 v18, v2 :: v_dual_add_nc_u32 v9, s23, v7
	v_or_b32_e32 v13, 28, v37
	s_abs_i32 s35, s13
	s_and_b32 s31, vcc_lo, s9
	v_cmp_gt_u32_e64 s9, s13, v0
	v_or_b32_e32 v0, 36, v37
	v_cvt_f32_u32_e32 v19, s35
	s_and_b32 s29, vcc_lo, s10
	v_add_nc_u32_e32 v11, s23, v9
	v_cmp_gt_u32_e64 s10, s13, v13
	v_or_b32_e32 v20, 40, v37
	s_and_b32 s34, vcc_lo, s9
	v_cmp_gt_u32_e64 s9, s13, v0
	v_rcp_iflag_f32_e32 v0, v19
	s_and_b32 s33, vcc_lo, s10
	v_cmp_gt_u32_e64 s10, s13, v20
	v_dual_mov_b32 v20, v2 :: v_dual_add_nc_u32 v13, s23, v11
	v_or_b32_e32 v22, 44, v37
	s_and_b32 s36, vcc_lo, s9
	v_or_b32_e32 v24, 48, v37
	v_or_b32_e32 v26, 52, v37
	s_sub_i32 s39, 0, s35
	v_cmp_gt_u32_e64 s9, s13, v22
	v_dual_mov_b32 v22, v2 :: v_dual_add_nc_u32 v15, s23, v13
	v_mul_f32_e32 v0, 0x4f7ffffe, v0
	s_and_b32 s37, vcc_lo, s10
	s_delay_alu instid0(VALU_DEP_3) | instskip(SKIP_4) | instid1(VALU_DEP_3)
	s_and_b32 s38, vcc_lo, s9
	v_cmp_gt_u32_e64 s9, s13, v24
	v_dual_mov_b32 v24, v2 :: v_dual_add_nc_u32 v17, s23, v15
	v_cvt_u32_f32_e32 v0, v0
	v_cmp_gt_u32_e64 s10, s13, v26
	v_dual_mov_b32 v26, v2 :: v_dual_add_nc_u32 v19, s23, v17
	v_or_b32_e32 v30, 56, v37
	s_delay_alu instid0(VALU_DEP_4) | instskip(SKIP_1) | instid1(VALU_DEP_3)
	v_mul_lo_u32 v28, s39, v0
	s_and_b32 s39, vcc_lo, s9
	v_dual_mov_b32 v32, v2 :: v_dual_add_nc_u32 v21, s23, v19
	s_delay_alu instid0(VALU_DEP_3)
	v_cmp_gt_u32_e64 s9, s13, v30
	v_mov_b32_e32 v30, v2
	v_or_b32_e32 v31, 60, v37
	v_lshlrev_b32_e32 v42, 2, v6
	v_mul_hi_u32 v34, v0, v28
	v_dual_mov_b32 v28, v2 :: v_dual_add_nc_u32 v23, s23, v21
	v_mov_b32_e32 v4, v2
	v_mov_b32_e32 v6, v2
	s_and_b32 s40, vcc_lo, s10
	v_cmp_gt_u32_e64 s10, s13, v31
	v_add_nc_u32_e32 v25, s23, v23
	v_add_nc_u32_e32 v48, v0, v34
	v_lshlrev_b64 v[0:1], 2, v[1:2]
	v_lshlrev_b64 v[3:4], 2, v[3:4]
	v_lshlrev_b64 v[5:6], 2, v[5:6]
	v_add_nc_u32_e32 v27, s23, v25
	v_lshlrev_b64 v[7:8], 2, v[7:8]
	v_lshlrev_b64 v[9:10], 2, v[9:10]
	v_lshlrev_b64 v[11:12], 2, v[11:12]
	v_lshlrev_b64 v[13:14], 2, v[13:14]
	v_add_nc_u32_e32 v29, s23, v27
	v_lshlrev_b64 v[15:16], 2, v[15:16]
	;; [unrolled: 5-line block ×3, first 2 shown]
	v_lshlrev_b64 v[25:26], 2, v[25:26]
	v_lshlrev_b64 v[27:28], 2, v[27:28]
	v_lshlrev_b64 v[29:30], 2, v[29:30]
	v_lshlrev_b64 v[31:32], 2, v[31:32]
	s_mul_hi_u32 s24, s13, s13
	s_mul_i32 s25, s13, s13
	s_and_b32 s41, vcc_lo, s9
	s_and_b32 s10, vcc_lo, s10
	s_ashr_i32 s42, s13, 31
	s_branch .LBB7_7
.LBB7_6:                                ;   in Loop: Header=BB7_7 Depth=1
	s_or_b32 exec_lo, exec_lo, s23
	s_waitcnt lgkmcnt(0)
	s_barrier
	buffer_gl0_inv
	ds_load_b32 v51, v2
	s_add_i32 s22, s9, s22
	s_waitcnt lgkmcnt(0)
	s_barrier
	buffer_gl0_inv
	v_cmp_gt_i32_e32 vcc_lo, s12, v51
	s_cbranch_vccz .LBB7_65
.LBB7_7:                                ; =>This Loop Header: Depth=1
                                        ;     Child Loop BB7_10 Depth 2
	v_dual_mov_b32 v50, s12 :: v_dual_add_nc_u32 v33, v33, v37
	v_mov_b32_e32 v53, v36
	s_mov_b32 s23, exec_lo
	ds_store_b8 v2, v2 offset:16384
	ds_store_2addr_b32 v47, v2, v2 offset1:4
	ds_store_2addr_b32 v47, v2, v2 offset0:8 offset1:12
	ds_store_2addr_b32 v47, v2, v2 offset0:16 offset1:20
	;; [unrolled: 1-line block ×7, first 2 shown]
	s_waitcnt lgkmcnt(0)
	s_barrier
	buffer_gl0_inv
	v_cmpx_lt_i32_e64 v33, v36
	s_cbranch_execz .LBB7_15
; %bb.8:                                ;   in Loop: Header=BB7_7 Depth=1
	v_mul_lo_u32 v52, v51, s13
	v_dual_mov_b32 v50, s12 :: v_dual_mov_b32 v53, v36
	s_mov_b32 s43, 0
	s_branch .LBB7_10
.LBB7_9:                                ;   in Loop: Header=BB7_10 Depth=2
	s_or_b32 exec_lo, exec_lo, s44
	v_add_nc_u32_e32 v33, 4, v33
	s_xor_b32 s44, vcc_lo, -1
	s_delay_alu instid0(VALU_DEP_1) | instskip(NEXT) | instid1(VALU_DEP_1)
	v_cmp_ge_i32_e64 s9, v33, v36
	s_or_b32 s9, s44, s9
	s_delay_alu instid0(SALU_CYCLE_1) | instskip(NEXT) | instid1(SALU_CYCLE_1)
	s_and_b32 s9, exec_lo, s9
	s_or_b32 s43, s9, s43
	s_delay_alu instid0(SALU_CYCLE_1)
	s_and_not1_b32 exec_lo, exec_lo, s43
	s_cbranch_execz .LBB7_14
.LBB7_10:                               ;   Parent Loop BB7_7 Depth=1
                                        ; =>  This Inner Loop Header: Depth=2
	v_ashrrev_i32_e32 v34, 31, v33
	s_delay_alu instid0(VALU_DEP_1) | instskip(NEXT) | instid1(VALU_DEP_1)
	v_lshlrev_b64 v[34:35], 2, v[33:34]
	v_add_co_u32 v54, vcc_lo, s20, v34
	s_delay_alu instid0(VALU_DEP_2) | instskip(SKIP_3) | instid1(VALU_DEP_1)
	v_add_co_ci_u32_e32 v55, vcc_lo, s21, v35, vcc_lo
	global_load_b32 v54, v[54:55], off
	s_waitcnt vmcnt(0)
	v_subrev_nc_u32_e32 v54, s14, v54
	v_sub_nc_u32_e32 v55, 0, v54
	s_delay_alu instid0(VALU_DEP_1) | instskip(NEXT) | instid1(VALU_DEP_1)
	v_max_i32_e32 v55, v54, v55
	v_mul_hi_u32 v56, v55, v48
	s_delay_alu instid0(VALU_DEP_1) | instskip(NEXT) | instid1(VALU_DEP_1)
	v_mul_lo_u32 v57, v56, s35
	v_sub_nc_u32_e32 v55, v55, v57
	v_add_nc_u32_e32 v57, 1, v56
	s_delay_alu instid0(VALU_DEP_2) | instskip(SKIP_1) | instid1(VALU_DEP_2)
	v_subrev_nc_u32_e32 v58, s35, v55
	v_cmp_le_u32_e32 vcc_lo, s35, v55
	v_dual_cndmask_b32 v56, v56, v57 :: v_dual_cndmask_b32 v55, v55, v58
	v_ashrrev_i32_e32 v57, 31, v54
	s_delay_alu instid0(VALU_DEP_2) | instskip(NEXT) | instid1(VALU_DEP_3)
	v_add_nc_u32_e32 v58, 1, v56
	v_cmp_le_u32_e32 vcc_lo, s35, v55
	s_delay_alu instid0(VALU_DEP_3) | instskip(NEXT) | instid1(VALU_DEP_3)
	v_xor_b32_e32 v57, s42, v57
	v_cndmask_b32_e32 v55, v56, v58, vcc_lo
	s_delay_alu instid0(VALU_DEP_1) | instskip(NEXT) | instid1(VALU_DEP_1)
	v_xor_b32_e32 v55, v55, v57
	v_sub_nc_u32_e32 v56, v55, v57
	v_mov_b32_e32 v55, v53
	s_delay_alu instid0(VALU_DEP_2) | instskip(SKIP_1) | instid1(VALU_DEP_1)
	v_cmp_eq_u32_e32 vcc_lo, v56, v51
	v_cmp_ne_u32_e64 s9, v56, v51
	s_and_saveexec_b32 s44, s9
	s_delay_alu instid0(SALU_CYCLE_1)
	s_xor_b32 s9, exec_lo, s44
; %bb.11:                               ;   in Loop: Header=BB7_10 Depth=2
	v_min_i32_e32 v50, v56, v50
                                        ; implicit-def: $vgpr34_vgpr35
                                        ; implicit-def: $vgpr54
                                        ; implicit-def: $vgpr55
; %bb.12:                               ;   in Loop: Header=BB7_10 Depth=2
	s_or_saveexec_b32 s44, s9
	v_mov_b32_e32 v53, v33
	s_xor_b32 exec_lo, exec_lo, s44
	s_cbranch_execz .LBB7_9
; %bb.13:                               ;   in Loop: Header=BB7_10 Depth=2
	v_add_co_u32 v34, s9, s18, v34
	s_delay_alu instid0(VALU_DEP_1) | instskip(SKIP_3) | instid1(VALU_DEP_1)
	v_add_co_ci_u32_e64 v35, s9, s19, v35, s9
	v_mov_b32_e32 v53, v55
	global_load_b32 v34, v[34:35], off
	v_sub_nc_u32_e32 v35, v54, v52
	v_add_lshl_u32 v35, v35, v38, 2
	ds_store_b8 v2, v49 offset:16384
	s_waitcnt vmcnt(0)
	ds_store_b32 v35, v34
	s_branch .LBB7_9
.LBB7_14:                               ;   in Loop: Header=BB7_7 Depth=1
	s_or_b32 exec_lo, exec_lo, s43
.LBB7_15:                               ;   in Loop: Header=BB7_7 Depth=1
	s_delay_alu instid0(SALU_CYCLE_1)
	s_or_b32 exec_lo, exec_lo, s23
	ds_bpermute_b32 v33, v41, v53
	s_waitcnt lgkmcnt(0)
	s_barrier
	buffer_gl0_inv
	ds_load_u8 v35, v2 offset:16384
	s_mov_b32 s9, 0
	v_min_i32_e32 v33, v33, v53
	s_waitcnt lgkmcnt(0)
	v_cmp_eq_u32_e32 vcc_lo, 0, v35
	ds_bpermute_b32 v34, v42, v33
	s_waitcnt lgkmcnt(0)
	v_min_i32_e32 v33, v34, v33
	ds_bpermute_b32 v33, v40, v33
	s_cbranch_vccnz .LBB7_34
; %bb.16:                               ;   in Loop: Header=BB7_7 Depth=1
	s_ashr_i32 s23, s22, 31
	s_mul_hi_u32 s9, s25, s22
	s_lshl_b64 s[44:45], s[22:23], 2
	s_mul_i32 s23, s25, s23
	s_add_u32 s44, s16, s44
	s_addc_u32 s45, s17, s45
	s_add_i32 s9, s9, s23
	s_mul_i32 s23, s24, s22
	s_mul_i32 s46, s25, s22
	s_add_i32 s47, s9, s23
	v_add_nc_u32_e32 v53, s15, v51
	s_lshl_b64 s[46:47], s[46:47], 2
	s_delay_alu instid0(SALU_CYCLE_1)
	v_add_co_u32 v34, vcc_lo, v43, s46
	v_add_co_ci_u32_e32 v35, vcc_lo, s47, v44, vcc_lo
	v_add_co_u32 v51, vcc_lo, v45, s46
	v_add_co_ci_u32_e32 v52, vcc_lo, s47, v46, vcc_lo
	global_store_b32 v2, v53, s[44:45]
	s_and_saveexec_b32 s9, s11
	s_cbranch_execnz .LBB7_50
; %bb.17:                               ;   in Loop: Header=BB7_7 Depth=1
	s_or_b32 exec_lo, exec_lo, s9
	s_and_saveexec_b32 s9, s26
	s_cbranch_execnz .LBB7_51
.LBB7_18:                               ;   in Loop: Header=BB7_7 Depth=1
	s_or_b32 exec_lo, exec_lo, s9
	s_and_saveexec_b32 s9, s27
	s_cbranch_execnz .LBB7_52
.LBB7_19:                               ;   in Loop: Header=BB7_7 Depth=1
	s_or_b32 exec_lo, exec_lo, s9
	s_and_saveexec_b32 s9, s28
	s_cbranch_execnz .LBB7_53
.LBB7_20:                               ;   in Loop: Header=BB7_7 Depth=1
	s_or_b32 exec_lo, exec_lo, s9
	s_and_saveexec_b32 s9, s29
	s_cbranch_execnz .LBB7_54
.LBB7_21:                               ;   in Loop: Header=BB7_7 Depth=1
	s_or_b32 exec_lo, exec_lo, s9
	s_and_saveexec_b32 s9, s30
	s_cbranch_execnz .LBB7_55
.LBB7_22:                               ;   in Loop: Header=BB7_7 Depth=1
	s_or_b32 exec_lo, exec_lo, s9
	s_and_saveexec_b32 s9, s31
	s_cbranch_execnz .LBB7_56
.LBB7_23:                               ;   in Loop: Header=BB7_7 Depth=1
	s_or_b32 exec_lo, exec_lo, s9
	s_and_saveexec_b32 s9, s33
	s_cbranch_execnz .LBB7_57
.LBB7_24:                               ;   in Loop: Header=BB7_7 Depth=1
	s_or_b32 exec_lo, exec_lo, s9
	s_and_saveexec_b32 s9, s34
	s_cbranch_execnz .LBB7_58
.LBB7_25:                               ;   in Loop: Header=BB7_7 Depth=1
	s_or_b32 exec_lo, exec_lo, s9
	s_and_saveexec_b32 s9, s36
	s_cbranch_execnz .LBB7_59
.LBB7_26:                               ;   in Loop: Header=BB7_7 Depth=1
	s_or_b32 exec_lo, exec_lo, s9
	s_and_saveexec_b32 s9, s37
	s_cbranch_execnz .LBB7_60
.LBB7_27:                               ;   in Loop: Header=BB7_7 Depth=1
	s_or_b32 exec_lo, exec_lo, s9
	s_and_saveexec_b32 s9, s38
	s_cbranch_execnz .LBB7_61
.LBB7_28:                               ;   in Loop: Header=BB7_7 Depth=1
	s_or_b32 exec_lo, exec_lo, s9
	s_and_saveexec_b32 s9, s39
	s_cbranch_execnz .LBB7_62
.LBB7_29:                               ;   in Loop: Header=BB7_7 Depth=1
	s_or_b32 exec_lo, exec_lo, s9
	s_and_saveexec_b32 s9, s40
	s_cbranch_execnz .LBB7_63
.LBB7_30:                               ;   in Loop: Header=BB7_7 Depth=1
	s_or_b32 exec_lo, exec_lo, s9
	s_and_saveexec_b32 s9, s41
	s_cbranch_execnz .LBB7_64
.LBB7_31:                               ;   in Loop: Header=BB7_7 Depth=1
	s_or_b32 exec_lo, exec_lo, s9
	s_and_saveexec_b32 s9, s10
	s_cbranch_execz .LBB7_33
.LBB7_32:                               ;   in Loop: Header=BB7_7 Depth=1
	ds_load_b32 v53, v47 offset:240
	v_add_co_u32 v51, vcc_lo, 0xf0, v51
	v_add_co_ci_u32_e32 v52, vcc_lo, 0, v52, vcc_lo
	v_add_co_u32 v34, vcc_lo, v34, v31
	v_add_co_ci_u32_e32 v35, vcc_lo, v35, v32, vcc_lo
	s_delay_alu instid0(VALU_DEP_2) | instskip(NEXT) | instid1(VALU_DEP_2)
	v_cndmask_b32_e64 v34, v34, v51, s2
	v_cndmask_b32_e64 v35, v35, v52, s2
	s_waitcnt lgkmcnt(0)
	global_store_b32 v[34:35], v53, off
.LBB7_33:                               ;   in Loop: Header=BB7_7 Depth=1
	s_or_b32 exec_lo, exec_lo, s9
	s_mov_b32 s9, 1
.LBB7_34:                               ;   in Loop: Header=BB7_7 Depth=1
	s_waitcnt lgkmcnt(0)
	s_waitcnt_vscnt null, 0x0
	s_barrier
	buffer_gl0_inv
	ds_store_b32 v39, v50
	s_waitcnt lgkmcnt(0)
	s_barrier
	buffer_gl0_inv
	s_and_saveexec_b32 s23, s0
	s_cbranch_execz .LBB7_36
; %bb.35:                               ;   in Loop: Header=BB7_7 Depth=1
	ds_load_2addr_stride64_b32 v[34:35], v39 offset1:2
	s_waitcnt lgkmcnt(0)
	v_min_i32_e32 v34, v35, v34
	ds_store_b32 v39, v34
.LBB7_36:                               ;   in Loop: Header=BB7_7 Depth=1
	s_or_b32 exec_lo, exec_lo, s23
	s_waitcnt lgkmcnt(0)
	s_barrier
	buffer_gl0_inv
	s_and_saveexec_b32 s23, s1
	s_cbranch_execz .LBB7_38
; %bb.37:                               ;   in Loop: Header=BB7_7 Depth=1
	ds_load_2addr_stride64_b32 v[34:35], v39 offset1:1
	s_waitcnt lgkmcnt(0)
	v_min_i32_e32 v34, v35, v34
	ds_store_b32 v39, v34
.LBB7_38:                               ;   in Loop: Header=BB7_7 Depth=1
	s_or_b32 exec_lo, exec_lo, s23
	s_waitcnt lgkmcnt(0)
	s_barrier
	buffer_gl0_inv
	s_and_saveexec_b32 s23, s3
	s_cbranch_execz .LBB7_40
; %bb.39:                               ;   in Loop: Header=BB7_7 Depth=1
	ds_load_2addr_b32 v[34:35], v39 offset1:32
	s_waitcnt lgkmcnt(0)
	v_min_i32_e32 v34, v35, v34
	ds_store_b32 v39, v34
.LBB7_40:                               ;   in Loop: Header=BB7_7 Depth=1
	s_or_b32 exec_lo, exec_lo, s23
	s_waitcnt lgkmcnt(0)
	s_barrier
	buffer_gl0_inv
	s_and_saveexec_b32 s23, s4
	s_cbranch_execz .LBB7_42
; %bb.41:                               ;   in Loop: Header=BB7_7 Depth=1
	ds_load_2addr_b32 v[34:35], v39 offset1:16
	s_waitcnt lgkmcnt(0)
	v_min_i32_e32 v34, v35, v34
	ds_store_b32 v39, v34
.LBB7_42:                               ;   in Loop: Header=BB7_7 Depth=1
	;; [unrolled: 12-line block ×5, first 2 shown]
	s_or_b32 exec_lo, exec_lo, s23
	s_waitcnt lgkmcnt(0)
	s_barrier
	buffer_gl0_inv
	s_and_saveexec_b32 s23, s8
	s_cbranch_execz .LBB7_6
; %bb.49:                               ;   in Loop: Header=BB7_7 Depth=1
	ds_load_b64 v[34:35], v2
	s_waitcnt lgkmcnt(0)
	v_min_i32_e32 v34, v35, v34
	ds_store_b32 v2, v34
	s_branch .LBB7_6
.LBB7_50:                               ;   in Loop: Header=BB7_7 Depth=1
	ds_load_b32 v55, v47
	v_add_co_u32 v53, vcc_lo, v34, v0
	v_add_co_ci_u32_e32 v54, vcc_lo, v35, v1, vcc_lo
	s_delay_alu instid0(VALU_DEP_2) | instskip(NEXT) | instid1(VALU_DEP_2)
	v_cndmask_b32_e64 v53, v53, v51, s2
	v_cndmask_b32_e64 v54, v54, v52, s2
	s_waitcnt lgkmcnt(0)
	global_store_b32 v[53:54], v55, off
	s_or_b32 exec_lo, exec_lo, s9
	s_and_saveexec_b32 s9, s26
	s_cbranch_execz .LBB7_18
.LBB7_51:                               ;   in Loop: Header=BB7_7 Depth=1
	ds_load_b32 v55, v47 offset:16
	v_add_co_u32 v53, vcc_lo, v51, 16
	v_add_co_ci_u32_e32 v54, vcc_lo, 0, v52, vcc_lo
	v_add_co_u32 v56, vcc_lo, v34, v3
	v_add_co_ci_u32_e32 v57, vcc_lo, v35, v4, vcc_lo
	s_delay_alu instid0(VALU_DEP_2) | instskip(NEXT) | instid1(VALU_DEP_2)
	v_cndmask_b32_e64 v53, v56, v53, s2
	v_cndmask_b32_e64 v54, v57, v54, s2
	s_waitcnt lgkmcnt(0)
	global_store_b32 v[53:54], v55, off
	s_or_b32 exec_lo, exec_lo, s9
	s_and_saveexec_b32 s9, s27
	s_cbranch_execz .LBB7_19
.LBB7_52:                               ;   in Loop: Header=BB7_7 Depth=1
	ds_load_b32 v55, v47 offset:32
	v_add_co_u32 v53, vcc_lo, v51, 32
	v_add_co_ci_u32_e32 v54, vcc_lo, 0, v52, vcc_lo
	v_add_co_u32 v56, vcc_lo, v34, v5
	v_add_co_ci_u32_e32 v57, vcc_lo, v35, v6, vcc_lo
	s_delay_alu instid0(VALU_DEP_2) | instskip(NEXT) | instid1(VALU_DEP_2)
	v_cndmask_b32_e64 v53, v56, v53, s2
	v_cndmask_b32_e64 v54, v57, v54, s2
	s_waitcnt lgkmcnt(0)
	global_store_b32 v[53:54], v55, off
	s_or_b32 exec_lo, exec_lo, s9
	s_and_saveexec_b32 s9, s28
	s_cbranch_execz .LBB7_20
.LBB7_53:                               ;   in Loop: Header=BB7_7 Depth=1
	ds_load_b32 v55, v47 offset:48
	v_add_co_u32 v53, vcc_lo, v51, 48
	v_add_co_ci_u32_e32 v54, vcc_lo, 0, v52, vcc_lo
	v_add_co_u32 v56, vcc_lo, v34, v7
	v_add_co_ci_u32_e32 v57, vcc_lo, v35, v8, vcc_lo
	s_delay_alu instid0(VALU_DEP_2) | instskip(NEXT) | instid1(VALU_DEP_2)
	v_cndmask_b32_e64 v53, v56, v53, s2
	v_cndmask_b32_e64 v54, v57, v54, s2
	s_waitcnt lgkmcnt(0)
	global_store_b32 v[53:54], v55, off
	s_or_b32 exec_lo, exec_lo, s9
	s_and_saveexec_b32 s9, s29
	s_cbranch_execz .LBB7_21
.LBB7_54:                               ;   in Loop: Header=BB7_7 Depth=1
	ds_load_b32 v55, v47 offset:64
	v_add_co_u32 v53, vcc_lo, v51, 64
	v_add_co_ci_u32_e32 v54, vcc_lo, 0, v52, vcc_lo
	v_add_co_u32 v56, vcc_lo, v34, v9
	v_add_co_ci_u32_e32 v57, vcc_lo, v35, v10, vcc_lo
	s_delay_alu instid0(VALU_DEP_2) | instskip(NEXT) | instid1(VALU_DEP_2)
	v_cndmask_b32_e64 v53, v56, v53, s2
	v_cndmask_b32_e64 v54, v57, v54, s2
	s_waitcnt lgkmcnt(0)
	global_store_b32 v[53:54], v55, off
	s_or_b32 exec_lo, exec_lo, s9
	s_and_saveexec_b32 s9, s30
	s_cbranch_execz .LBB7_22
.LBB7_55:                               ;   in Loop: Header=BB7_7 Depth=1
	ds_load_b32 v55, v47 offset:80
	v_add_co_u32 v53, vcc_lo, 0x50, v51
	v_add_co_ci_u32_e32 v54, vcc_lo, 0, v52, vcc_lo
	v_add_co_u32 v56, vcc_lo, v34, v11
	v_add_co_ci_u32_e32 v57, vcc_lo, v35, v12, vcc_lo
	s_delay_alu instid0(VALU_DEP_2) | instskip(NEXT) | instid1(VALU_DEP_2)
	v_cndmask_b32_e64 v53, v56, v53, s2
	v_cndmask_b32_e64 v54, v57, v54, s2
	s_waitcnt lgkmcnt(0)
	global_store_b32 v[53:54], v55, off
	s_or_b32 exec_lo, exec_lo, s9
	s_and_saveexec_b32 s9, s31
	s_cbranch_execz .LBB7_23
.LBB7_56:                               ;   in Loop: Header=BB7_7 Depth=1
	ds_load_b32 v55, v47 offset:96
	v_add_co_u32 v53, vcc_lo, 0x60, v51
	v_add_co_ci_u32_e32 v54, vcc_lo, 0, v52, vcc_lo
	v_add_co_u32 v56, vcc_lo, v34, v13
	v_add_co_ci_u32_e32 v57, vcc_lo, v35, v14, vcc_lo
	s_delay_alu instid0(VALU_DEP_2) | instskip(NEXT) | instid1(VALU_DEP_2)
	v_cndmask_b32_e64 v53, v56, v53, s2
	v_cndmask_b32_e64 v54, v57, v54, s2
	s_waitcnt lgkmcnt(0)
	global_store_b32 v[53:54], v55, off
	s_or_b32 exec_lo, exec_lo, s9
	s_and_saveexec_b32 s9, s33
	s_cbranch_execz .LBB7_24
.LBB7_57:                               ;   in Loop: Header=BB7_7 Depth=1
	ds_load_b32 v55, v47 offset:112
	v_add_co_u32 v53, vcc_lo, 0x70, v51
	v_add_co_ci_u32_e32 v54, vcc_lo, 0, v52, vcc_lo
	v_add_co_u32 v56, vcc_lo, v34, v15
	v_add_co_ci_u32_e32 v57, vcc_lo, v35, v16, vcc_lo
	s_delay_alu instid0(VALU_DEP_2) | instskip(NEXT) | instid1(VALU_DEP_2)
	v_cndmask_b32_e64 v53, v56, v53, s2
	v_cndmask_b32_e64 v54, v57, v54, s2
	s_waitcnt lgkmcnt(0)
	global_store_b32 v[53:54], v55, off
	s_or_b32 exec_lo, exec_lo, s9
	s_and_saveexec_b32 s9, s34
	s_cbranch_execz .LBB7_25
.LBB7_58:                               ;   in Loop: Header=BB7_7 Depth=1
	ds_load_b32 v55, v47 offset:128
	v_add_co_u32 v53, vcc_lo, 0x80, v51
	v_add_co_ci_u32_e32 v54, vcc_lo, 0, v52, vcc_lo
	v_add_co_u32 v56, vcc_lo, v34, v17
	v_add_co_ci_u32_e32 v57, vcc_lo, v35, v18, vcc_lo
	s_delay_alu instid0(VALU_DEP_2) | instskip(NEXT) | instid1(VALU_DEP_2)
	v_cndmask_b32_e64 v53, v56, v53, s2
	v_cndmask_b32_e64 v54, v57, v54, s2
	s_waitcnt lgkmcnt(0)
	global_store_b32 v[53:54], v55, off
	s_or_b32 exec_lo, exec_lo, s9
	s_and_saveexec_b32 s9, s36
	s_cbranch_execz .LBB7_26
.LBB7_59:                               ;   in Loop: Header=BB7_7 Depth=1
	ds_load_b32 v55, v47 offset:144
	v_add_co_u32 v53, vcc_lo, 0x90, v51
	v_add_co_ci_u32_e32 v54, vcc_lo, 0, v52, vcc_lo
	v_add_co_u32 v56, vcc_lo, v34, v19
	v_add_co_ci_u32_e32 v57, vcc_lo, v35, v20, vcc_lo
	s_delay_alu instid0(VALU_DEP_2) | instskip(NEXT) | instid1(VALU_DEP_2)
	v_cndmask_b32_e64 v53, v56, v53, s2
	v_cndmask_b32_e64 v54, v57, v54, s2
	s_waitcnt lgkmcnt(0)
	global_store_b32 v[53:54], v55, off
	s_or_b32 exec_lo, exec_lo, s9
	s_and_saveexec_b32 s9, s37
	s_cbranch_execz .LBB7_27
.LBB7_60:                               ;   in Loop: Header=BB7_7 Depth=1
	ds_load_b32 v55, v47 offset:160
	v_add_co_u32 v53, vcc_lo, 0xa0, v51
	v_add_co_ci_u32_e32 v54, vcc_lo, 0, v52, vcc_lo
	v_add_co_u32 v56, vcc_lo, v34, v21
	v_add_co_ci_u32_e32 v57, vcc_lo, v35, v22, vcc_lo
	s_delay_alu instid0(VALU_DEP_2) | instskip(NEXT) | instid1(VALU_DEP_2)
	v_cndmask_b32_e64 v53, v56, v53, s2
	v_cndmask_b32_e64 v54, v57, v54, s2
	s_waitcnt lgkmcnt(0)
	global_store_b32 v[53:54], v55, off
	s_or_b32 exec_lo, exec_lo, s9
	s_and_saveexec_b32 s9, s38
	s_cbranch_execz .LBB7_28
.LBB7_61:                               ;   in Loop: Header=BB7_7 Depth=1
	ds_load_b32 v55, v47 offset:176
	v_add_co_u32 v53, vcc_lo, 0xb0, v51
	v_add_co_ci_u32_e32 v54, vcc_lo, 0, v52, vcc_lo
	v_add_co_u32 v56, vcc_lo, v34, v23
	v_add_co_ci_u32_e32 v57, vcc_lo, v35, v24, vcc_lo
	s_delay_alu instid0(VALU_DEP_2) | instskip(NEXT) | instid1(VALU_DEP_2)
	v_cndmask_b32_e64 v53, v56, v53, s2
	v_cndmask_b32_e64 v54, v57, v54, s2
	s_waitcnt lgkmcnt(0)
	global_store_b32 v[53:54], v55, off
	s_or_b32 exec_lo, exec_lo, s9
	s_and_saveexec_b32 s9, s39
	s_cbranch_execz .LBB7_29
.LBB7_62:                               ;   in Loop: Header=BB7_7 Depth=1
	ds_load_b32 v55, v47 offset:192
	v_add_co_u32 v53, vcc_lo, 0xc0, v51
	v_add_co_ci_u32_e32 v54, vcc_lo, 0, v52, vcc_lo
	v_add_co_u32 v56, vcc_lo, v34, v25
	v_add_co_ci_u32_e32 v57, vcc_lo, v35, v26, vcc_lo
	s_delay_alu instid0(VALU_DEP_2) | instskip(NEXT) | instid1(VALU_DEP_2)
	v_cndmask_b32_e64 v53, v56, v53, s2
	v_cndmask_b32_e64 v54, v57, v54, s2
	s_waitcnt lgkmcnt(0)
	global_store_b32 v[53:54], v55, off
	s_or_b32 exec_lo, exec_lo, s9
	s_and_saveexec_b32 s9, s40
	s_cbranch_execz .LBB7_30
.LBB7_63:                               ;   in Loop: Header=BB7_7 Depth=1
	ds_load_b32 v55, v47 offset:208
	v_add_co_u32 v53, vcc_lo, 0xd0, v51
	v_add_co_ci_u32_e32 v54, vcc_lo, 0, v52, vcc_lo
	v_add_co_u32 v56, vcc_lo, v34, v27
	v_add_co_ci_u32_e32 v57, vcc_lo, v35, v28, vcc_lo
	s_delay_alu instid0(VALU_DEP_2) | instskip(NEXT) | instid1(VALU_DEP_2)
	v_cndmask_b32_e64 v53, v56, v53, s2
	v_cndmask_b32_e64 v54, v57, v54, s2
	s_waitcnt lgkmcnt(0)
	global_store_b32 v[53:54], v55, off
	s_or_b32 exec_lo, exec_lo, s9
	s_and_saveexec_b32 s9, s41
	s_cbranch_execz .LBB7_31
.LBB7_64:                               ;   in Loop: Header=BB7_7 Depth=1
	ds_load_b32 v55, v47 offset:224
	v_add_co_u32 v53, vcc_lo, 0xe0, v51
	v_add_co_ci_u32_e32 v54, vcc_lo, 0, v52, vcc_lo
	v_add_co_u32 v56, vcc_lo, v34, v29
	v_add_co_ci_u32_e32 v57, vcc_lo, v35, v30, vcc_lo
	s_delay_alu instid0(VALU_DEP_2) | instskip(NEXT) | instid1(VALU_DEP_2)
	v_cndmask_b32_e64 v53, v56, v53, s2
	v_cndmask_b32_e64 v54, v57, v54, s2
	s_waitcnt lgkmcnt(0)
	global_store_b32 v[53:54], v55, off
	s_or_b32 exec_lo, exec_lo, s9
	s_and_saveexec_b32 s9, s10
	s_cbranch_execnz .LBB7_32
	s_branch .LBB7_33
.LBB7_65:
	s_endpgm
	.section	.rodata,"a",@progbits
	.p2align	6, 0x0
	.amdhsa_kernel _ZN9rocsparseL38csr2bsr_block_per_row_multipass_kernelILj256ELj64EiiiEEv20rocsparse_direction_T3_S2_S2_S2_S2_21rocsparse_index_base_PKT1_PKT2_PKS2_S3_PS4_PS7_PS2_
		.amdhsa_group_segment_fixed_size 16388
		.amdhsa_private_segment_fixed_size 0
		.amdhsa_kernarg_size 88
		.amdhsa_user_sgpr_count 15
		.amdhsa_user_sgpr_dispatch_ptr 0
		.amdhsa_user_sgpr_queue_ptr 0
		.amdhsa_user_sgpr_kernarg_segment_ptr 1
		.amdhsa_user_sgpr_dispatch_id 0
		.amdhsa_user_sgpr_private_segment_size 0
		.amdhsa_wavefront_size32 1
		.amdhsa_uses_dynamic_stack 0
		.amdhsa_enable_private_segment 0
		.amdhsa_system_sgpr_workgroup_id_x 1
		.amdhsa_system_sgpr_workgroup_id_y 0
		.amdhsa_system_sgpr_workgroup_id_z 0
		.amdhsa_system_sgpr_workgroup_info 0
		.amdhsa_system_vgpr_workitem_id 0
		.amdhsa_next_free_vgpr 59
		.amdhsa_next_free_sgpr 48
		.amdhsa_reserve_vcc 1
		.amdhsa_float_round_mode_32 0
		.amdhsa_float_round_mode_16_64 0
		.amdhsa_float_denorm_mode_32 3
		.amdhsa_float_denorm_mode_16_64 3
		.amdhsa_dx10_clamp 1
		.amdhsa_ieee_mode 1
		.amdhsa_fp16_overflow 0
		.amdhsa_workgroup_processor_mode 1
		.amdhsa_memory_ordered 1
		.amdhsa_forward_progress 0
		.amdhsa_shared_vgpr_count 0
		.amdhsa_exception_fp_ieee_invalid_op 0
		.amdhsa_exception_fp_denorm_src 0
		.amdhsa_exception_fp_ieee_div_zero 0
		.amdhsa_exception_fp_ieee_overflow 0
		.amdhsa_exception_fp_ieee_underflow 0
		.amdhsa_exception_fp_ieee_inexact 0
		.amdhsa_exception_int_div_zero 0
	.end_amdhsa_kernel
	.section	.text._ZN9rocsparseL38csr2bsr_block_per_row_multipass_kernelILj256ELj64EiiiEEv20rocsparse_direction_T3_S2_S2_S2_S2_21rocsparse_index_base_PKT1_PKT2_PKS2_S3_PS4_PS7_PS2_,"axG",@progbits,_ZN9rocsparseL38csr2bsr_block_per_row_multipass_kernelILj256ELj64EiiiEEv20rocsparse_direction_T3_S2_S2_S2_S2_21rocsparse_index_base_PKT1_PKT2_PKS2_S3_PS4_PS7_PS2_,comdat
.Lfunc_end7:
	.size	_ZN9rocsparseL38csr2bsr_block_per_row_multipass_kernelILj256ELj64EiiiEEv20rocsparse_direction_T3_S2_S2_S2_S2_21rocsparse_index_base_PKT1_PKT2_PKS2_S3_PS4_PS7_PS2_, .Lfunc_end7-_ZN9rocsparseL38csr2bsr_block_per_row_multipass_kernelILj256ELj64EiiiEEv20rocsparse_direction_T3_S2_S2_S2_S2_21rocsparse_index_base_PKT1_PKT2_PKS2_S3_PS4_PS7_PS2_
                                        ; -- End function
	.section	.AMDGPU.csdata,"",@progbits
; Kernel info:
; codeLenInByte = 3744
; NumSgprs: 50
; NumVgprs: 59
; ScratchSize: 0
; MemoryBound: 0
; FloatMode: 240
; IeeeMode: 1
; LDSByteSize: 16388 bytes/workgroup (compile time only)
; SGPRBlocks: 6
; VGPRBlocks: 7
; NumSGPRsForWavesPerEU: 50
; NumVGPRsForWavesPerEU: 59
; Occupancy: 14
; WaveLimiterHint : 0
; COMPUTE_PGM_RSRC2:SCRATCH_EN: 0
; COMPUTE_PGM_RSRC2:USER_SGPR: 15
; COMPUTE_PGM_RSRC2:TRAP_HANDLER: 0
; COMPUTE_PGM_RSRC2:TGID_X_EN: 1
; COMPUTE_PGM_RSRC2:TGID_Y_EN: 0
; COMPUTE_PGM_RSRC2:TGID_Z_EN: 0
; COMPUTE_PGM_RSRC2:TIDIG_COMP_CNT: 0
	.section	.text._ZN9rocsparseL21csr2bsr_65_inf_kernelILj32EiiiEEv20rocsparse_direction_T2_S2_S2_S2_S2_S2_21rocsparse_index_base_PKT0_PKT1_PKS2_S3_PS4_PS7_PS2_SD_SE_SC_,"axG",@progbits,_ZN9rocsparseL21csr2bsr_65_inf_kernelILj32EiiiEEv20rocsparse_direction_T2_S2_S2_S2_S2_S2_21rocsparse_index_base_PKT0_PKT1_PKS2_S3_PS4_PS7_PS2_SD_SE_SC_,comdat
	.globl	_ZN9rocsparseL21csr2bsr_65_inf_kernelILj32EiiiEEv20rocsparse_direction_T2_S2_S2_S2_S2_S2_21rocsparse_index_base_PKT0_PKT1_PKS2_S3_PS4_PS7_PS2_SD_SE_SC_ ; -- Begin function _ZN9rocsparseL21csr2bsr_65_inf_kernelILj32EiiiEEv20rocsparse_direction_T2_S2_S2_S2_S2_S2_21rocsparse_index_base_PKT0_PKT1_PKS2_S3_PS4_PS7_PS2_SD_SE_SC_
	.p2align	8
	.type	_ZN9rocsparseL21csr2bsr_65_inf_kernelILj32EiiiEEv20rocsparse_direction_T2_S2_S2_S2_S2_S2_21rocsparse_index_base_PKT0_PKT1_PKS2_S3_PS4_PS7_PS2_SD_SE_SC_,@function
_ZN9rocsparseL21csr2bsr_65_inf_kernelILj32EiiiEEv20rocsparse_direction_T2_S2_S2_S2_S2_S2_21rocsparse_index_base_PKT0_PKT1_PKS2_S3_PS4_PS7_PS2_SD_SE_SC_: ; @_ZN9rocsparseL21csr2bsr_65_inf_kernelILj32EiiiEEv20rocsparse_direction_T2_S2_S2_S2_S2_S2_21rocsparse_index_base_PKT0_PKT1_PKS2_S3_PS4_PS7_PS2_SD_SE_SC_
; %bb.0:
	s_clause 0x2
	s_load_b128 s[4:7], s[0:1], 0x0
	s_load_b64 s[2:3], s[0:1], 0x58
	s_load_b32 s26, s[0:1], 0x38
	s_mov_b32 s22, s15
	s_mov_b32 s25, 0
	s_waitcnt lgkmcnt(0)
	s_cmp_ge_i32 s15, s7
	s_mov_b32 s7, 0
	s_cbranch_scc1 .LBB8_2
; %bb.1:
	s_load_b64 s[8:9], s[0:1], 0x48
	s_ashr_i32 s23, s22, 31
	s_delay_alu instid0(SALU_CYCLE_1)
	s_lshl_b64 s[10:11], s[22:23], 2
	s_waitcnt lgkmcnt(0)
	s_add_u32 s8, s8, s10
	s_addc_u32 s9, s9, s11
	s_load_b32 s7, s[8:9], 0x0
	s_waitcnt lgkmcnt(0)
	s_sub_i32 s7, s7, s26
.LBB8_2:
	s_load_b128 s[8:11], s[0:1], 0x14
	s_waitcnt lgkmcnt(0)
	v_mul_lo_u32 v1, v0, s9
	s_mul_i32 s11, s22, s9
	s_delay_alu instid0(SALU_CYCLE_1) | instskip(NEXT) | instid1(SALU_CYCLE_1)
	s_lshl_b32 s24, s11, 6
	s_lshl_b64 s[12:13], s[24:25], 2
	s_delay_alu instid0(SALU_CYCLE_1) | instskip(NEXT) | instid1(VALU_DEP_1)
	s_add_u32 s27, s2, s12
	v_ashrrev_i32_e32 v2, 31, v1
	s_addc_u32 s28, s3, s13
	s_lshl_b32 s24, s9, 5
	s_cmp_gt_i32 s9, 0
	s_cselect_b32 s11, -1, 0
	v_lshlrev_b64 v[9:10], 2, v[1:2]
	s_cmp_lt_i32 s9, 1
	s_delay_alu instid0(VALU_DEP_1) | instskip(NEXT) | instid1(VALU_DEP_2)
	v_add_co_u32 v1, vcc_lo, s27, v9
	v_add_co_ci_u32_e32 v2, vcc_lo, s28, v10, vcc_lo
	s_cbranch_scc1 .LBB8_7
; %bb.3:
	s_load_b64 s[12:13], s[0:1], 0x28
	v_dual_mov_b32 v11, 0 :: v_dual_mov_b32 v12, v0
	s_delay_alu instid0(VALU_DEP_2)
	v_dual_mov_b32 v4, v2 :: v_dual_mov_b32 v3, v1
	s_mul_i32 s16, s22, s8
	s_lshl_b64 s[14:15], s[24:25], 2
	s_mov_b32 s17, s9
	s_set_inst_prefetch_distance 0x1
	s_branch .LBB8_5
	.p2align	6
.LBB8_4:                                ;   in Loop: Header=BB8_5 Depth=1
	s_or_b32 exec_lo, exec_lo, s2
	v_add_co_u32 v3, vcc_lo, v3, 4
	v_add_co_ci_u32_e32 v4, vcc_lo, 0, v4, vcc_lo
	v_add_nc_u32_e32 v12, 32, v12
	s_add_i32 s17, s17, -1
	s_delay_alu instid0(SALU_CYCLE_1)
	s_cmp_eq_u32 s17, 0
	s_cbranch_scc1 .LBB8_7
.LBB8_5:                                ; =>This Inner Loop Header: Depth=1
	s_delay_alu instid0(VALU_DEP_1) | instskip(SKIP_2) | instid1(VALU_DEP_1)
	v_add_nc_u32_e32 v7, s16, v12
	v_cmp_gt_u32_e32 vcc_lo, s8, v12
	v_add_co_u32 v5, s3, v3, s14
	v_add_co_ci_u32_e64 v6, s3, s15, v4, s3
	s_delay_alu instid0(VALU_DEP_4) | instskip(SKIP_4) | instid1(SALU_CYCLE_1)
	v_cmp_gt_i32_e64 s2, s5, v7
	s_clause 0x1
	global_store_b32 v[3:4], v11, off
	global_store_b32 v[5:6], v11, off
	s_and_b32 s3, vcc_lo, s2
	s_and_saveexec_b32 s2, s3
	s_cbranch_execz .LBB8_4
; %bb.6:                                ;   in Loop: Header=BB8_5 Depth=1
	v_ashrrev_i32_e32 v8, 31, v7
	s_delay_alu instid0(VALU_DEP_1) | instskip(SKIP_1) | instid1(VALU_DEP_1)
	v_lshlrev_b64 v[7:8], 2, v[7:8]
	s_waitcnt lgkmcnt(0)
	v_add_co_u32 v7, vcc_lo, s12, v7
	s_delay_alu instid0(VALU_DEP_2)
	v_add_co_ci_u32_e32 v8, vcc_lo, s13, v8, vcc_lo
	global_load_b64 v[7:8], v[7:8], off
	s_waitcnt vmcnt(0)
	v_subrev_nc_u32_e32 v7, s10, v7
	v_subrev_nc_u32_e32 v8, s10, v8
	s_clause 0x1
	global_store_b32 v[3:4], v7, off
	global_store_b32 v[5:6], v8, off
	s_branch .LBB8_4
.LBB8_7:
	s_set_inst_prefetch_distance 0x2
	s_cmp_lt_i32 s6, 1
	s_cbranch_scc1 .LBB8_37
; %bb.8:
	s_waitcnt lgkmcnt(0)
	s_clause 0x4
	s_load_b128 s[12:15], s[0:1], 0x60
	s_load_b64 s[2:3], s[0:1], 0x20
	s_load_b64 s[16:17], s[0:1], 0x50
	;; [unrolled: 1-line block ×4, first 2 shown]
	s_lshl_b64 s[30:31], s[24:25], 2
	s_mul_i32 s22, s24, s22
	s_mov_b32 s23, 0
	s_add_u32 s1, s27, s30
	s_addc_u32 s25, s28, s31
	s_lshl_b64 s[28:29], s[22:23], 2
	v_mbcnt_lo_u32_b32 v5, -1, 0
	v_add_co_u32 v25, vcc_lo, s1, v9
	v_add_co_ci_u32_e32 v26, vcc_lo, s25, v10, vcc_lo
	s_delay_alu instid0(VALU_DEP_3)
	v_xor_b32_e32 v8, 16, v5
	v_xor_b32_e32 v11, 8, v5
	;; [unrolled: 1-line block ×4, first 2 shown]
	s_waitcnt lgkmcnt(0)
	s_add_u32 s22, s12, s28
	s_addc_u32 s13, s13, s29
	s_add_u32 s14, s14, s28
	s_addc_u32 s15, s15, s29
	s_cmp_lg_u32 s4, 0
	v_cmp_gt_i32_e32 vcc_lo, 32, v8
	s_cselect_b32 s4, -1, 0
	s_abs_i32 s12, s8
	v_mov_b32_e32 v27, 0
	v_cvt_f32_u32_e32 v7, s12
	v_cndmask_b32_e32 v8, v5, v8, vcc_lo
	v_cmp_gt_i32_e32 vcc_lo, 32, v11
	v_xor_b32_e32 v14, 1, v5
	s_sub_i32 s1, 0, s12
	v_rcp_iflag_f32_e32 v7, v7
	v_mul_lo_u32 v24, v0, s8
	v_dual_cndmask_b32 v11, v5, v11 :: v_dual_lshlrev_b32 v28, 2, v8
	v_cmp_gt_i32_e32 vcc_lo, 32, v12
	v_cmp_eq_u32_e64 s0, 31, v0
	v_dual_mov_b32 v23, 0x7c :: v_dual_mov_b32 v4, 0
	v_dual_mov_b32 v6, 0 :: v_dual_mov_b32 v3, 0
	s_delay_alu instid0(TRANS32_DEP_1) | instskip(SKIP_3) | instid1(VALU_DEP_2)
	v_mul_f32_e32 v7, 0x4f7ffffe, v7
	v_dual_mov_b32 v34, 0 :: v_dual_lshlrev_b32 v29, 2, v11
	s_mul_hi_i32 s5, s8, s8
	s_mul_i32 s24, s8, s8
	v_cvt_u32_f32_e32 v15, v7
	v_cndmask_b32_e32 v7, v5, v12, vcc_lo
	v_cmp_gt_i32_e32 vcc_lo, 32, v13
	s_mov_b32 s25, 0
	v_cndmask_b32_e32 v12, v5, v13, vcc_lo
	v_cmp_gt_i32_e32 vcc_lo, 32, v14
	v_mul_lo_u32 v13, s1, v15
	s_delay_alu instid0(VALU_DEP_3) | instskip(SKIP_1) | instid1(VALU_DEP_1)
	v_lshlrev_b32_e32 v31, 2, v12
	v_cndmask_b32_e32 v5, v5, v14, vcc_lo
	v_lshlrev_b32_e32 v32, 2, v5
	v_lshlrev_b32_e32 v30, 2, v7
	v_mul_hi_u32 v5, v15, v13
	v_add_co_u32 v7, vcc_lo, s22, v9
	v_add_co_ci_u32_e32 v8, vcc_lo, s13, v10, vcc_lo
	v_add_co_u32 v9, vcc_lo, s14, v9
	v_add_co_ci_u32_e32 v10, vcc_lo, s15, v10, vcc_lo
	v_add_nc_u32_e32 v33, v15, v5
	s_add_i32 s13, s7, -1
	s_ashr_i32 s14, s8, 31
	s_lshl_b32 s15, s8, 5
	s_branch .LBB8_10
.LBB8_9:                                ;   in Loop: Header=BB8_10 Depth=1
	s_waitcnt lgkmcnt(1)
	v_add_nc_u32_e32 v3, 1, v19
	s_delay_alu instid0(VALU_DEP_1) | instskip(SKIP_1) | instid1(SALU_CYCLE_1)
	v_cmp_le_i32_e32 vcc_lo, s6, v3
	s_or_b32 s25, vcc_lo, s25
	s_and_not1_b32 exec_lo, exec_lo, s25
	s_cbranch_execz .LBB8_37
.LBB8_10:                               ; =>This Loop Header: Depth=1
                                        ;     Child Loop BB8_14 Depth 2
                                        ;       Child Loop BB8_17 Depth 3
                                        ;     Child Loop BB8_31 Depth 2
	v_mov_b32_e32 v5, s6
	s_and_not1_b32 vcc_lo, exec_lo, s11
	s_cbranch_vccnz .LBB8_23
; %bb.11:                               ;   in Loop: Header=BB8_10 Depth=1
	v_mov_b32_e32 v5, s6
	s_mov_b32 s22, 0
	s_branch .LBB8_14
.LBB8_12:                               ;   in Loop: Header=BB8_14 Depth=2
	s_or_b32 exec_lo, exec_lo, s1
.LBB8_13:                               ;   in Loop: Header=BB8_14 Depth=2
	s_delay_alu instid0(SALU_CYCLE_1) | instskip(SKIP_1) | instid1(SALU_CYCLE_1)
	s_or_b32 exec_lo, exec_lo, s27
	s_add_i32 s22, s22, 1
	s_cmp_eq_u32 s22, s9
	s_cbranch_scc1 .LBB8_23
.LBB8_14:                               ;   Parent Loop BB8_10 Depth=1
                                        ; =>  This Loop Header: Depth=2
                                        ;       Child Loop BB8_17 Depth 3
	s_lshl_b64 s[28:29], s[22:23], 2
	v_mov_b32_e32 v17, s6
	v_add_co_u32 v11, vcc_lo, v1, s28
	v_add_co_ci_u32_e32 v12, vcc_lo, s29, v2, vcc_lo
	v_add_co_u32 v13, vcc_lo, v25, s28
	v_add_co_ci_u32_e32 v14, vcc_lo, s29, v26, vcc_lo
	s_mov_b32 s27, exec_lo
	s_clause 0x1
	global_load_b32 v19, v[11:12], off
	global_load_b32 v36, v[13:14], off
	v_add_co_u32 v13, vcc_lo, v9, s28
	v_add_co_ci_u32_e32 v14, vcc_lo, s29, v10, vcc_lo
	v_add_co_u32 v15, vcc_lo, v7, s28
	v_add_co_ci_u32_e32 v16, vcc_lo, s29, v8, vcc_lo
	global_store_b32 v[13:14], v6, off
	global_store_b32 v[15:16], v17, off
	s_waitcnt vmcnt(0)
	v_cmpx_lt_i32_e64 v19, v36
	s_cbranch_execz .LBB8_13
; %bb.15:                               ;   in Loop: Header=BB8_14 Depth=2
	v_ashrrev_i32_e32 v20, 31, v19
	s_mov_b32 s28, 0
                                        ; implicit-def: $sgpr29
                                        ; implicit-def: $sgpr31
                                        ; implicit-def: $sgpr30
	s_delay_alu instid0(VALU_DEP_1) | instskip(NEXT) | instid1(VALU_DEP_1)
	v_lshlrev_b64 v[17:18], 2, v[19:20]
	v_add_co_u32 v21, vcc_lo, s20, v17
	s_delay_alu instid0(VALU_DEP_2)
	v_add_co_ci_u32_e32 v22, vcc_lo, s21, v18, vcc_lo
	s_set_inst_prefetch_distance 0x1
	s_branch .LBB8_17
	.p2align	6
.LBB8_16:                               ;   in Loop: Header=BB8_17 Depth=3
	s_or_b32 exec_lo, exec_lo, s33
	s_delay_alu instid0(SALU_CYCLE_1) | instskip(NEXT) | instid1(SALU_CYCLE_1)
	s_and_b32 s1, exec_lo, s31
	s_or_b32 s28, s1, s28
	s_and_not1_b32 s1, s29, exec_lo
	s_and_b32 s29, s30, exec_lo
	s_delay_alu instid0(SALU_CYCLE_1)
	s_or_b32 s29, s1, s29
	s_and_not1_b32 exec_lo, exec_lo, s28
	s_cbranch_execz .LBB8_19
.LBB8_17:                               ;   Parent Loop BB8_10 Depth=1
                                        ;     Parent Loop BB8_14 Depth=2
                                        ; =>    This Inner Loop Header: Depth=3
	global_load_b32 v17, v[21:22], off
	s_or_b32 s30, s30, exec_lo
	s_or_b32 s31, s31, exec_lo
	s_mov_b32 s33, exec_lo
	s_waitcnt vmcnt(0)
	v_subrev_nc_u32_e32 v35, s10, v17
	v_dual_mov_b32 v17, v19 :: v_dual_mov_b32 v18, v20
                                        ; implicit-def: $vgpr19_vgpr20
	s_delay_alu instid0(VALU_DEP_2)
	v_cmpx_lt_i32_e64 v35, v3
	s_cbranch_execz .LBB8_16
; %bb.18:                               ;   in Loop: Header=BB8_17 Depth=3
	s_delay_alu instid0(VALU_DEP_2) | instskip(NEXT) | instid1(VALU_DEP_3)
	v_add_co_u32 v19, vcc_lo, v17, 1
	v_add_co_ci_u32_e32 v20, vcc_lo, 0, v18, vcc_lo
	v_add_co_u32 v21, s1, v21, 4
	s_delay_alu instid0(VALU_DEP_3) | instskip(SKIP_4) | instid1(SALU_CYCLE_1)
	v_cmp_ge_i32_e32 vcc_lo, v19, v36
	v_add_co_ci_u32_e64 v22, s1, 0, v22, s1
	s_and_not1_b32 s1, s31, exec_lo
	s_and_not1_b32 s30, s30, exec_lo
	s_and_b32 s31, vcc_lo, exec_lo
	s_or_b32 s31, s1, s31
	s_branch .LBB8_16
.LBB8_19:                               ;   in Loop: Header=BB8_14 Depth=2
	s_set_inst_prefetch_distance 0x2
	s_or_b32 exec_lo, exec_lo, s28
	v_lshlrev_b64 v[18:19], 2, v[17:18]
	s_xor_b32 s1, s29, -1
	s_delay_alu instid0(SALU_CYCLE_1) | instskip(NEXT) | instid1(SALU_CYCLE_1)
	s_and_saveexec_b32 s28, s1
	s_xor_b32 s1, exec_lo, s28
	s_cbranch_execz .LBB8_21
; %bb.20:                               ;   in Loop: Header=BB8_14 Depth=2
	s_delay_alu instid0(VALU_DEP_1)
	v_add_co_u32 v11, vcc_lo, s2, v18
	v_add_co_ci_u32_e32 v12, vcc_lo, s3, v19, vcc_lo
                                        ; implicit-def: $vgpr18_vgpr19
	global_load_b32 v11, v[11:12], off
	s_waitcnt vmcnt(0)
	global_store_b32 v[13:14], v11, off
	global_store_b32 v[15:16], v35, off
                                        ; implicit-def: $vgpr13_vgpr14
                                        ; implicit-def: $vgpr15_vgpr16
                                        ; implicit-def: $vgpr11_vgpr12
.LBB8_21:                               ;   in Loop: Header=BB8_14 Depth=2
	s_and_not1_saveexec_b32 s1, s1
	s_cbranch_execz .LBB8_12
; %bb.22:                               ;   in Loop: Header=BB8_14 Depth=2
	v_add_co_u32 v18, vcc_lo, s2, v18
	v_add_co_ci_u32_e32 v19, vcc_lo, s3, v19, vcc_lo
	v_min_i32_e32 v5, v35, v5
	global_load_b32 v18, v[18:19], off
	global_store_b32 v[15:16], v35, off
	s_waitcnt vmcnt(0)
	global_store_b32 v[13:14], v18, off
	global_store_b32 v[11:12], v17, off
	s_branch .LBB8_12
.LBB8_23:                               ;   in Loop: Header=BB8_10 Depth=1
	ds_bpermute_b32 v3, v28, v5
	s_waitcnt lgkmcnt(0)
	v_min_i32_e32 v3, v3, v5
	ds_bpermute_b32 v5, v29, v3
	s_waitcnt lgkmcnt(0)
	v_min_i32_e32 v3, v5, v3
	;; [unrolled: 3-line block ×5, first 2 shown]
	s_delay_alu instid0(VALU_DEP_1) | instskip(SKIP_1) | instid1(SALU_CYCLE_1)
	v_cmp_gt_i32_e32 vcc_lo, s6, v3
	s_and_b32 s22, s0, vcc_lo
	s_and_saveexec_b32 s1, s22
	s_cbranch_execz .LBB8_27
; %bb.24:                               ;   in Loop: Header=BB8_10 Depth=1
	v_sub_nc_u32_e32 v5, 0, v3
	s_mov_b32 s22, exec_lo
	s_delay_alu instid0(VALU_DEP_1) | instskip(NEXT) | instid1(VALU_DEP_1)
	v_max_i32_e32 v5, v3, v5
	v_mul_hi_u32 v11, v5, v33
	s_delay_alu instid0(VALU_DEP_1) | instskip(NEXT) | instid1(VALU_DEP_1)
	v_mul_lo_u32 v12, v11, s12
	v_sub_nc_u32_e32 v5, v5, v12
	s_delay_alu instid0(VALU_DEP_1) | instskip(SKIP_1) | instid1(VALU_DEP_2)
	v_subrev_nc_u32_e32 v13, s12, v5
	v_cmp_le_u32_e32 vcc_lo, s12, v5
	v_dual_cndmask_b32 v5, v5, v13 :: v_dual_add_nc_u32 v12, 1, v11
	s_delay_alu instid0(VALU_DEP_1) | instskip(SKIP_1) | instid1(VALU_DEP_3)
	v_cndmask_b32_e32 v11, v11, v12, vcc_lo
	v_ashrrev_i32_e32 v12, 31, v3
	v_cmp_le_u32_e32 vcc_lo, s12, v5
	s_delay_alu instid0(VALU_DEP_3) | instskip(NEXT) | instid1(VALU_DEP_3)
	v_add_nc_u32_e32 v13, 1, v11
	v_xor_b32_e32 v12, s14, v12
	s_delay_alu instid0(VALU_DEP_2) | instskip(NEXT) | instid1(VALU_DEP_1)
	v_cndmask_b32_e32 v5, v11, v13, vcc_lo
	v_xor_b32_e32 v5, v5, v12
	s_delay_alu instid0(VALU_DEP_1) | instskip(NEXT) | instid1(VALU_DEP_1)
	v_sub_nc_u32_e32 v5, v5, v12
	v_cmpx_ge_i32_e64 v5, v27
	s_cbranch_execz .LBB8_26
; %bb.25:                               ;   in Loop: Header=BB8_10 Depth=1
	v_add_nc_u32_e32 v11, s7, v34
	v_add_nc_u32_e32 v27, 1, v5
	;; [unrolled: 1-line block ×4, first 2 shown]
	s_delay_alu instid0(VALU_DEP_4) | instskip(NEXT) | instid1(VALU_DEP_1)
	v_ashrrev_i32_e32 v12, 31, v11
	v_lshlrev_b64 v[11:12], 2, v[11:12]
	s_delay_alu instid0(VALU_DEP_1) | instskip(NEXT) | instid1(VALU_DEP_2)
	v_add_co_u32 v11, vcc_lo, s16, v11
	v_add_co_ci_u32_e32 v12, vcc_lo, s17, v12, vcc_lo
	global_store_b32 v[11:12], v5, off
.LBB8_26:                               ;   in Loop: Header=BB8_10 Depth=1
	s_or_b32 exec_lo, exec_lo, s22
.LBB8_27:                               ;   in Loop: Header=BB8_10 Depth=1
	s_delay_alu instid0(SALU_CYCLE_1)
	s_or_b32 exec_lo, exec_lo, s1
	ds_bpermute_b32 v19, v23, v3
	ds_bpermute_b32 v34, v23, v34
	s_and_not1_b32 vcc_lo, exec_lo, s11
	s_cbranch_vccnz .LBB8_9
; %bb.28:                               ;   in Loop: Header=BB8_10 Depth=1
	s_waitcnt lgkmcnt(1)
	v_sub_nc_u32_e32 v3, 0, v19
	s_waitcnt lgkmcnt(0)
	v_add_nc_u32_e32 v13, s13, v34
	s_mov_b32 s1, s9
	s_delay_alu instid0(VALU_DEP_2) | instskip(NEXT) | instid1(VALU_DEP_2)
	v_max_i32_e32 v3, v19, v3
	v_ashrrev_i32_e32 v14, 31, v13
	v_mul_lo_u32 v15, s5, v13
	s_delay_alu instid0(VALU_DEP_3) | instskip(NEXT) | instid1(VALU_DEP_1)
	v_mul_hi_u32 v5, v3, v33
	v_mul_lo_u32 v11, v5, s12
	s_delay_alu instid0(VALU_DEP_1) | instskip(SKIP_2) | instid1(VALU_DEP_3)
	v_sub_nc_u32_e32 v3, v3, v11
	v_mad_u64_u32 v[11:12], null, s24, v13, 0
	v_mul_lo_u32 v13, s24, v14
	v_subrev_nc_u32_e32 v14, s12, v3
	v_cmp_le_u32_e32 vcc_lo, s12, v3
	s_delay_alu instid0(VALU_DEP_2) | instskip(NEXT) | instid1(VALU_DEP_1)
	v_dual_cndmask_b32 v3, v3, v14 :: v_dual_add_nc_u32 v16, 1, v5
	v_cndmask_b32_e32 v5, v5, v16, vcc_lo
	v_ashrrev_i32_e32 v16, 31, v19
	v_add3_u32 v12, v12, v13, v15
	s_delay_alu instid0(VALU_DEP_4) | instskip(NEXT) | instid1(VALU_DEP_4)
	v_cmp_le_u32_e32 vcc_lo, s12, v3
	v_add_nc_u32_e32 v14, 1, v5
	s_delay_alu instid0(VALU_DEP_4) | instskip(NEXT) | instid1(VALU_DEP_4)
	v_xor_b32_e32 v17, s14, v16
	v_lshlrev_b64 v[15:16], 2, v[11:12]
	v_dual_mov_b32 v12, v10 :: v_dual_mov_b32 v11, v9
	s_delay_alu instid0(VALU_DEP_4) | instskip(SKIP_1) | instid1(VALU_DEP_4)
	v_dual_cndmask_b32 v5, v5, v14 :: v_dual_mov_b32 v14, v8
	v_mov_b32_e32 v13, v7
	v_add_co_u32 v20, vcc_lo, s18, v15
	s_delay_alu instid0(VALU_DEP_3) | instskip(SKIP_2) | instid1(VALU_DEP_3)
	v_xor_b32_e32 v5, v5, v17
	v_mov_b32_e32 v3, v0
	v_add_co_ci_u32_e32 v21, vcc_lo, s19, v16, vcc_lo
	v_sub_nc_u32_e32 v22, v5, v17
	v_mov_b32_e32 v5, v24
	s_branch .LBB8_31
.LBB8_29:                               ;   in Loop: Header=BB8_31 Depth=2
	s_delay_alu instid0(VALU_DEP_1) | instskip(NEXT) | instid1(VALU_DEP_2)
	v_lshlrev_b64 v[17:18], 2, v[17:18]
	v_lshlrev_b64 v[15:16], 2, v[15:16]
	s_delay_alu instid0(VALU_DEP_2) | instskip(NEXT) | instid1(VALU_DEP_3)
	v_add_co_u32 v17, vcc_lo, v20, v17
	v_add_co_ci_u32_e32 v18, vcc_lo, v21, v18, vcc_lo
	s_delay_alu instid0(VALU_DEP_2) | instskip(NEXT) | instid1(VALU_DEP_2)
	v_add_co_u32 v15, vcc_lo, v17, v15
	v_add_co_ci_u32_e32 v16, vcc_lo, v18, v16, vcc_lo
	s_waitcnt vmcnt(0)
	global_store_b32 v[15:16], v35, off
.LBB8_30:                               ;   in Loop: Header=BB8_31 Depth=2
	s_or_b32 exec_lo, exec_lo, s22
	v_add_co_u32 v13, vcc_lo, v13, 4
	v_add_co_ci_u32_e32 v14, vcc_lo, 0, v14, vcc_lo
	v_add_co_u32 v11, vcc_lo, v11, 4
	v_add_nc_u32_e32 v5, s15, v5
	v_add_nc_u32_e32 v3, 32, v3
	v_add_co_ci_u32_e32 v12, vcc_lo, 0, v12, vcc_lo
	s_add_i32 s1, s1, -1
	s_delay_alu instid0(SALU_CYCLE_1)
	s_cmp_eq_u32 s1, 0
	s_cbranch_scc1 .LBB8_9
.LBB8_31:                               ;   Parent Loop BB8_10 Depth=1
                                        ; =>  This Inner Loop Header: Depth=2
	global_load_b32 v15, v[13:14], off
	s_mov_b32 s22, exec_lo
	s_waitcnt vmcnt(0)
	v_cmpx_gt_i32_e64 s6, v15
	s_cbranch_execz .LBB8_30
; %bb.32:                               ;   in Loop: Header=BB8_31 Depth=2
	v_sub_nc_u32_e32 v16, 0, v15
	v_ashrrev_i32_e32 v37, 31, v15
	s_delay_alu instid0(VALU_DEP_2) | instskip(NEXT) | instid1(VALU_DEP_2)
	v_max_i32_e32 v16, v15, v16
	v_xor_b32_e32 v35, s14, v37
	s_delay_alu instid0(VALU_DEP_2) | instskip(NEXT) | instid1(VALU_DEP_1)
	v_mul_hi_u32 v17, v16, v33
	v_mul_lo_u32 v18, v17, s12
	s_delay_alu instid0(VALU_DEP_1) | instskip(NEXT) | instid1(VALU_DEP_1)
	v_sub_nc_u32_e32 v36, v16, v18
	v_subrev_nc_u32_e32 v38, s12, v36
	v_cmp_le_u32_e32 vcc_lo, s12, v36
	v_add_nc_u32_e32 v16, 1, v17
	s_delay_alu instid0(VALU_DEP_1) | instskip(NEXT) | instid1(VALU_DEP_1)
	v_dual_cndmask_b32 v16, v17, v16 :: v_dual_cndmask_b32 v17, v36, v38
	v_add_nc_u32_e32 v18, 1, v16
	s_delay_alu instid0(VALU_DEP_2) | instskip(NEXT) | instid1(VALU_DEP_2)
	v_cmp_le_u32_e32 vcc_lo, s12, v17
	v_cndmask_b32_e32 v16, v16, v18, vcc_lo
	s_delay_alu instid0(VALU_DEP_1) | instskip(NEXT) | instid1(VALU_DEP_1)
	v_xor_b32_e32 v16, v16, v35
	v_sub_nc_u32_e32 v16, v16, v35
	s_delay_alu instid0(VALU_DEP_1)
	v_cmp_eq_u32_e32 vcc_lo, v16, v22
	s_and_b32 exec_lo, exec_lo, vcc_lo
	s_cbranch_execz .LBB8_30
; %bb.33:                               ;   in Loop: Header=BB8_31 Depth=2
	global_load_b32 v35, v[11:12], off
	s_and_b32 vcc_lo, exec_lo, s4
	s_cbranch_vccz .LBB8_35
; %bb.34:                               ;   in Loop: Header=BB8_31 Depth=2
	v_mul_lo_u32 v16, v22, s8
	s_delay_alu instid0(VALU_DEP_1) | instskip(NEXT) | instid1(VALU_DEP_1)
	v_sub_nc_u32_e32 v15, v15, v16
	v_mul_lo_u32 v17, v15, s8
	v_dual_mov_b32 v16, v4 :: v_dual_mov_b32 v15, v3
	s_delay_alu instid0(VALU_DEP_2)
	v_ashrrev_i32_e32 v18, 31, v17
	s_cbranch_execnz .LBB8_29
	s_branch .LBB8_36
.LBB8_35:                               ;   in Loop: Header=BB8_31 Depth=2
                                        ; implicit-def: $vgpr15_vgpr16
                                        ; implicit-def: $vgpr17_vgpr18
.LBB8_36:                               ;   in Loop: Header=BB8_31 Depth=2
	v_cmp_le_u32_e32 vcc_lo, s12, v36
	v_dual_mov_b32 v18, v6 :: v_dual_mov_b32 v17, v5
	v_cndmask_b32_e32 v15, v36, v38, vcc_lo
	s_delay_alu instid0(VALU_DEP_1) | instskip(SKIP_1) | instid1(VALU_DEP_2)
	v_subrev_nc_u32_e32 v16, s12, v15
	v_cmp_le_u32_e32 vcc_lo, s12, v15
	v_cndmask_b32_e32 v15, v15, v16, vcc_lo
	s_delay_alu instid0(VALU_DEP_1) | instskip(NEXT) | instid1(VALU_DEP_1)
	v_xor_b32_e32 v15, v15, v37
	v_sub_nc_u32_e32 v15, v15, v37
	s_delay_alu instid0(VALU_DEP_1)
	v_ashrrev_i32_e32 v16, 31, v15
	s_branch .LBB8_29
.LBB8_37:
	s_nop 0
	s_sendmsg sendmsg(MSG_DEALLOC_VGPRS)
	s_endpgm
	.section	.rodata,"a",@progbits
	.p2align	6, 0x0
	.amdhsa_kernel _ZN9rocsparseL21csr2bsr_65_inf_kernelILj32EiiiEEv20rocsparse_direction_T2_S2_S2_S2_S2_S2_21rocsparse_index_base_PKT0_PKT1_PKS2_S3_PS4_PS7_PS2_SD_SE_SC_
		.amdhsa_group_segment_fixed_size 0
		.amdhsa_private_segment_fixed_size 0
		.amdhsa_kernarg_size 112
		.amdhsa_user_sgpr_count 15
		.amdhsa_user_sgpr_dispatch_ptr 0
		.amdhsa_user_sgpr_queue_ptr 0
		.amdhsa_user_sgpr_kernarg_segment_ptr 1
		.amdhsa_user_sgpr_dispatch_id 0
		.amdhsa_user_sgpr_private_segment_size 0
		.amdhsa_wavefront_size32 1
		.amdhsa_uses_dynamic_stack 0
		.amdhsa_enable_private_segment 0
		.amdhsa_system_sgpr_workgroup_id_x 1
		.amdhsa_system_sgpr_workgroup_id_y 0
		.amdhsa_system_sgpr_workgroup_id_z 0
		.amdhsa_system_sgpr_workgroup_info 0
		.amdhsa_system_vgpr_workitem_id 0
		.amdhsa_next_free_vgpr 39
		.amdhsa_next_free_sgpr 34
		.amdhsa_reserve_vcc 1
		.amdhsa_float_round_mode_32 0
		.amdhsa_float_round_mode_16_64 0
		.amdhsa_float_denorm_mode_32 3
		.amdhsa_float_denorm_mode_16_64 3
		.amdhsa_dx10_clamp 1
		.amdhsa_ieee_mode 1
		.amdhsa_fp16_overflow 0
		.amdhsa_workgroup_processor_mode 1
		.amdhsa_memory_ordered 1
		.amdhsa_forward_progress 0
		.amdhsa_shared_vgpr_count 0
		.amdhsa_exception_fp_ieee_invalid_op 0
		.amdhsa_exception_fp_denorm_src 0
		.amdhsa_exception_fp_ieee_div_zero 0
		.amdhsa_exception_fp_ieee_overflow 0
		.amdhsa_exception_fp_ieee_underflow 0
		.amdhsa_exception_fp_ieee_inexact 0
		.amdhsa_exception_int_div_zero 0
	.end_amdhsa_kernel
	.section	.text._ZN9rocsparseL21csr2bsr_65_inf_kernelILj32EiiiEEv20rocsparse_direction_T2_S2_S2_S2_S2_S2_21rocsparse_index_base_PKT0_PKT1_PKS2_S3_PS4_PS7_PS2_SD_SE_SC_,"axG",@progbits,_ZN9rocsparseL21csr2bsr_65_inf_kernelILj32EiiiEEv20rocsparse_direction_T2_S2_S2_S2_S2_S2_21rocsparse_index_base_PKT0_PKT1_PKS2_S3_PS4_PS7_PS2_SD_SE_SC_,comdat
.Lfunc_end8:
	.size	_ZN9rocsparseL21csr2bsr_65_inf_kernelILj32EiiiEEv20rocsparse_direction_T2_S2_S2_S2_S2_S2_21rocsparse_index_base_PKT0_PKT1_PKS2_S3_PS4_PS7_PS2_SD_SE_SC_, .Lfunc_end8-_ZN9rocsparseL21csr2bsr_65_inf_kernelILj32EiiiEEv20rocsparse_direction_T2_S2_S2_S2_S2_S2_21rocsparse_index_base_PKT0_PKT1_PKS2_S3_PS4_PS7_PS2_SD_SE_SC_
                                        ; -- End function
	.section	.AMDGPU.csdata,"",@progbits
; Kernel info:
; codeLenInByte = 2240
; NumSgprs: 36
; NumVgprs: 39
; ScratchSize: 0
; MemoryBound: 0
; FloatMode: 240
; IeeeMode: 1
; LDSByteSize: 0 bytes/workgroup (compile time only)
; SGPRBlocks: 4
; VGPRBlocks: 4
; NumSGPRsForWavesPerEU: 36
; NumVGPRsForWavesPerEU: 39
; Occupancy: 16
; WaveLimiterHint : 0
; COMPUTE_PGM_RSRC2:SCRATCH_EN: 0
; COMPUTE_PGM_RSRC2:USER_SGPR: 15
; COMPUTE_PGM_RSRC2:TRAP_HANDLER: 0
; COMPUTE_PGM_RSRC2:TGID_X_EN: 1
; COMPUTE_PGM_RSRC2:TGID_Y_EN: 0
; COMPUTE_PGM_RSRC2:TGID_Z_EN: 0
; COMPUTE_PGM_RSRC2:TIDIG_COMP_CNT: 0
	.section	.text._ZN9rocsparseL35csr2bsr_block_dim_equals_one_kernelILj256EiliEEvT2_S1_S1_S1_21rocsparse_index_base_PKT0_PKT1_PKS1_S2_PS3_PS6_PS1_,"axG",@progbits,_ZN9rocsparseL35csr2bsr_block_dim_equals_one_kernelILj256EiliEEvT2_S1_S1_S1_21rocsparse_index_base_PKT0_PKT1_PKS1_S2_PS3_PS6_PS1_,comdat
	.globl	_ZN9rocsparseL35csr2bsr_block_dim_equals_one_kernelILj256EiliEEvT2_S1_S1_S1_21rocsparse_index_base_PKT0_PKT1_PKS1_S2_PS3_PS6_PS1_ ; -- Begin function _ZN9rocsparseL35csr2bsr_block_dim_equals_one_kernelILj256EiliEEvT2_S1_S1_S1_21rocsparse_index_base_PKT0_PKT1_PKS1_S2_PS3_PS6_PS1_
	.p2align	8
	.type	_ZN9rocsparseL35csr2bsr_block_dim_equals_one_kernelILj256EiliEEvT2_S1_S1_S1_21rocsparse_index_base_PKT0_PKT1_PKS1_S2_PS3_PS6_PS1_,@function
_ZN9rocsparseL35csr2bsr_block_dim_equals_one_kernelILj256EiliEEvT2_S1_S1_S1_21rocsparse_index_base_PKT0_PKT1_PKS1_S2_PS3_PS6_PS1_: ; @_ZN9rocsparseL35csr2bsr_block_dim_equals_one_kernelILj256EiliEEvT2_S1_S1_S1_21rocsparse_index_base_PKT0_PKT1_PKS1_S2_PS3_PS6_PS1_
; %bb.0:
	s_clause 0x1
	s_load_b32 s2, s[0:1], 0x0
	s_load_b128 s[4:7], s[0:1], 0x18
	v_lshl_or_b32 v0, s15, 8, v0
	s_delay_alu instid0(VALU_DEP_1) | instskip(SKIP_2) | instid1(SALU_CYCLE_1)
	v_ashrrev_i32_e32 v1, 31, v0
	s_waitcnt lgkmcnt(0)
	s_ashr_i32 s3, s2, 31
	s_lshl_b64 s[2:3], s[2:3], 3
	s_delay_alu instid0(SALU_CYCLE_1)
	s_add_u32 s2, s6, s2
	s_addc_u32 s3, s7, s3
	s_clause 0x1
	s_load_b64 s[2:3], s[2:3], 0x0
	s_load_b64 s[6:7], s[6:7], 0x0
	s_waitcnt lgkmcnt(0)
	s_sub_u32 s2, s2, s6
	s_subb_u32 s3, s3, s7
	s_mov_b32 s6, exec_lo
	v_cmpx_gt_i64_e64 s[2:3], v[0:1]
	s_cbranch_execz .LBB9_3
; %bb.1:
	s_clause 0x5
	s_load_b32 s12, s[0:1], 0x50
	s_load_b32 s14, s[0:1], 0x30
	s_load_b64 s[6:7], s[0:1], 0x38
	s_load_b32 s15, s[0:1], 0x10
	s_load_b64 s[8:9], s[0:1], 0x28
	s_load_b64 s[10:11], s[0:1], 0x48
	v_lshlrev_b64 v[2:3], 2, v[0:1]
	s_mov_b32 s13, 0
	s_waitcnt lgkmcnt(0)
	s_lshl_b32 s12, s12, 8
	s_sub_i32 s1, s14, s15
	s_lshl_b64 s[14:15], s[12:13], 2
	.p2align	6
.LBB9_2:                                ; =>This Inner Loop Header: Depth=1
	v_add_co_u32 v4, vcc_lo, s8, v2
	v_add_co_ci_u32_e32 v5, vcc_lo, s9, v3, vcc_lo
	global_load_b32 v7, v[4:5], off
	v_add_co_u32 v4, vcc_lo, s10, v2
	v_add_co_ci_u32_e32 v5, vcc_lo, s11, v3, vcc_lo
	v_add_co_u32 v6, vcc_lo, s4, v2
	s_waitcnt vmcnt(0)
	v_add_nc_u32_e32 v8, s1, v7
	v_add_co_ci_u32_e32 v7, vcc_lo, s5, v3, vcc_lo
	v_add_co_u32 v0, vcc_lo, v0, s12
	global_store_b32 v[4:5], v8, off
	global_load_b32 v6, v[6:7], off
	v_add_co_ci_u32_e32 v1, vcc_lo, 0, v1, vcc_lo
	v_add_co_u32 v4, vcc_lo, s6, v2
	v_add_co_ci_u32_e32 v5, vcc_lo, s7, v3, vcc_lo
	s_delay_alu instid0(VALU_DEP_3) | instskip(SKIP_1) | instid1(VALU_DEP_1)
	v_cmp_le_i64_e32 vcc_lo, s[2:3], v[0:1]
	v_add_co_u32 v2, s0, v2, s14
	v_add_co_ci_u32_e64 v3, s0, s15, v3, s0
	s_or_b32 s13, vcc_lo, s13
	s_waitcnt vmcnt(0)
	global_store_b32 v[4:5], v6, off
	s_and_not1_b32 exec_lo, exec_lo, s13
	s_cbranch_execnz .LBB9_2
.LBB9_3:
	s_nop 0
	s_sendmsg sendmsg(MSG_DEALLOC_VGPRS)
	s_endpgm
	.section	.rodata,"a",@progbits
	.p2align	6, 0x0
	.amdhsa_kernel _ZN9rocsparseL35csr2bsr_block_dim_equals_one_kernelILj256EiliEEvT2_S1_S1_S1_21rocsparse_index_base_PKT0_PKT1_PKS1_S2_PS3_PS6_PS1_
		.amdhsa_group_segment_fixed_size 0
		.amdhsa_private_segment_fixed_size 0
		.amdhsa_kernarg_size 336
		.amdhsa_user_sgpr_count 15
		.amdhsa_user_sgpr_dispatch_ptr 0
		.amdhsa_user_sgpr_queue_ptr 0
		.amdhsa_user_sgpr_kernarg_segment_ptr 1
		.amdhsa_user_sgpr_dispatch_id 0
		.amdhsa_user_sgpr_private_segment_size 0
		.amdhsa_wavefront_size32 1
		.amdhsa_uses_dynamic_stack 0
		.amdhsa_enable_private_segment 0
		.amdhsa_system_sgpr_workgroup_id_x 1
		.amdhsa_system_sgpr_workgroup_id_y 0
		.amdhsa_system_sgpr_workgroup_id_z 0
		.amdhsa_system_sgpr_workgroup_info 0
		.amdhsa_system_vgpr_workitem_id 0
		.amdhsa_next_free_vgpr 9
		.amdhsa_next_free_sgpr 16
		.amdhsa_reserve_vcc 1
		.amdhsa_float_round_mode_32 0
		.amdhsa_float_round_mode_16_64 0
		.amdhsa_float_denorm_mode_32 3
		.amdhsa_float_denorm_mode_16_64 3
		.amdhsa_dx10_clamp 1
		.amdhsa_ieee_mode 1
		.amdhsa_fp16_overflow 0
		.amdhsa_workgroup_processor_mode 1
		.amdhsa_memory_ordered 1
		.amdhsa_forward_progress 0
		.amdhsa_shared_vgpr_count 0
		.amdhsa_exception_fp_ieee_invalid_op 0
		.amdhsa_exception_fp_denorm_src 0
		.amdhsa_exception_fp_ieee_div_zero 0
		.amdhsa_exception_fp_ieee_overflow 0
		.amdhsa_exception_fp_ieee_underflow 0
		.amdhsa_exception_fp_ieee_inexact 0
		.amdhsa_exception_int_div_zero 0
	.end_amdhsa_kernel
	.section	.text._ZN9rocsparseL35csr2bsr_block_dim_equals_one_kernelILj256EiliEEvT2_S1_S1_S1_21rocsparse_index_base_PKT0_PKT1_PKS1_S2_PS3_PS6_PS1_,"axG",@progbits,_ZN9rocsparseL35csr2bsr_block_dim_equals_one_kernelILj256EiliEEvT2_S1_S1_S1_21rocsparse_index_base_PKT0_PKT1_PKS1_S2_PS3_PS6_PS1_,comdat
.Lfunc_end9:
	.size	_ZN9rocsparseL35csr2bsr_block_dim_equals_one_kernelILj256EiliEEvT2_S1_S1_S1_21rocsparse_index_base_PKT0_PKT1_PKS1_S2_PS3_PS6_PS1_, .Lfunc_end9-_ZN9rocsparseL35csr2bsr_block_dim_equals_one_kernelILj256EiliEEvT2_S1_S1_S1_21rocsparse_index_base_PKT0_PKT1_PKS1_S2_PS3_PS6_PS1_
                                        ; -- End function
	.section	.AMDGPU.csdata,"",@progbits
; Kernel info:
; codeLenInByte = 340
; NumSgprs: 18
; NumVgprs: 9
; ScratchSize: 0
; MemoryBound: 0
; FloatMode: 240
; IeeeMode: 1
; LDSByteSize: 0 bytes/workgroup (compile time only)
; SGPRBlocks: 2
; VGPRBlocks: 1
; NumSGPRsForWavesPerEU: 18
; NumVGPRsForWavesPerEU: 9
; Occupancy: 16
; WaveLimiterHint : 0
; COMPUTE_PGM_RSRC2:SCRATCH_EN: 0
; COMPUTE_PGM_RSRC2:USER_SGPR: 15
; COMPUTE_PGM_RSRC2:TRAP_HANDLER: 0
; COMPUTE_PGM_RSRC2:TGID_X_EN: 1
; COMPUTE_PGM_RSRC2:TGID_Y_EN: 0
; COMPUTE_PGM_RSRC2:TGID_Z_EN: 0
; COMPUTE_PGM_RSRC2:TIDIG_COMP_CNT: 0
	.section	.text._ZN9rocsparseL42csr2bsr_wavefront_per_row_multipass_kernelILj256ELj16ELj4EiliEEv20rocsparse_direction_T4_S2_S2_S2_S2_21rocsparse_index_base_PKT2_PKT3_PKS2_S3_PS4_PS7_PS2_,"axG",@progbits,_ZN9rocsparseL42csr2bsr_wavefront_per_row_multipass_kernelILj256ELj16ELj4EiliEEv20rocsparse_direction_T4_S2_S2_S2_S2_21rocsparse_index_base_PKT2_PKT3_PKS2_S3_PS4_PS7_PS2_,comdat
	.globl	_ZN9rocsparseL42csr2bsr_wavefront_per_row_multipass_kernelILj256ELj16ELj4EiliEEv20rocsparse_direction_T4_S2_S2_S2_S2_21rocsparse_index_base_PKT2_PKT3_PKS2_S3_PS4_PS7_PS2_ ; -- Begin function _ZN9rocsparseL42csr2bsr_wavefront_per_row_multipass_kernelILj256ELj16ELj4EiliEEv20rocsparse_direction_T4_S2_S2_S2_S2_21rocsparse_index_base_PKT2_PKT3_PKS2_S3_PS4_PS7_PS2_
	.p2align	8
	.type	_ZN9rocsparseL42csr2bsr_wavefront_per_row_multipass_kernelILj256ELj16ELj4EiliEEv20rocsparse_direction_T4_S2_S2_S2_S2_21rocsparse_index_base_PKT2_PKT3_PKS2_S3_PS4_PS7_PS2_,@function
_ZN9rocsparseL42csr2bsr_wavefront_per_row_multipass_kernelILj256ELj16ELj4EiliEEv20rocsparse_direction_T4_S2_S2_S2_S2_21rocsparse_index_base_PKT2_PKT3_PKS2_S3_PS4_PS7_PS2_: ; @_ZN9rocsparseL42csr2bsr_wavefront_per_row_multipass_kernelILj256ELj16ELj4EiliEEv20rocsparse_direction_T4_S2_S2_S2_S2_21rocsparse_index_base_PKT2_PKT3_PKS2_S3_PS4_PS7_PS2_
; %bb.0:
	s_clause 0x1
	s_load_b128 s[4:7], s[0:1], 0xc
	s_load_b64 s[10:11], s[0:1], 0x0
	v_lshrrev_b32_e32 v20, 4, v0
	v_bfe_u32 v9, v0, 2, 2
	s_load_b64 s[8:9], s[0:1], 0x28
	v_mov_b32_e32 v1, 0
	v_mov_b32_e32 v2, 0
	v_lshl_or_b32 v5, s15, 4, v20
	s_delay_alu instid0(VALU_DEP_2) | instskip(SKIP_1) | instid1(VALU_DEP_2)
	v_dual_mov_b32 v8, v2 :: v_dual_mov_b32 v7, v1
	s_waitcnt lgkmcnt(0)
	v_mad_u64_u32 v[3:4], null, v5, s6, v[9:10]
	v_cmp_gt_i32_e32 vcc_lo, s6, v9
	s_delay_alu instid0(VALU_DEP_2) | instskip(NEXT) | instid1(VALU_DEP_1)
	v_cmp_gt_i32_e64 s2, s11, v3
	s_and_b32 s3, vcc_lo, s2
	s_delay_alu instid0(SALU_CYCLE_1)
	s_and_saveexec_b32 s11, s3
	s_cbranch_execz .LBB10_2
; %bb.1:
	v_ashrrev_i32_e32 v4, 31, v3
	s_delay_alu instid0(VALU_DEP_1) | instskip(NEXT) | instid1(VALU_DEP_1)
	v_lshlrev_b64 v[6:7], 3, v[3:4]
	v_add_co_u32 v6, s2, s8, v6
	s_delay_alu instid0(VALU_DEP_1) | instskip(SKIP_3) | instid1(VALU_DEP_1)
	v_add_co_ci_u32_e64 v7, s2, s9, v7, s2
	global_load_b64 v[7:8], v[6:7], off
	s_waitcnt vmcnt(0)
	v_sub_co_u32 v7, s2, v7, s7
	v_subrev_co_ci_u32_e64 v8, s2, 0, v8, s2
.LBB10_2:
	s_or_b32 exec_lo, exec_lo, s11
	s_and_saveexec_b32 s11, s3
	s_cbranch_execz .LBB10_4
; %bb.3:
	v_ashrrev_i32_e32 v4, 31, v3
	s_delay_alu instid0(VALU_DEP_1) | instskip(NEXT) | instid1(VALU_DEP_1)
	v_lshlrev_b64 v[1:2], 3, v[3:4]
	v_add_co_u32 v1, s2, s8, v1
	s_delay_alu instid0(VALU_DEP_1) | instskip(SKIP_3) | instid1(VALU_DEP_1)
	v_add_co_ci_u32_e64 v2, s2, s9, v2, s2
	global_load_b64 v[1:2], v[1:2], off offset:8
	s_waitcnt vmcnt(0)
	v_sub_co_u32 v1, s2, v1, s7
	v_subrev_co_ci_u32_e64 v2, s2, 0, v2, s2
.LBB10_4:
	s_or_b32 exec_lo, exec_lo, s11
	s_load_b32 s12, s[0:1], 0x38
	v_mov_b32_e32 v3, 0
	v_mov_b32_e32 v4, 0
	s_mov_b32 s3, exec_lo
	v_cmpx_gt_i32_e64 s4, v5
	s_cbranch_execz .LBB10_6
; %bb.5:
	s_load_b64 s[8:9], s[0:1], 0x48
	v_ashrrev_i32_e32 v6, 31, v5
	s_delay_alu instid0(VALU_DEP_1) | instskip(SKIP_1) | instid1(VALU_DEP_1)
	v_lshlrev_b64 v[3:4], 3, v[5:6]
	s_waitcnt lgkmcnt(0)
	v_add_co_u32 v3, s2, s8, v3
	s_delay_alu instid0(VALU_DEP_1) | instskip(SKIP_3) | instid1(VALU_DEP_1)
	v_add_co_ci_u32_e64 v4, s2, s9, v4, s2
	global_load_b64 v[3:4], v[3:4], off
	s_waitcnt vmcnt(0)
	v_sub_co_u32 v3, s2, v3, s12
	v_subrev_co_ci_u32_e64 v4, s2, 0, v4, s2
.LBB10_6:
	s_or_b32 exec_lo, exec_lo, s3
	s_cmp_lt_i32 s5, 1
	s_cbranch_scc1 .LBB10_21
; %bb.7:
	v_dual_mov_b32 v6, 0 :: v_dual_and_b32 v21, 3, v0
	s_load_b64 s[14:15], s[0:1], 0x40
	v_lshlrev_b32_e32 v14, 2, v9
	v_mbcnt_lo_u32_b32 v16, -1, 0
	s_delay_alu instid0(VALU_DEP_3) | instskip(SKIP_2) | instid1(VALU_DEP_4)
	v_mul_lo_u32 v5, v21, s6
	v_cmp_gt_u32_e64 s2, s6, v21
	v_mov_b32_e32 v31, 1
	v_xor_b32_e32 v17, 1, v16
	v_xor_b32_e32 v19, 8, v16
	s_delay_alu instid0(VALU_DEP_4)
	s_and_b32 s4, vcc_lo, s2
	s_load_b64 s[2:3], s[0:1], 0x50
	v_lshlrev_b64 v[10:11], 2, v[5:6]
	v_mul_lo_u32 v5, v9, s6
	s_load_b64 s[8:9], s[0:1], 0x30
	s_cmp_eq_u32 s10, 0
	s_load_b64 s[10:11], s[0:1], 0x20
	v_xor_b32_e32 v22, 4, v16
	s_mov_b32 s1, 0
	s_delay_alu instid0(VALU_DEP_2) | instskip(SKIP_3) | instid1(VALU_DEP_3)
	v_lshlrev_b64 v[12:13], 2, v[5:6]
	s_waitcnt lgkmcnt(0)
	v_add_co_u32 v5, vcc_lo, s14, v10
	v_add_co_ci_u32_e32 v10, vcc_lo, s15, v11, vcc_lo
	v_add_co_u32 v11, vcc_lo, s14, v12
	s_delay_alu instid0(VALU_DEP_4) | instskip(NEXT) | instid1(VALU_DEP_4)
	v_add_co_ci_u32_e32 v12, vcc_lo, s15, v13, vcc_lo
	v_add_co_u32 v13, vcc_lo, v5, v14
	s_delay_alu instid0(VALU_DEP_4) | instskip(SKIP_2) | instid1(VALU_DEP_1)
	v_add_co_ci_u32_e32 v15, vcc_lo, 0, v10, vcc_lo
	v_lshlrev_b32_e32 v9, 2, v21
	s_mul_i32 s15, s6, s6
	v_add_co_u32 v11, vcc_lo, v11, v9
	v_add_co_ci_u32_e32 v12, vcc_lo, 0, v12, vcc_lo
	s_cselect_b32 vcc_lo, -1, 0
	s_abs_i32 s13, s6
	s_delay_alu instid0(VALU_DEP_1)
	v_dual_mov_b32 v9, 0 :: v_dual_cndmask_b32 v28, v15, v12
	v_cvt_f32_u32_e32 v5, s13
	v_and_or_b32 v0, 0xf0, v0, v14
	v_xor_b32_e32 v14, 2, v16
	s_sub_i32 s14, 0, s13
	v_dual_cndmask_b32 v29, v13, v11 :: v_dual_lshlrev_b32 v18, 2, v16
	v_rcp_iflag_f32_e32 v5, v5
	s_delay_alu instid0(VALU_DEP_2) | instskip(SKIP_3) | instid1(VALU_DEP_3)
	v_cmp_gt_i32_e64 s0, 32, v14
	v_mov_b32_e32 v10, 0
	v_or_b32_e32 v23, v0, v21
	s_ashr_i32 s16, s6, 31
	v_cndmask_b32_e64 v14, v16, v14, s0
	v_cmp_gt_i32_e64 s0, 32, v17
	s_delay_alu instid0(VALU_DEP_3) | instskip(NEXT) | instid1(TRANS32_DEP_1)
	v_lshlrev_b32_e32 v23, 2, v23
	v_mul_f32_e32 v5, 0x4f7ffffe, v5
	s_delay_alu instid0(VALU_DEP_3) | instskip(SKIP_1) | instid1(VALU_DEP_3)
	v_cndmask_b32_e64 v17, v16, v17, s0
	v_cmp_gt_i32_e64 s0, 32, v19
	v_cvt_u32_f32_e32 v30, v5
	v_or_b32_e32 v5, 12, v18
	s_delay_alu instid0(VALU_DEP_4) | instskip(NEXT) | instid1(VALU_DEP_4)
	v_lshlrev_b32_e32 v25, 2, v17
	v_cndmask_b32_e64 v19, v16, v19, s0
	v_cmp_gt_i32_e64 s0, 32, v22
	v_mul_lo_u32 v24, s14, v30
	s_mul_hi_u32 s14, s6, s6
	s_delay_alu instid0(VALU_DEP_3) | instskip(NEXT) | instid1(VALU_DEP_3)
	v_lshlrev_b32_e32 v26, 2, v19
	v_cndmask_b32_e64 v16, v16, v22, s0
	v_or_b32_e32 v22, 60, v18
	s_delay_alu instid0(VALU_DEP_4) | instskip(SKIP_1) | instid1(VALU_DEP_4)
	v_mul_hi_u32 v18, v30, v24
	v_lshlrev_b32_e32 v24, 2, v14
	v_lshlrev_b32_e32 v27, 2, v16
	s_delay_alu instid0(VALU_DEP_3)
	v_add_nc_u32_e32 v30, v30, v18
	s_branch .LBB10_10
.LBB10_8:                               ;   in Loop: Header=BB10_10 Depth=1
	s_or_b32 exec_lo, exec_lo, s17
	v_mov_b32_e32 v10, 1
	v_mov_b32_e32 v11, 0
.LBB10_9:                               ;   in Loop: Header=BB10_10 Depth=1
	s_or_b32 exec_lo, exec_lo, s0
	ds_bpermute_b32 v9, v26, v32
	v_add_co_u32 v3, s0, v10, v3
	s_delay_alu instid0(VALU_DEP_1)
	v_add_co_ci_u32_e64 v4, s0, v11, v4, s0
	s_waitcnt lgkmcnt(0)
	s_waitcnt_vscnt null, 0x0
	buffer_gl0_inv
	buffer_gl0_inv
	v_min_i32_e32 v9, v9, v32
	ds_bpermute_b32 v12, v27, v9
	s_waitcnt lgkmcnt(0)
	v_min_i32_e32 v9, v12, v9
	ds_bpermute_b32 v12, v24, v9
	s_waitcnt lgkmcnt(0)
	;; [unrolled: 3-line block ×4, first 2 shown]
	v_cmp_le_i32_e32 vcc_lo, s5, v9
	v_ashrrev_i32_e32 v10, 31, v9
	s_or_b32 s1, vcc_lo, s1
	s_delay_alu instid0(SALU_CYCLE_1)
	s_and_not1_b32 exec_lo, exec_lo, s1
	s_cbranch_execz .LBB10_21
.LBB10_10:                              ; =>This Loop Header: Depth=1
                                        ;     Child Loop BB10_13 Depth 2
	v_add_co_u32 v7, vcc_lo, v7, v21
	v_mov_b32_e32 v16, v2
	v_add_co_ci_u32_e32 v8, vcc_lo, 0, v8, vcc_lo
	v_dual_mov_b32 v32, s5 :: v_dual_mov_b32 v15, v1
	s_mov_b32 s17, exec_lo
	ds_store_b8 v20, v6 offset:1024
	ds_store_b32 v23, v6
	s_waitcnt lgkmcnt(0)
	buffer_gl0_inv
	v_cmpx_lt_i64_e64 v[7:8], v[1:2]
	s_cbranch_execz .LBB10_18
; %bb.11:                               ;   in Loop: Header=BB10_10 Depth=1
	v_lshlrev_b64 v[13:14], 2, v[7:8]
	v_mov_b32_e32 v16, v2
	v_dual_mov_b32 v32, s5 :: v_dual_mov_b32 v15, v1
	s_mov_b32 s18, 0
	s_delay_alu instid0(VALU_DEP_3) | instskip(NEXT) | instid1(VALU_DEP_4)
	v_add_co_u32 v11, vcc_lo, s10, v13
	v_add_co_ci_u32_e32 v12, vcc_lo, s11, v14, vcc_lo
	v_add_co_u32 v13, vcc_lo, s8, v13
	v_add_co_ci_u32_e32 v14, vcc_lo, s9, v14, vcc_lo
	s_branch .LBB10_13
.LBB10_12:                              ;   in Loop: Header=BB10_13 Depth=2
	s_or_b32 exec_lo, exec_lo, s0
	v_add_co_u32 v7, s0, v7, 4
	s_delay_alu instid0(VALU_DEP_1) | instskip(SKIP_2) | instid1(VALU_DEP_2)
	v_add_co_ci_u32_e64 v8, s0, 0, v8, s0
	s_xor_b32 s19, vcc_lo, -1
	v_add_co_u32 v11, vcc_lo, v11, 16
	v_cmp_ge_i64_e64 s0, v[7:8], v[1:2]
	v_add_co_ci_u32_e32 v12, vcc_lo, 0, v12, vcc_lo
	v_add_co_u32 v13, vcc_lo, v13, 16
	v_add_co_ci_u32_e32 v14, vcc_lo, 0, v14, vcc_lo
	s_delay_alu instid0(VALU_DEP_4) | instskip(NEXT) | instid1(SALU_CYCLE_1)
	s_or_b32 s0, s19, s0
	s_and_b32 s0, exec_lo, s0
	s_delay_alu instid0(SALU_CYCLE_1) | instskip(NEXT) | instid1(SALU_CYCLE_1)
	s_or_b32 s18, s0, s18
	s_and_not1_b32 exec_lo, exec_lo, s18
	s_cbranch_execz .LBB10_17
.LBB10_13:                              ;   Parent Loop BB10_10 Depth=1
                                        ; =>  This Inner Loop Header: Depth=2
	global_load_b32 v17, v[13:14], off
	s_waitcnt vmcnt(0)
	v_subrev_nc_u32_e32 v33, s7, v17
	s_delay_alu instid0(VALU_DEP_1) | instskip(NEXT) | instid1(VALU_DEP_1)
	v_sub_nc_u32_e32 v17, 0, v33
	v_max_i32_e32 v17, v33, v17
	s_delay_alu instid0(VALU_DEP_1) | instskip(NEXT) | instid1(VALU_DEP_1)
	v_mul_hi_u32 v18, v17, v30
	v_mul_lo_u32 v19, v18, s13
	s_delay_alu instid0(VALU_DEP_1) | instskip(SKIP_1) | instid1(VALU_DEP_2)
	v_sub_nc_u32_e32 v17, v17, v19
	v_add_nc_u32_e32 v19, 1, v18
	v_subrev_nc_u32_e32 v34, s13, v17
	v_cmp_le_u32_e32 vcc_lo, s13, v17
	s_delay_alu instid0(VALU_DEP_2) | instskip(SKIP_1) | instid1(VALU_DEP_2)
	v_dual_cndmask_b32 v18, v18, v19 :: v_dual_cndmask_b32 v17, v17, v34
	v_ashrrev_i32_e32 v19, 31, v33
	v_add_nc_u32_e32 v34, 1, v18
	s_delay_alu instid0(VALU_DEP_3) | instskip(NEXT) | instid1(VALU_DEP_3)
	v_cmp_le_u32_e32 vcc_lo, s13, v17
	v_xor_b32_e32 v19, s16, v19
	s_delay_alu instid0(VALU_DEP_3) | instskip(NEXT) | instid1(VALU_DEP_1)
	v_cndmask_b32_e32 v17, v18, v34, vcc_lo
	v_xor_b32_e32 v17, v17, v19
	s_delay_alu instid0(VALU_DEP_1) | instskip(NEXT) | instid1(VALU_DEP_1)
	v_sub_nc_u32_e32 v17, v17, v19
	v_ashrrev_i32_e32 v18, 31, v17
	s_delay_alu instid0(VALU_DEP_1) | instskip(SKIP_2) | instid1(VALU_DEP_2)
	v_cmp_eq_u64_e32 vcc_lo, v[9:10], v[17:18]
	v_cmp_ne_u64_e64 s0, v[9:10], v[17:18]
	v_dual_mov_b32 v19, v16 :: v_dual_mov_b32 v18, v15
	s_and_saveexec_b32 s19, s0
	s_delay_alu instid0(SALU_CYCLE_1)
	s_xor_b32 s0, exec_lo, s19
; %bb.14:                               ;   in Loop: Header=BB10_13 Depth=2
	v_min_i32_e32 v32, v17, v32
                                        ; implicit-def: $vgpr17
                                        ; implicit-def: $vgpr33
                                        ; implicit-def: $vgpr18_vgpr19
; %bb.15:                               ;   in Loop: Header=BB10_13 Depth=2
	s_or_saveexec_b32 s0, s0
	v_dual_mov_b32 v16, v8 :: v_dual_mov_b32 v15, v7
	s_xor_b32 exec_lo, exec_lo, s0
	s_cbranch_execz .LBB10_12
; %bb.16:                               ;   in Loop: Header=BB10_13 Depth=2
	global_load_b32 v34, v[11:12], off
	v_mul_lo_u32 v15, v17, s6
	s_delay_alu instid0(VALU_DEP_1) | instskip(NEXT) | instid1(VALU_DEP_1)
	v_sub_nc_u32_e32 v15, v33, v15
	v_add_lshl_u32 v17, v15, v0, 2
	v_dual_mov_b32 v15, v18 :: v_dual_mov_b32 v16, v19
	ds_store_b8 v20, v31 offset:1024
	s_waitcnt vmcnt(0)
	ds_store_b32 v17, v34
	s_branch .LBB10_12
.LBB10_17:                              ;   in Loop: Header=BB10_10 Depth=1
	s_or_b32 exec_lo, exec_lo, s18
.LBB10_18:                              ;   in Loop: Header=BB10_10 Depth=1
	s_delay_alu instid0(SALU_CYCLE_1)
	s_or_b32 exec_lo, exec_lo, s17
	ds_bpermute_b32 v7, v24, v15
	ds_bpermute_b32 v8, v24, v16
	s_waitcnt lgkmcnt(0)
	buffer_gl0_inv
	ds_load_u8 v12, v20 offset:1024
	s_mov_b32 s0, exec_lo
	v_cmp_lt_i64_e32 vcc_lo, v[7:8], v[15:16]
	s_waitcnt lgkmcnt(0)
	v_and_b32_e32 v12, 1, v12
	v_dual_cndmask_b32 v8, v16, v8 :: v_dual_cndmask_b32 v7, v15, v7
	ds_bpermute_b32 v11, v25, v8
	ds_bpermute_b32 v10, v25, v7
	s_waitcnt lgkmcnt(0)
	v_cmp_lt_i64_e32 vcc_lo, v[10:11], v[7:8]
	v_dual_cndmask_b32 v8, v8, v11 :: v_dual_cndmask_b32 v7, v7, v10
	v_mov_b32_e32 v10, 0
	v_mov_b32_e32 v11, 0
	ds_bpermute_b32 v8, v5, v8
	ds_bpermute_b32 v7, v5, v7
	v_cmpx_eq_u32_e32 1, v12
	s_cbranch_execz .LBB10_9
; %bb.19:                               ;   in Loop: Header=BB10_10 Depth=1
	v_lshlrev_b64 v[10:11], 2, v[3:4]
	v_add_nc_u32_e32 v12, s12, v9
	s_delay_alu instid0(VALU_DEP_2) | instskip(NEXT) | instid1(VALU_DEP_3)
	v_add_co_u32 v9, vcc_lo, s2, v10
	v_add_co_ci_u32_e32 v10, vcc_lo, s3, v11, vcc_lo
	global_store_b32 v[9:10], v12, off
	s_and_saveexec_b32 s17, s4
	s_cbranch_execz .LBB10_8
; %bb.20:                               ;   in Loop: Header=BB10_10 Depth=1
	v_mul_lo_u32 v11, s14, v3
	v_mul_lo_u32 v12, s15, v4
	v_mad_u64_u32 v[9:10], null, s15, v3, 0
	ds_load_b32 v13, v23
	v_add3_u32 v10, v10, v12, v11
	s_delay_alu instid0(VALU_DEP_1) | instskip(NEXT) | instid1(VALU_DEP_1)
	v_lshlrev_b64 v[9:10], 2, v[9:10]
	v_add_co_u32 v9, vcc_lo, v29, v9
	s_delay_alu instid0(VALU_DEP_2)
	v_add_co_ci_u32_e32 v10, vcc_lo, v28, v10, vcc_lo
	s_waitcnt lgkmcnt(0)
	global_store_b32 v[9:10], v13, off
	s_branch .LBB10_8
.LBB10_21:
	s_endpgm
	.section	.rodata,"a",@progbits
	.p2align	6, 0x0
	.amdhsa_kernel _ZN9rocsparseL42csr2bsr_wavefront_per_row_multipass_kernelILj256ELj16ELj4EiliEEv20rocsparse_direction_T4_S2_S2_S2_S2_21rocsparse_index_base_PKT2_PKT3_PKS2_S3_PS4_PS7_PS2_
		.amdhsa_group_segment_fixed_size 1040
		.amdhsa_private_segment_fixed_size 0
		.amdhsa_kernarg_size 88
		.amdhsa_user_sgpr_count 15
		.amdhsa_user_sgpr_dispatch_ptr 0
		.amdhsa_user_sgpr_queue_ptr 0
		.amdhsa_user_sgpr_kernarg_segment_ptr 1
		.amdhsa_user_sgpr_dispatch_id 0
		.amdhsa_user_sgpr_private_segment_size 0
		.amdhsa_wavefront_size32 1
		.amdhsa_uses_dynamic_stack 0
		.amdhsa_enable_private_segment 0
		.amdhsa_system_sgpr_workgroup_id_x 1
		.amdhsa_system_sgpr_workgroup_id_y 0
		.amdhsa_system_sgpr_workgroup_id_z 0
		.amdhsa_system_sgpr_workgroup_info 0
		.amdhsa_system_vgpr_workitem_id 0
		.amdhsa_next_free_vgpr 35
		.amdhsa_next_free_sgpr 20
		.amdhsa_reserve_vcc 1
		.amdhsa_float_round_mode_32 0
		.amdhsa_float_round_mode_16_64 0
		.amdhsa_float_denorm_mode_32 3
		.amdhsa_float_denorm_mode_16_64 3
		.amdhsa_dx10_clamp 1
		.amdhsa_ieee_mode 1
		.amdhsa_fp16_overflow 0
		.amdhsa_workgroup_processor_mode 1
		.amdhsa_memory_ordered 1
		.amdhsa_forward_progress 0
		.amdhsa_shared_vgpr_count 0
		.amdhsa_exception_fp_ieee_invalid_op 0
		.amdhsa_exception_fp_denorm_src 0
		.amdhsa_exception_fp_ieee_div_zero 0
		.amdhsa_exception_fp_ieee_overflow 0
		.amdhsa_exception_fp_ieee_underflow 0
		.amdhsa_exception_fp_ieee_inexact 0
		.amdhsa_exception_int_div_zero 0
	.end_amdhsa_kernel
	.section	.text._ZN9rocsparseL42csr2bsr_wavefront_per_row_multipass_kernelILj256ELj16ELj4EiliEEv20rocsparse_direction_T4_S2_S2_S2_S2_21rocsparse_index_base_PKT2_PKT3_PKS2_S3_PS4_PS7_PS2_,"axG",@progbits,_ZN9rocsparseL42csr2bsr_wavefront_per_row_multipass_kernelILj256ELj16ELj4EiliEEv20rocsparse_direction_T4_S2_S2_S2_S2_21rocsparse_index_base_PKT2_PKT3_PKS2_S3_PS4_PS7_PS2_,comdat
.Lfunc_end10:
	.size	_ZN9rocsparseL42csr2bsr_wavefront_per_row_multipass_kernelILj256ELj16ELj4EiliEEv20rocsparse_direction_T4_S2_S2_S2_S2_21rocsparse_index_base_PKT2_PKT3_PKS2_S3_PS4_PS7_PS2_, .Lfunc_end10-_ZN9rocsparseL42csr2bsr_wavefront_per_row_multipass_kernelILj256ELj16ELj4EiliEEv20rocsparse_direction_T4_S2_S2_S2_S2_21rocsparse_index_base_PKT2_PKT3_PKS2_S3_PS4_PS7_PS2_
                                        ; -- End function
	.section	.AMDGPU.csdata,"",@progbits
; Kernel info:
; codeLenInByte = 1688
; NumSgprs: 22
; NumVgprs: 35
; ScratchSize: 0
; MemoryBound: 0
; FloatMode: 240
; IeeeMode: 1
; LDSByteSize: 1040 bytes/workgroup (compile time only)
; SGPRBlocks: 2
; VGPRBlocks: 4
; NumSGPRsForWavesPerEU: 22
; NumVGPRsForWavesPerEU: 35
; Occupancy: 16
; WaveLimiterHint : 0
; COMPUTE_PGM_RSRC2:SCRATCH_EN: 0
; COMPUTE_PGM_RSRC2:USER_SGPR: 15
; COMPUTE_PGM_RSRC2:TRAP_HANDLER: 0
; COMPUTE_PGM_RSRC2:TGID_X_EN: 1
; COMPUTE_PGM_RSRC2:TGID_Y_EN: 0
; COMPUTE_PGM_RSRC2:TGID_Z_EN: 0
; COMPUTE_PGM_RSRC2:TIDIG_COMP_CNT: 0
	.section	.text._ZN9rocsparseL42csr2bsr_wavefront_per_row_multipass_kernelILj256ELj64ELj8EiliEEv20rocsparse_direction_T4_S2_S2_S2_S2_21rocsparse_index_base_PKT2_PKT3_PKS2_S3_PS4_PS7_PS2_,"axG",@progbits,_ZN9rocsparseL42csr2bsr_wavefront_per_row_multipass_kernelILj256ELj64ELj8EiliEEv20rocsparse_direction_T4_S2_S2_S2_S2_21rocsparse_index_base_PKT2_PKT3_PKS2_S3_PS4_PS7_PS2_,comdat
	.globl	_ZN9rocsparseL42csr2bsr_wavefront_per_row_multipass_kernelILj256ELj64ELj8EiliEEv20rocsparse_direction_T4_S2_S2_S2_S2_21rocsparse_index_base_PKT2_PKT3_PKS2_S3_PS4_PS7_PS2_ ; -- Begin function _ZN9rocsparseL42csr2bsr_wavefront_per_row_multipass_kernelILj256ELj64ELj8EiliEEv20rocsparse_direction_T4_S2_S2_S2_S2_21rocsparse_index_base_PKT2_PKT3_PKS2_S3_PS4_PS7_PS2_
	.p2align	8
	.type	_ZN9rocsparseL42csr2bsr_wavefront_per_row_multipass_kernelILj256ELj64ELj8EiliEEv20rocsparse_direction_T4_S2_S2_S2_S2_21rocsparse_index_base_PKT2_PKT3_PKS2_S3_PS4_PS7_PS2_,@function
_ZN9rocsparseL42csr2bsr_wavefront_per_row_multipass_kernelILj256ELj64ELj8EiliEEv20rocsparse_direction_T4_S2_S2_S2_S2_21rocsparse_index_base_PKT2_PKT3_PKS2_S3_PS4_PS7_PS2_: ; @_ZN9rocsparseL42csr2bsr_wavefront_per_row_multipass_kernelILj256ELj64ELj8EiliEEv20rocsparse_direction_T4_S2_S2_S2_S2_21rocsparse_index_base_PKT2_PKT3_PKS2_S3_PS4_PS7_PS2_
; %bb.0:
	s_clause 0x1
	s_load_b128 s[4:7], s[0:1], 0xc
	s_load_b64 s[10:11], s[0:1], 0x0
	v_lshrrev_b32_e32 v20, 6, v0
	v_bfe_u32 v11, v0, 3, 3
	s_load_b64 s[8:9], s[0:1], 0x28
	v_mov_b32_e32 v1, 0
	v_mov_b32_e32 v2, 0
	v_lshl_or_b32 v5, s15, 2, v20
	s_delay_alu instid0(VALU_DEP_2) | instskip(SKIP_1) | instid1(VALU_DEP_2)
	v_dual_mov_b32 v8, v2 :: v_dual_mov_b32 v7, v1
	s_waitcnt lgkmcnt(0)
	v_mad_u64_u32 v[3:4], null, v5, s6, v[11:12]
	v_cmp_gt_i32_e32 vcc_lo, s6, v11
	s_delay_alu instid0(VALU_DEP_2) | instskip(NEXT) | instid1(VALU_DEP_1)
	v_cmp_gt_i32_e64 s2, s11, v3
	s_and_b32 s3, vcc_lo, s2
	s_delay_alu instid0(SALU_CYCLE_1)
	s_and_saveexec_b32 s11, s3
	s_cbranch_execz .LBB11_2
; %bb.1:
	v_ashrrev_i32_e32 v4, 31, v3
	s_delay_alu instid0(VALU_DEP_1) | instskip(NEXT) | instid1(VALU_DEP_1)
	v_lshlrev_b64 v[6:7], 3, v[3:4]
	v_add_co_u32 v6, s2, s8, v6
	s_delay_alu instid0(VALU_DEP_1) | instskip(SKIP_3) | instid1(VALU_DEP_1)
	v_add_co_ci_u32_e64 v7, s2, s9, v7, s2
	global_load_b64 v[7:8], v[6:7], off
	s_waitcnt vmcnt(0)
	v_sub_co_u32 v7, s2, v7, s7
	v_subrev_co_ci_u32_e64 v8, s2, 0, v8, s2
.LBB11_2:
	s_or_b32 exec_lo, exec_lo, s11
	s_and_saveexec_b32 s11, s3
	s_cbranch_execz .LBB11_4
; %bb.3:
	v_ashrrev_i32_e32 v4, 31, v3
	s_delay_alu instid0(VALU_DEP_1) | instskip(NEXT) | instid1(VALU_DEP_1)
	v_lshlrev_b64 v[1:2], 3, v[3:4]
	v_add_co_u32 v1, s2, s8, v1
	s_delay_alu instid0(VALU_DEP_1) | instskip(SKIP_3) | instid1(VALU_DEP_1)
	v_add_co_ci_u32_e64 v2, s2, s9, v2, s2
	global_load_b64 v[1:2], v[1:2], off offset:8
	s_waitcnt vmcnt(0)
	v_sub_co_u32 v1, s2, v1, s7
	v_subrev_co_ci_u32_e64 v2, s2, 0, v2, s2
.LBB11_4:
	s_or_b32 exec_lo, exec_lo, s11
	s_load_b32 s12, s[0:1], 0x38
	v_mov_b32_e32 v3, 0
	v_mov_b32_e32 v4, 0
	s_mov_b32 s3, exec_lo
	v_cmpx_gt_i32_e64 s4, v5
	s_cbranch_execz .LBB11_6
; %bb.5:
	s_load_b64 s[8:9], s[0:1], 0x48
	v_ashrrev_i32_e32 v6, 31, v5
	s_delay_alu instid0(VALU_DEP_1) | instskip(SKIP_1) | instid1(VALU_DEP_1)
	v_lshlrev_b64 v[3:4], 3, v[5:6]
	s_waitcnt lgkmcnt(0)
	v_add_co_u32 v3, s2, s8, v3
	s_delay_alu instid0(VALU_DEP_1) | instskip(SKIP_3) | instid1(VALU_DEP_1)
	v_add_co_ci_u32_e64 v4, s2, s9, v4, s2
	global_load_b64 v[3:4], v[3:4], off
	s_waitcnt vmcnt(0)
	v_sub_co_u32 v3, s2, v3, s12
	v_subrev_co_ci_u32_e64 v4, s2, 0, v4, s2
.LBB11_6:
	s_or_b32 exec_lo, exec_lo, s3
	s_cmp_lt_i32 s5, 1
	s_cbranch_scc1 .LBB11_21
; %bb.7:
	v_dual_mov_b32 v6, 0 :: v_dual_and_b32 v21, 7, v0
	s_load_b64 s[14:15], s[0:1], 0x40
	v_lshlrev_b32_e32 v14, 2, v11
	v_mbcnt_lo_u32_b32 v17, -1, 0
	s_delay_alu instid0(VALU_DEP_3)
	v_mul_lo_u32 v5, v21, s6
	v_cmp_gt_u32_e64 s2, s6, v21
	v_lshlrev_b32_e32 v15, 2, v21
	v_mov_b32_e32 v33, 1
	v_xor_b32_e32 v19, 1, v17
	v_or_b32_e32 v23, 32, v17
	s_and_b32 s4, vcc_lo, s2
	s_load_b64 s[2:3], s[0:1], 0x50
	v_lshlrev_b64 v[9:10], 2, v[5:6]
	v_mul_lo_u32 v5, v11, s6
	s_load_b64 s[8:9], s[0:1], 0x30
	s_cmp_eq_u32 s10, 0
	s_load_b64 s[10:11], s[0:1], 0x20
	v_xor_b32_e32 v24, 16, v17
	v_xor_b32_e32 v25, 8, v17
	v_lshl_or_b32 v22, v17, 2, 28
	s_mov_b32 s1, 0
	v_lshlrev_b64 v[12:13], 2, v[5:6]
	s_waitcnt lgkmcnt(0)
	v_add_co_u32 v5, vcc_lo, s14, v9
	v_add_co_ci_u32_e32 v9, vcc_lo, s15, v10, vcc_lo
	s_delay_alu instid0(VALU_DEP_3) | instskip(NEXT) | instid1(VALU_DEP_4)
	v_add_co_u32 v10, vcc_lo, s14, v12
	v_add_co_ci_u32_e32 v12, vcc_lo, s15, v13, vcc_lo
	s_delay_alu instid0(VALU_DEP_4) | instskip(NEXT) | instid1(VALU_DEP_4)
	v_add_co_u32 v13, vcc_lo, v5, v14
	v_add_co_ci_u32_e32 v14, vcc_lo, 0, v9, vcc_lo
	s_delay_alu instid0(VALU_DEP_4) | instskip(NEXT) | instid1(VALU_DEP_4)
	v_add_co_u32 v15, vcc_lo, v10, v15
	v_add_co_ci_u32_e32 v12, vcc_lo, 0, v12, vcc_lo
	s_cselect_b32 vcc_lo, -1, 0
	s_abs_i32 s13, s6
	s_delay_alu instid0(VALU_DEP_2)
	v_dual_cndmask_b32 v31, v13, v15 :: v_dual_and_b32 v16, 0xc0, v0
	v_cvt_f32_u32_e32 v5, s13
	s_sub_i32 s14, 0, s13
	v_mov_b32_e32 v9, 0
	v_bfrev_b32_e32 v0, 0.5
	v_mov_b32_e32 v10, 0
	v_rcp_iflag_f32_e32 v18, v5
	v_lshl_or_b32 v5, v11, 3, v16
	v_xor_b32_e32 v11, 4, v17
	v_xor_b32_e32 v16, 2, v17
	v_cndmask_b32_e32 v30, v14, v12, vcc_lo
	s_mul_i32 s15, s6, s6
	v_or_b32_e32 v26, v5, v21
	v_cmp_gt_i32_e64 s0, 32, v11
	s_ashr_i32 s16, s6, 31
	s_delay_alu instid0(VALU_DEP_1) | instskip(SKIP_1) | instid1(VALU_DEP_1)
	v_cndmask_b32_e64 v11, v17, v11, s0
	v_cmp_gt_i32_e64 s0, 32, v16
	v_cndmask_b32_e64 v16, v17, v16, s0
	v_cmp_gt_i32_e64 s0, 32, v19
	v_mul_f32_e32 v18, 0x4f7ffffe, v18
	s_delay_alu instid0(VALU_DEP_2) | instskip(SKIP_1) | instid1(VALU_DEP_1)
	v_cndmask_b32_e64 v19, v17, v19, s0
	v_cmp_gt_i32_e64 s0, 32, v23
	v_cndmask_b32_e64 v28, v17, v23, s0
	v_cmp_gt_i32_e64 s0, 32, v24
	v_lshlrev_b32_e32 v23, 2, v26
	v_lshlrev_b32_e32 v26, 2, v19
	s_delay_alu instid0(VALU_DEP_3) | instskip(SKIP_2) | instid1(VALU_DEP_2)
	v_cndmask_b32_e64 v29, v17, v24, s0
	v_cmp_gt_i32_e64 s0, 32, v25
	v_lshlrev_b32_e32 v24, 2, v11
	v_cndmask_b32_e64 v17, v17, v25, s0
	v_lshlrev_b32_e32 v25, 2, v16
	v_cvt_u32_f32_e32 v18, v18
	s_delay_alu instid0(VALU_DEP_1) | instskip(SKIP_1) | instid1(VALU_DEP_1)
	v_mul_lo_u32 v27, s14, v18
	s_mul_hi_u32 s14, s6, s6
	v_mul_hi_u32 v11, v18, v27
	v_lshlrev_b32_e32 v27, 2, v28
	v_lshlrev_b32_e32 v28, 2, v29
	;; [unrolled: 1-line block ×3, first 2 shown]
	s_delay_alu instid0(VALU_DEP_4)
	v_add_nc_u32_e32 v32, v18, v11
	s_branch .LBB11_10
.LBB11_8:                               ;   in Loop: Header=BB11_10 Depth=1
	s_or_b32 exec_lo, exec_lo, s17
	v_mov_b32_e32 v10, 1
	v_mov_b32_e32 v11, 0
.LBB11_9:                               ;   in Loop: Header=BB11_10 Depth=1
	s_or_b32 exec_lo, exec_lo, s0
	ds_bpermute_b32 v9, v27, v34
	v_add_co_u32 v3, s0, v10, v3
	s_delay_alu instid0(VALU_DEP_1)
	v_add_co_ci_u32_e64 v4, s0, v11, v4, s0
	s_waitcnt lgkmcnt(0)
	s_waitcnt_vscnt null, 0x0
	buffer_gl0_inv
	buffer_gl0_inv
	v_min_i32_e32 v9, v9, v34
	ds_bpermute_b32 v12, v28, v9
	s_waitcnt lgkmcnt(0)
	v_min_i32_e32 v9, v12, v9
	ds_bpermute_b32 v12, v29, v9
	s_waitcnt lgkmcnt(0)
	;; [unrolled: 3-line block ×6, first 2 shown]
	v_cmp_le_i32_e32 vcc_lo, s5, v9
	v_ashrrev_i32_e32 v10, 31, v9
	s_or_b32 s1, vcc_lo, s1
	s_delay_alu instid0(SALU_CYCLE_1)
	s_and_not1_b32 exec_lo, exec_lo, s1
	s_cbranch_execz .LBB11_21
.LBB11_10:                              ; =>This Loop Header: Depth=1
                                        ;     Child Loop BB11_13 Depth 2
	v_add_co_u32 v7, vcc_lo, v7, v21
	v_mov_b32_e32 v16, v2
	v_add_co_ci_u32_e32 v8, vcc_lo, 0, v8, vcc_lo
	v_dual_mov_b32 v34, s5 :: v_dual_mov_b32 v15, v1
	s_mov_b32 s17, exec_lo
	ds_store_b8 v20, v6 offset:1024
	ds_store_b32 v23, v6
	s_waitcnt lgkmcnt(0)
	buffer_gl0_inv
	v_cmpx_lt_i64_e64 v[7:8], v[1:2]
	s_cbranch_execz .LBB11_18
; %bb.11:                               ;   in Loop: Header=BB11_10 Depth=1
	v_lshlrev_b64 v[13:14], 2, v[7:8]
	v_mov_b32_e32 v16, v2
	v_dual_mov_b32 v34, s5 :: v_dual_mov_b32 v15, v1
	s_mov_b32 s18, 0
	s_delay_alu instid0(VALU_DEP_3) | instskip(NEXT) | instid1(VALU_DEP_4)
	v_add_co_u32 v11, vcc_lo, s10, v13
	v_add_co_ci_u32_e32 v12, vcc_lo, s11, v14, vcc_lo
	v_add_co_u32 v13, vcc_lo, s8, v13
	v_add_co_ci_u32_e32 v14, vcc_lo, s9, v14, vcc_lo
	s_branch .LBB11_13
.LBB11_12:                              ;   in Loop: Header=BB11_13 Depth=2
	s_or_b32 exec_lo, exec_lo, s0
	v_add_co_u32 v7, s0, v7, 8
	s_delay_alu instid0(VALU_DEP_1) | instskip(SKIP_2) | instid1(VALU_DEP_2)
	v_add_co_ci_u32_e64 v8, s0, 0, v8, s0
	s_xor_b32 s19, vcc_lo, -1
	v_add_co_u32 v11, vcc_lo, v11, 32
	v_cmp_ge_i64_e64 s0, v[7:8], v[1:2]
	v_add_co_ci_u32_e32 v12, vcc_lo, 0, v12, vcc_lo
	v_add_co_u32 v13, vcc_lo, v13, 32
	v_add_co_ci_u32_e32 v14, vcc_lo, 0, v14, vcc_lo
	s_delay_alu instid0(VALU_DEP_4) | instskip(NEXT) | instid1(SALU_CYCLE_1)
	s_or_b32 s0, s19, s0
	s_and_b32 s0, exec_lo, s0
	s_delay_alu instid0(SALU_CYCLE_1) | instskip(NEXT) | instid1(SALU_CYCLE_1)
	s_or_b32 s18, s0, s18
	s_and_not1_b32 exec_lo, exec_lo, s18
	s_cbranch_execz .LBB11_17
.LBB11_13:                              ;   Parent Loop BB11_10 Depth=1
                                        ; =>  This Inner Loop Header: Depth=2
	global_load_b32 v17, v[13:14], off
	s_waitcnt vmcnt(0)
	v_subrev_nc_u32_e32 v35, s7, v17
	s_delay_alu instid0(VALU_DEP_1) | instskip(NEXT) | instid1(VALU_DEP_1)
	v_sub_nc_u32_e32 v17, 0, v35
	v_max_i32_e32 v17, v35, v17
	s_delay_alu instid0(VALU_DEP_1) | instskip(NEXT) | instid1(VALU_DEP_1)
	v_mul_hi_u32 v18, v17, v32
	v_mul_lo_u32 v19, v18, s13
	s_delay_alu instid0(VALU_DEP_1) | instskip(SKIP_1) | instid1(VALU_DEP_2)
	v_sub_nc_u32_e32 v17, v17, v19
	v_add_nc_u32_e32 v19, 1, v18
	v_subrev_nc_u32_e32 v36, s13, v17
	v_cmp_le_u32_e32 vcc_lo, s13, v17
	s_delay_alu instid0(VALU_DEP_2) | instskip(SKIP_1) | instid1(VALU_DEP_2)
	v_dual_cndmask_b32 v18, v18, v19 :: v_dual_cndmask_b32 v17, v17, v36
	v_ashrrev_i32_e32 v19, 31, v35
	v_add_nc_u32_e32 v36, 1, v18
	s_delay_alu instid0(VALU_DEP_3) | instskip(NEXT) | instid1(VALU_DEP_3)
	v_cmp_le_u32_e32 vcc_lo, s13, v17
	v_xor_b32_e32 v19, s16, v19
	s_delay_alu instid0(VALU_DEP_3) | instskip(NEXT) | instid1(VALU_DEP_1)
	v_cndmask_b32_e32 v17, v18, v36, vcc_lo
	v_xor_b32_e32 v17, v17, v19
	s_delay_alu instid0(VALU_DEP_1) | instskip(NEXT) | instid1(VALU_DEP_1)
	v_sub_nc_u32_e32 v17, v17, v19
	v_ashrrev_i32_e32 v18, 31, v17
	s_delay_alu instid0(VALU_DEP_1) | instskip(SKIP_2) | instid1(VALU_DEP_2)
	v_cmp_eq_u64_e32 vcc_lo, v[9:10], v[17:18]
	v_cmp_ne_u64_e64 s0, v[9:10], v[17:18]
	v_dual_mov_b32 v19, v16 :: v_dual_mov_b32 v18, v15
	s_and_saveexec_b32 s19, s0
	s_delay_alu instid0(SALU_CYCLE_1)
	s_xor_b32 s0, exec_lo, s19
; %bb.14:                               ;   in Loop: Header=BB11_13 Depth=2
	v_min_i32_e32 v34, v17, v34
                                        ; implicit-def: $vgpr17
                                        ; implicit-def: $vgpr35
                                        ; implicit-def: $vgpr18_vgpr19
; %bb.15:                               ;   in Loop: Header=BB11_13 Depth=2
	s_or_saveexec_b32 s0, s0
	v_dual_mov_b32 v16, v8 :: v_dual_mov_b32 v15, v7
	s_xor_b32 exec_lo, exec_lo, s0
	s_cbranch_execz .LBB11_12
; %bb.16:                               ;   in Loop: Header=BB11_13 Depth=2
	global_load_b32 v36, v[11:12], off
	v_mul_lo_u32 v15, v17, s6
	s_delay_alu instid0(VALU_DEP_1) | instskip(NEXT) | instid1(VALU_DEP_1)
	v_sub_nc_u32_e32 v15, v35, v15
	v_add_lshl_u32 v17, v15, v5, 2
	v_dual_mov_b32 v15, v18 :: v_dual_mov_b32 v16, v19
	ds_store_b8 v20, v33 offset:1024
	s_waitcnt vmcnt(0)
	ds_store_b32 v17, v36
	s_branch .LBB11_12
.LBB11_17:                              ;   in Loop: Header=BB11_10 Depth=1
	s_or_b32 exec_lo, exec_lo, s18
.LBB11_18:                              ;   in Loop: Header=BB11_10 Depth=1
	s_delay_alu instid0(SALU_CYCLE_1)
	s_or_b32 exec_lo, exec_lo, s17
	ds_bpermute_b32 v7, v24, v15
	ds_bpermute_b32 v8, v24, v16
	s_waitcnt lgkmcnt(0)
	buffer_gl0_inv
	ds_load_u8 v12, v20 offset:1024
	s_mov_b32 s0, exec_lo
	v_cmp_lt_i64_e32 vcc_lo, v[7:8], v[15:16]
	s_waitcnt lgkmcnt(0)
	v_and_b32_e32 v12, 1, v12
	v_dual_cndmask_b32 v8, v16, v8 :: v_dual_cndmask_b32 v7, v15, v7
	ds_bpermute_b32 v11, v25, v8
	ds_bpermute_b32 v10, v25, v7
	s_waitcnt lgkmcnt(0)
	v_cmp_lt_i64_e32 vcc_lo, v[10:11], v[7:8]
	v_dual_cndmask_b32 v8, v8, v11 :: v_dual_cndmask_b32 v7, v7, v10
	ds_bpermute_b32 v11, v26, v8
	ds_bpermute_b32 v10, v26, v7
	s_waitcnt lgkmcnt(0)
	v_cmp_lt_i64_e32 vcc_lo, v[10:11], v[7:8]
	v_dual_cndmask_b32 v8, v8, v11 :: v_dual_cndmask_b32 v7, v7, v10
	v_mov_b32_e32 v10, 0
	v_mov_b32_e32 v11, 0
	ds_bpermute_b32 v8, v22, v8
	ds_bpermute_b32 v7, v22, v7
	v_cmpx_eq_u32_e32 1, v12
	s_cbranch_execz .LBB11_9
; %bb.19:                               ;   in Loop: Header=BB11_10 Depth=1
	v_lshlrev_b64 v[10:11], 2, v[3:4]
	v_add_nc_u32_e32 v12, s12, v9
	s_delay_alu instid0(VALU_DEP_2) | instskip(NEXT) | instid1(VALU_DEP_3)
	v_add_co_u32 v9, vcc_lo, s2, v10
	v_add_co_ci_u32_e32 v10, vcc_lo, s3, v11, vcc_lo
	global_store_b32 v[9:10], v12, off
	s_and_saveexec_b32 s17, s4
	s_cbranch_execz .LBB11_8
; %bb.20:                               ;   in Loop: Header=BB11_10 Depth=1
	v_mul_lo_u32 v11, s14, v3
	v_mul_lo_u32 v12, s15, v4
	v_mad_u64_u32 v[9:10], null, s15, v3, 0
	ds_load_b32 v13, v23
	v_add3_u32 v10, v10, v12, v11
	s_delay_alu instid0(VALU_DEP_1) | instskip(NEXT) | instid1(VALU_DEP_1)
	v_lshlrev_b64 v[9:10], 2, v[9:10]
	v_add_co_u32 v9, vcc_lo, v31, v9
	s_delay_alu instid0(VALU_DEP_2)
	v_add_co_ci_u32_e32 v10, vcc_lo, v30, v10, vcc_lo
	s_waitcnt lgkmcnt(0)
	global_store_b32 v[9:10], v13, off
	s_branch .LBB11_8
.LBB11_21:
	s_endpgm
	.section	.rodata,"a",@progbits
	.p2align	6, 0x0
	.amdhsa_kernel _ZN9rocsparseL42csr2bsr_wavefront_per_row_multipass_kernelILj256ELj64ELj8EiliEEv20rocsparse_direction_T4_S2_S2_S2_S2_21rocsparse_index_base_PKT2_PKT3_PKS2_S3_PS4_PS7_PS2_
		.amdhsa_group_segment_fixed_size 1028
		.amdhsa_private_segment_fixed_size 0
		.amdhsa_kernarg_size 88
		.amdhsa_user_sgpr_count 15
		.amdhsa_user_sgpr_dispatch_ptr 0
		.amdhsa_user_sgpr_queue_ptr 0
		.amdhsa_user_sgpr_kernarg_segment_ptr 1
		.amdhsa_user_sgpr_dispatch_id 0
		.amdhsa_user_sgpr_private_segment_size 0
		.amdhsa_wavefront_size32 1
		.amdhsa_uses_dynamic_stack 0
		.amdhsa_enable_private_segment 0
		.amdhsa_system_sgpr_workgroup_id_x 1
		.amdhsa_system_sgpr_workgroup_id_y 0
		.amdhsa_system_sgpr_workgroup_id_z 0
		.amdhsa_system_sgpr_workgroup_info 0
		.amdhsa_system_vgpr_workitem_id 0
		.amdhsa_next_free_vgpr 37
		.amdhsa_next_free_sgpr 20
		.amdhsa_reserve_vcc 1
		.amdhsa_float_round_mode_32 0
		.amdhsa_float_round_mode_16_64 0
		.amdhsa_float_denorm_mode_32 3
		.amdhsa_float_denorm_mode_16_64 3
		.amdhsa_dx10_clamp 1
		.amdhsa_ieee_mode 1
		.amdhsa_fp16_overflow 0
		.amdhsa_workgroup_processor_mode 1
		.amdhsa_memory_ordered 1
		.amdhsa_forward_progress 0
		.amdhsa_shared_vgpr_count 0
		.amdhsa_exception_fp_ieee_invalid_op 0
		.amdhsa_exception_fp_denorm_src 0
		.amdhsa_exception_fp_ieee_div_zero 0
		.amdhsa_exception_fp_ieee_overflow 0
		.amdhsa_exception_fp_ieee_underflow 0
		.amdhsa_exception_fp_ieee_inexact 0
		.amdhsa_exception_int_div_zero 0
	.end_amdhsa_kernel
	.section	.text._ZN9rocsparseL42csr2bsr_wavefront_per_row_multipass_kernelILj256ELj64ELj8EiliEEv20rocsparse_direction_T4_S2_S2_S2_S2_21rocsparse_index_base_PKT2_PKT3_PKS2_S3_PS4_PS7_PS2_,"axG",@progbits,_ZN9rocsparseL42csr2bsr_wavefront_per_row_multipass_kernelILj256ELj64ELj8EiliEEv20rocsparse_direction_T4_S2_S2_S2_S2_21rocsparse_index_base_PKT2_PKT3_PKS2_S3_PS4_PS7_PS2_,comdat
.Lfunc_end11:
	.size	_ZN9rocsparseL42csr2bsr_wavefront_per_row_multipass_kernelILj256ELj64ELj8EiliEEv20rocsparse_direction_T4_S2_S2_S2_S2_21rocsparse_index_base_PKT2_PKT3_PKS2_S3_PS4_PS7_PS2_, .Lfunc_end11-_ZN9rocsparseL42csr2bsr_wavefront_per_row_multipass_kernelILj256ELj64ELj8EiliEEv20rocsparse_direction_T4_S2_S2_S2_S2_21rocsparse_index_base_PKT2_PKT3_PKS2_S3_PS4_PS7_PS2_
                                        ; -- End function
	.section	.AMDGPU.csdata,"",@progbits
; Kernel info:
; codeLenInByte = 1792
; NumSgprs: 22
; NumVgprs: 37
; ScratchSize: 0
; MemoryBound: 0
; FloatMode: 240
; IeeeMode: 1
; LDSByteSize: 1028 bytes/workgroup (compile time only)
; SGPRBlocks: 2
; VGPRBlocks: 4
; NumSGPRsForWavesPerEU: 22
; NumVGPRsForWavesPerEU: 37
; Occupancy: 16
; WaveLimiterHint : 0
; COMPUTE_PGM_RSRC2:SCRATCH_EN: 0
; COMPUTE_PGM_RSRC2:USER_SGPR: 15
; COMPUTE_PGM_RSRC2:TRAP_HANDLER: 0
; COMPUTE_PGM_RSRC2:TGID_X_EN: 1
; COMPUTE_PGM_RSRC2:TGID_Y_EN: 0
; COMPUTE_PGM_RSRC2:TGID_Z_EN: 0
; COMPUTE_PGM_RSRC2:TIDIG_COMP_CNT: 0
	.section	.text._ZN9rocsparseL42csr2bsr_wavefront_per_row_multipass_kernelILj256ELj32ELj8EiliEEv20rocsparse_direction_T4_S2_S2_S2_S2_21rocsparse_index_base_PKT2_PKT3_PKS2_S3_PS4_PS7_PS2_,"axG",@progbits,_ZN9rocsparseL42csr2bsr_wavefront_per_row_multipass_kernelILj256ELj32ELj8EiliEEv20rocsparse_direction_T4_S2_S2_S2_S2_21rocsparse_index_base_PKT2_PKT3_PKS2_S3_PS4_PS7_PS2_,comdat
	.globl	_ZN9rocsparseL42csr2bsr_wavefront_per_row_multipass_kernelILj256ELj32ELj8EiliEEv20rocsparse_direction_T4_S2_S2_S2_S2_21rocsparse_index_base_PKT2_PKT3_PKS2_S3_PS4_PS7_PS2_ ; -- Begin function _ZN9rocsparseL42csr2bsr_wavefront_per_row_multipass_kernelILj256ELj32ELj8EiliEEv20rocsparse_direction_T4_S2_S2_S2_S2_21rocsparse_index_base_PKT2_PKT3_PKS2_S3_PS4_PS7_PS2_
	.p2align	8
	.type	_ZN9rocsparseL42csr2bsr_wavefront_per_row_multipass_kernelILj256ELj32ELj8EiliEEv20rocsparse_direction_T4_S2_S2_S2_S2_21rocsparse_index_base_PKT2_PKT3_PKS2_S3_PS4_PS7_PS2_,@function
_ZN9rocsparseL42csr2bsr_wavefront_per_row_multipass_kernelILj256ELj32ELj8EiliEEv20rocsparse_direction_T4_S2_S2_S2_S2_21rocsparse_index_base_PKT2_PKT3_PKS2_S3_PS4_PS7_PS2_: ; @_ZN9rocsparseL42csr2bsr_wavefront_per_row_multipass_kernelILj256ELj32ELj8EiliEEv20rocsparse_direction_T4_S2_S2_S2_S2_21rocsparse_index_base_PKT2_PKT3_PKS2_S3_PS4_PS7_PS2_
; %bb.0:
	s_clause 0x1
	s_load_b128 s[4:7], s[0:1], 0xc
	s_load_b64 s[12:13], s[0:1], 0x0
	v_lshrrev_b32_e32 v24, 5, v0
	v_bfe_u32 v9, v0, 2, 3
	s_load_b64 s[8:9], s[0:1], 0x28
	v_mov_b32_e32 v1, 0
	v_mov_b32_e32 v2, 0
	v_lshl_or_b32 v5, s15, 3, v24
	s_delay_alu instid0(VALU_DEP_2) | instskip(SKIP_1) | instid1(VALU_DEP_2)
	v_dual_mov_b32 v8, v2 :: v_dual_mov_b32 v7, v1
	s_waitcnt lgkmcnt(0)
	v_mad_u64_u32 v[3:4], null, v5, s6, v[9:10]
	v_cmp_gt_i32_e32 vcc_lo, s6, v9
	s_delay_alu instid0(VALU_DEP_2) | instskip(NEXT) | instid1(VALU_DEP_1)
	v_cmp_gt_i32_e64 s2, s13, v3
	s_and_b32 s3, vcc_lo, s2
	s_delay_alu instid0(SALU_CYCLE_1)
	s_and_saveexec_b32 s10, s3
	s_cbranch_execz .LBB12_2
; %bb.1:
	v_ashrrev_i32_e32 v4, 31, v3
	s_delay_alu instid0(VALU_DEP_1) | instskip(NEXT) | instid1(VALU_DEP_1)
	v_lshlrev_b64 v[6:7], 3, v[3:4]
	v_add_co_u32 v6, s2, s8, v6
	s_delay_alu instid0(VALU_DEP_1) | instskip(SKIP_3) | instid1(VALU_DEP_1)
	v_add_co_ci_u32_e64 v7, s2, s9, v7, s2
	global_load_b64 v[7:8], v[6:7], off
	s_waitcnt vmcnt(0)
	v_sub_co_u32 v7, s2, v7, s7
	v_subrev_co_ci_u32_e64 v8, s2, 0, v8, s2
.LBB12_2:
	s_or_b32 exec_lo, exec_lo, s10
	s_and_saveexec_b32 s10, s3
	s_cbranch_execz .LBB12_4
; %bb.3:
	v_ashrrev_i32_e32 v4, 31, v3
	s_delay_alu instid0(VALU_DEP_1) | instskip(NEXT) | instid1(VALU_DEP_1)
	v_lshlrev_b64 v[1:2], 3, v[3:4]
	v_add_co_u32 v1, s2, s8, v1
	s_delay_alu instid0(VALU_DEP_1) | instskip(SKIP_3) | instid1(VALU_DEP_1)
	v_add_co_ci_u32_e64 v2, s2, s9, v2, s2
	global_load_b64 v[1:2], v[1:2], off offset:8
	s_waitcnt vmcnt(0)
	v_sub_co_u32 v1, s2, v1, s7
	v_subrev_co_ci_u32_e64 v2, s2, 0, v2, s2
.LBB12_4:
	s_or_b32 exec_lo, exec_lo, s10
	s_load_b32 s13, s[0:1], 0x38
	v_mov_b32_e32 v3, 0
	v_mov_b32_e32 v4, 0
	s_mov_b32 s3, exec_lo
	v_cmpx_gt_i32_e64 s4, v5
	s_cbranch_execz .LBB12_6
; %bb.5:
	s_load_b64 s[8:9], s[0:1], 0x48
	v_ashrrev_i32_e32 v6, 31, v5
	s_delay_alu instid0(VALU_DEP_1) | instskip(SKIP_1) | instid1(VALU_DEP_1)
	v_lshlrev_b64 v[3:4], 3, v[5:6]
	s_waitcnt lgkmcnt(0)
	v_add_co_u32 v3, s2, s8, v3
	s_delay_alu instid0(VALU_DEP_1) | instskip(SKIP_3) | instid1(VALU_DEP_1)
	v_add_co_ci_u32_e64 v4, s2, s9, v4, s2
	global_load_b64 v[3:4], v[3:4], off
	s_waitcnt vmcnt(0)
	v_sub_co_u32 v3, s2, v3, s13
	v_subrev_co_ci_u32_e64 v4, s2, 0, v4, s2
.LBB12_6:
	s_or_b32 exec_lo, exec_lo, s3
	s_cmp_lt_i32 s5, 1
	s_cbranch_scc1 .LBB12_30
; %bb.7:
	v_mbcnt_lo_u32_b32 v11, -1, 0
	s_load_b64 s[2:3], s[0:1], 0x20
	v_lshlrev_b32_e32 v5, 6, v24
	s_clause 0x2
	s_load_b64 s[8:9], s[0:1], 0x50
	s_load_b64 s[18:19], s[0:1], 0x40
	;; [unrolled: 1-line block ×3, first 2 shown]
	s_cmp_lg_u32 s12, 0
	v_xor_b32_e32 v6, 2, v11
	s_cselect_b32 s12, -1, 0
	s_abs_i32 s14, s6
	v_and_b32_e32 v0, 3, v0
	v_cvt_f32_u32_e32 v13, s14
	v_cmp_gt_i32_e64 s0, 32, v6
	s_sub_i32 s1, 0, s14
	v_lshl_or_b32 v28, v11, 2, 12
	v_or_b32_e32 v14, 4, v0
	s_mov_b32 s4, 0
	v_cndmask_b32_e64 v10, v11, v6, s0
	v_mov_b32_e32 v6, 0
	v_lshl_or_b32 v25, v9, 3, v5
	v_xor_b32_e32 v5, 1, v11
	s_mul_hi_u32 s15, s6, s6
	v_lshlrev_b32_e32 v26, 2, v10
	s_mul_i32 s16, s6, s6
	v_mov_b32_e32 v36, 0x7c
	v_cmp_gt_i32_e64 s0, 32, v5
	s_delay_alu instid0(VALU_DEP_1) | instskip(SKIP_1) | instid1(VALU_DEP_2)
	v_cndmask_b32_e64 v12, v11, v5, s0
	v_mul_lo_u32 v5, v9, s6
	v_lshlrev_b32_e32 v27, 2, v12
	v_rcp_iflag_f32_e32 v12, v13
	v_lshlrev_b32_e32 v13, 2, v9
	s_delay_alu instid0(VALU_DEP_3)
	v_lshlrev_b64 v[9:10], 2, v[5:6]
	v_xor_b32_e32 v5, 16, v11
	s_waitcnt_depctr 0xfff
	v_mul_f32_e32 v12, 0x4f7ffffe, v12
	s_waitcnt lgkmcnt(0)
	v_add_co_u32 v29, s0, s18, v13
	s_delay_alu instid0(VALU_DEP_1) | instskip(SKIP_1) | instid1(VALU_DEP_1)
	v_add_co_ci_u32_e64 v30, null, s19, 0, s0
	v_add_co_u32 v31, s0, s18, v9
	v_add_co_ci_u32_e64 v32, s0, s19, v10, s0
	v_cvt_u32_f32_e32 v10, v12
	v_xor_b32_e32 v9, 8, v11
	v_cmp_gt_i32_e64 s0, 32, v5
	v_xor_b32_e32 v12, 4, v11
	s_ashr_i32 s19, s6, 31
	v_mul_lo_u32 v13, s1, v10
	v_cmp_gt_u32_e64 s1, s6, v14
	v_cndmask_b32_e64 v5, v11, v5, s0
	v_cmp_gt_i32_e64 s0, 32, v9
	s_delay_alu instid0(VALU_DEP_3) | instskip(NEXT) | instid1(VALU_DEP_2)
	s_and_b32 s18, vcc_lo, s1
	v_lshlrev_b32_e32 v33, 2, v5
	v_mul_hi_u32 v13, v10, v13
	s_delay_alu instid0(VALU_DEP_3) | instskip(SKIP_1) | instid1(VALU_DEP_2)
	v_cndmask_b32_e64 v9, v11, v9, s0
	v_cmp_gt_i32_e64 s0, 32, v12
	v_lshlrev_b32_e32 v34, 2, v9
	s_delay_alu instid0(VALU_DEP_2)
	v_cndmask_b32_e64 v11, v11, v12, s0
	v_mov_b32_e32 v12, v6
	v_dual_mov_b32 v13, 0 :: v_dual_add_nc_u32 v38, v10, v13
	v_mul_lo_u32 v5, v0, s6
	v_or_b32_e32 v9, v25, v0
	v_dual_mov_b32 v14, 0 :: v_dual_lshlrev_b32 v35, 2, v11
	v_cmp_gt_u32_e64 s0, s6, v0
	s_delay_alu instid0(VALU_DEP_3) | instskip(SKIP_4) | instid1(VALU_DEP_3)
	v_lshlrev_b32_e32 v37, 2, v9
	v_lshl_add_u32 v11, s6, 2, v5
	v_lshlrev_b64 v[9:10], 2, v[5:6]
	v_mov_b32_e32 v5, 1
	s_and_b32 s17, s0, vcc_lo
	v_lshlrev_b64 v[11:12], 2, v[11:12]
	s_branch .LBB12_11
.LBB12_8:                               ;   in Loop: Header=BB12_11 Depth=1
	v_dual_mov_b32 v15, s1 :: v_dual_mov_b32 v14, s0
.LBB12_9:                               ;   in Loop: Header=BB12_11 Depth=1
	s_or_b32 exec_lo, exec_lo, s21
.LBB12_10:                              ;   in Loop: Header=BB12_11 Depth=1
	s_delay_alu instid0(SALU_CYCLE_1) | instskip(SKIP_2) | instid1(VALU_DEP_1)
	s_or_b32 exec_lo, exec_lo, s20
	ds_bpermute_b32 v13, v33, v39
	v_add_co_u32 v3, s0, v14, v3
	v_add_co_ci_u32_e64 v4, s0, v15, v4, s0
	s_waitcnt lgkmcnt(0)
	s_waitcnt_vscnt null, 0x0
	buffer_gl0_inv
	buffer_gl0_inv
	v_min_i32_e32 v13, v13, v39
	ds_bpermute_b32 v16, v34, v13
	s_waitcnt lgkmcnt(0)
	v_min_i32_e32 v13, v16, v13
	ds_bpermute_b32 v16, v35, v13
	s_waitcnt lgkmcnt(0)
	;; [unrolled: 3-line block ×5, first 2 shown]
	v_cmp_le_i32_e32 vcc_lo, s5, v13
	v_ashrrev_i32_e32 v14, 31, v13
	s_or_b32 s4, vcc_lo, s4
	s_delay_alu instid0(SALU_CYCLE_1)
	s_and_not1_b32 exec_lo, exec_lo, s4
	s_cbranch_execz .LBB12_30
.LBB12_11:                              ; =>This Loop Header: Depth=1
                                        ;     Child Loop BB12_14 Depth 2
	v_add_co_u32 v7, vcc_lo, v7, v0
	v_dual_mov_b32 v39, s5 :: v_dual_mov_b32 v20, v2
	v_add_co_ci_u32_e32 v8, vcc_lo, 0, v8, vcc_lo
	v_mov_b32_e32 v19, v1
	s_mov_b32 s1, exec_lo
	ds_store_b8 v24, v6 offset:2048
	ds_store_2addr_b32 v37, v6, v6 offset1:4
	s_waitcnt lgkmcnt(0)
	buffer_gl0_inv
	v_cmpx_lt_i64_e64 v[7:8], v[1:2]
	s_cbranch_execz .LBB12_19
; %bb.12:                               ;   in Loop: Header=BB12_11 Depth=1
	v_lshlrev_b64 v[17:18], 2, v[7:8]
	v_dual_mov_b32 v39, s5 :: v_dual_mov_b32 v20, v2
	v_mov_b32_e32 v19, v1
	s_mov_b32 s20, 0
	s_delay_alu instid0(VALU_DEP_3) | instskip(NEXT) | instid1(VALU_DEP_4)
	v_add_co_u32 v15, vcc_lo, s2, v17
	v_add_co_ci_u32_e32 v16, vcc_lo, s3, v18, vcc_lo
	v_add_co_u32 v17, vcc_lo, s10, v17
	v_add_co_ci_u32_e32 v18, vcc_lo, s11, v18, vcc_lo
	s_branch .LBB12_14
.LBB12_13:                              ;   in Loop: Header=BB12_14 Depth=2
	s_or_b32 exec_lo, exec_lo, s0
	v_add_co_u32 v7, s0, v7, 4
	s_delay_alu instid0(VALU_DEP_1) | instskip(SKIP_2) | instid1(VALU_DEP_2)
	v_add_co_ci_u32_e64 v8, s0, 0, v8, s0
	s_xor_b32 s21, vcc_lo, -1
	v_add_co_u32 v15, vcc_lo, v15, 16
	v_cmp_ge_i64_e64 s0, v[7:8], v[1:2]
	v_add_co_ci_u32_e32 v16, vcc_lo, 0, v16, vcc_lo
	v_add_co_u32 v17, vcc_lo, v17, 16
	v_add_co_ci_u32_e32 v18, vcc_lo, 0, v18, vcc_lo
	s_delay_alu instid0(VALU_DEP_4) | instskip(NEXT) | instid1(SALU_CYCLE_1)
	s_or_b32 s0, s21, s0
	s_and_b32 s0, exec_lo, s0
	s_delay_alu instid0(SALU_CYCLE_1) | instskip(NEXT) | instid1(SALU_CYCLE_1)
	s_or_b32 s20, s0, s20
	s_and_not1_b32 exec_lo, exec_lo, s20
	s_cbranch_execz .LBB12_18
.LBB12_14:                              ;   Parent Loop BB12_11 Depth=1
                                        ; =>  This Inner Loop Header: Depth=2
	global_load_b32 v21, v[17:18], off
	s_waitcnt vmcnt(0)
	v_subrev_nc_u32_e32 v40, s7, v21
	s_delay_alu instid0(VALU_DEP_1) | instskip(NEXT) | instid1(VALU_DEP_1)
	v_sub_nc_u32_e32 v21, 0, v40
	v_max_i32_e32 v21, v40, v21
	s_delay_alu instid0(VALU_DEP_1) | instskip(NEXT) | instid1(VALU_DEP_1)
	v_mul_hi_u32 v22, v21, v38
	v_mul_lo_u32 v23, v22, s14
	s_delay_alu instid0(VALU_DEP_1) | instskip(SKIP_1) | instid1(VALU_DEP_2)
	v_sub_nc_u32_e32 v21, v21, v23
	v_add_nc_u32_e32 v23, 1, v22
	v_subrev_nc_u32_e32 v41, s14, v21
	v_cmp_le_u32_e32 vcc_lo, s14, v21
	s_delay_alu instid0(VALU_DEP_2) | instskip(SKIP_1) | instid1(VALU_DEP_2)
	v_dual_cndmask_b32 v22, v22, v23 :: v_dual_cndmask_b32 v21, v21, v41
	v_ashrrev_i32_e32 v23, 31, v40
	v_add_nc_u32_e32 v41, 1, v22
	s_delay_alu instid0(VALU_DEP_3) | instskip(NEXT) | instid1(VALU_DEP_3)
	v_cmp_le_u32_e32 vcc_lo, s14, v21
	v_xor_b32_e32 v23, s19, v23
	s_delay_alu instid0(VALU_DEP_3) | instskip(NEXT) | instid1(VALU_DEP_1)
	v_cndmask_b32_e32 v21, v22, v41, vcc_lo
	v_xor_b32_e32 v21, v21, v23
	s_delay_alu instid0(VALU_DEP_1) | instskip(NEXT) | instid1(VALU_DEP_1)
	v_sub_nc_u32_e32 v21, v21, v23
	v_ashrrev_i32_e32 v22, 31, v21
	s_delay_alu instid0(VALU_DEP_1) | instskip(SKIP_2) | instid1(VALU_DEP_2)
	v_cmp_eq_u64_e32 vcc_lo, v[13:14], v[21:22]
	v_cmp_ne_u64_e64 s0, v[13:14], v[21:22]
	v_dual_mov_b32 v23, v20 :: v_dual_mov_b32 v22, v19
	s_and_saveexec_b32 s21, s0
	s_delay_alu instid0(SALU_CYCLE_1)
	s_xor_b32 s0, exec_lo, s21
; %bb.15:                               ;   in Loop: Header=BB12_14 Depth=2
	v_min_i32_e32 v39, v21, v39
                                        ; implicit-def: $vgpr21
                                        ; implicit-def: $vgpr40
                                        ; implicit-def: $vgpr22_vgpr23
; %bb.16:                               ;   in Loop: Header=BB12_14 Depth=2
	s_or_saveexec_b32 s0, s0
	v_dual_mov_b32 v20, v8 :: v_dual_mov_b32 v19, v7
	s_xor_b32 exec_lo, exec_lo, s0
	s_cbranch_execz .LBB12_13
; %bb.17:                               ;   in Loop: Header=BB12_14 Depth=2
	global_load_b32 v41, v[15:16], off
	v_mul_lo_u32 v19, v21, s6
	s_delay_alu instid0(VALU_DEP_1) | instskip(NEXT) | instid1(VALU_DEP_1)
	v_sub_nc_u32_e32 v19, v40, v19
	v_add_lshl_u32 v21, v25, v19, 2
	v_dual_mov_b32 v19, v22 :: v_dual_mov_b32 v20, v23
	ds_store_b8 v24, v5 offset:2048
	s_waitcnt vmcnt(0)
	ds_store_b32 v21, v41
	s_branch .LBB12_13
.LBB12_18:                              ;   in Loop: Header=BB12_11 Depth=1
	s_or_b32 exec_lo, exec_lo, s20
.LBB12_19:                              ;   in Loop: Header=BB12_11 Depth=1
	s_delay_alu instid0(SALU_CYCLE_1)
	s_or_b32 exec_lo, exec_lo, s1
	ds_bpermute_b32 v7, v26, v19
	ds_bpermute_b32 v8, v26, v20
	s_waitcnt lgkmcnt(0)
	buffer_gl0_inv
	ds_load_u8 v16, v24 offset:2048
	s_mov_b32 s20, exec_lo
	v_cmp_lt_i64_e32 vcc_lo, v[7:8], v[19:20]
	s_waitcnt lgkmcnt(0)
	v_and_b32_e32 v16, 1, v16
	v_dual_cndmask_b32 v8, v20, v8 :: v_dual_cndmask_b32 v7, v19, v7
	ds_bpermute_b32 v15, v27, v8
	ds_bpermute_b32 v14, v27, v7
	s_waitcnt lgkmcnt(0)
	v_cmp_lt_i64_e32 vcc_lo, v[14:15], v[7:8]
	v_dual_cndmask_b32 v8, v8, v15 :: v_dual_cndmask_b32 v7, v7, v14
	v_mov_b32_e32 v14, 0
	v_mov_b32_e32 v15, 0
	ds_bpermute_b32 v8, v28, v8
	ds_bpermute_b32 v7, v28, v7
	v_cmpx_eq_u32_e32 1, v16
	s_cbranch_execz .LBB12_10
; %bb.20:                               ;   in Loop: Header=BB12_11 Depth=1
	v_mul_lo_u32 v16, s15, v3
	v_mul_lo_u32 v17, s16, v4
	v_mad_u64_u32 v[14:15], null, s16, v3, 0
	v_add_nc_u32_e32 v21, s13, v13
	s_delay_alu instid0(VALU_DEP_2) | instskip(SKIP_1) | instid1(VALU_DEP_2)
	v_add3_u32 v15, v15, v17, v16
	v_lshlrev_b64 v[16:17], 2, v[3:4]
	v_lshlrev_b64 v[13:14], 2, v[14:15]
	s_delay_alu instid0(VALU_DEP_2) | instskip(NEXT) | instid1(VALU_DEP_3)
	v_add_co_u32 v19, vcc_lo, s8, v16
	v_add_co_ci_u32_e32 v20, vcc_lo, s9, v17, vcc_lo
	s_delay_alu instid0(VALU_DEP_3) | instskip(NEXT) | instid1(VALU_DEP_4)
	v_add_co_u32 v17, vcc_lo, v29, v13
	v_add_co_ci_u32_e32 v18, vcc_lo, v30, v14, vcc_lo
	v_add_co_u32 v13, vcc_lo, v31, v13
	v_add_co_ci_u32_e32 v16, vcc_lo, v32, v14, vcc_lo
	global_store_b32 v[19:20], v21, off
	s_and_saveexec_b32 s0, s17
	s_cbranch_execz .LBB12_24
; %bb.21:                               ;   in Loop: Header=BB12_11 Depth=1
	s_and_b32 vcc_lo, exec_lo, s12
	s_cbranch_vccz .LBB12_27
; %bb.22:                               ;   in Loop: Header=BB12_11 Depth=1
	ds_load_b32 v19, v37
	v_add_co_u32 v14, vcc_lo, v17, v9
	v_add_co_ci_u32_e32 v15, vcc_lo, v18, v10, vcc_lo
	s_waitcnt lgkmcnt(0)
	global_store_b32 v[14:15], v19, off
	s_cbranch_execnz .LBB12_24
.LBB12_23:                              ;   in Loop: Header=BB12_11 Depth=1
	ds_load_b32 v19, v37
	v_lshlrev_b32_e32 v14, 2, v0
	s_delay_alu instid0(VALU_DEP_1)
	v_add_co_u32 v14, vcc_lo, v13, v14
	v_add_co_ci_u32_e32 v15, vcc_lo, 0, v16, vcc_lo
	s_waitcnt lgkmcnt(0)
	global_store_b32 v[14:15], v19, off
.LBB12_24:                              ;   in Loop: Header=BB12_11 Depth=1
	s_or_b32 exec_lo, exec_lo, s0
	v_mov_b32_e32 v14, 1
	v_mov_b32_e32 v15, 0
	s_and_saveexec_b32 s21, s18
	s_cbranch_execz .LBB12_9
; %bb.25:                               ;   in Loop: Header=BB12_11 Depth=1
	s_and_not1_b32 vcc_lo, exec_lo, s12
	s_cbranch_vccnz .LBB12_28
; %bb.26:                               ;   in Loop: Header=BB12_11 Depth=1
	ds_load_b32 v19, v37 offset:16
	v_add_co_u32 v14, vcc_lo, v17, v11
	v_add_co_ci_u32_e32 v15, vcc_lo, v18, v12, vcc_lo
	s_mov_b64 s[0:1], 1
	s_waitcnt lgkmcnt(0)
	global_store_b32 v[14:15], v19, off
	s_cbranch_execnz .LBB12_8
	s_branch .LBB12_29
.LBB12_27:                              ;   in Loop: Header=BB12_11 Depth=1
	s_branch .LBB12_23
.LBB12_28:                              ;   in Loop: Header=BB12_11 Depth=1
                                        ; implicit-def: $sgpr0_sgpr1
.LBB12_29:                              ;   in Loop: Header=BB12_11 Depth=1
	ds_load_b32 v15, v37 offset:16
	v_lshlrev_b32_e32 v14, 2, v0
	s_mov_b64 s[0:1], 1
	s_delay_alu instid0(VALU_DEP_1)
	v_add_co_u32 v13, vcc_lo, v13, v14
	v_add_co_ci_u32_e32 v14, vcc_lo, 0, v16, vcc_lo
	s_waitcnt lgkmcnt(0)
	global_store_b32 v[13:14], v15, off offset:16
	s_branch .LBB12_8
.LBB12_30:
	s_endpgm
	.section	.rodata,"a",@progbits
	.p2align	6, 0x0
	.amdhsa_kernel _ZN9rocsparseL42csr2bsr_wavefront_per_row_multipass_kernelILj256ELj32ELj8EiliEEv20rocsparse_direction_T4_S2_S2_S2_S2_21rocsparse_index_base_PKT2_PKT3_PKS2_S3_PS4_PS7_PS2_
		.amdhsa_group_segment_fixed_size 2056
		.amdhsa_private_segment_fixed_size 0
		.amdhsa_kernarg_size 88
		.amdhsa_user_sgpr_count 15
		.amdhsa_user_sgpr_dispatch_ptr 0
		.amdhsa_user_sgpr_queue_ptr 0
		.amdhsa_user_sgpr_kernarg_segment_ptr 1
		.amdhsa_user_sgpr_dispatch_id 0
		.amdhsa_user_sgpr_private_segment_size 0
		.amdhsa_wavefront_size32 1
		.amdhsa_uses_dynamic_stack 0
		.amdhsa_enable_private_segment 0
		.amdhsa_system_sgpr_workgroup_id_x 1
		.amdhsa_system_sgpr_workgroup_id_y 0
		.amdhsa_system_sgpr_workgroup_id_z 0
		.amdhsa_system_sgpr_workgroup_info 0
		.amdhsa_system_vgpr_workitem_id 0
		.amdhsa_next_free_vgpr 42
		.amdhsa_next_free_sgpr 22
		.amdhsa_reserve_vcc 1
		.amdhsa_float_round_mode_32 0
		.amdhsa_float_round_mode_16_64 0
		.amdhsa_float_denorm_mode_32 3
		.amdhsa_float_denorm_mode_16_64 3
		.amdhsa_dx10_clamp 1
		.amdhsa_ieee_mode 1
		.amdhsa_fp16_overflow 0
		.amdhsa_workgroup_processor_mode 1
		.amdhsa_memory_ordered 1
		.amdhsa_forward_progress 0
		.amdhsa_shared_vgpr_count 0
		.amdhsa_exception_fp_ieee_invalid_op 0
		.amdhsa_exception_fp_denorm_src 0
		.amdhsa_exception_fp_ieee_div_zero 0
		.amdhsa_exception_fp_ieee_overflow 0
		.amdhsa_exception_fp_ieee_underflow 0
		.amdhsa_exception_fp_ieee_inexact 0
		.amdhsa_exception_int_div_zero 0
	.end_amdhsa_kernel
	.section	.text._ZN9rocsparseL42csr2bsr_wavefront_per_row_multipass_kernelILj256ELj32ELj8EiliEEv20rocsparse_direction_T4_S2_S2_S2_S2_21rocsparse_index_base_PKT2_PKT3_PKS2_S3_PS4_PS7_PS2_,"axG",@progbits,_ZN9rocsparseL42csr2bsr_wavefront_per_row_multipass_kernelILj256ELj32ELj8EiliEEv20rocsparse_direction_T4_S2_S2_S2_S2_21rocsparse_index_base_PKT2_PKT3_PKS2_S3_PS4_PS7_PS2_,comdat
.Lfunc_end12:
	.size	_ZN9rocsparseL42csr2bsr_wavefront_per_row_multipass_kernelILj256ELj32ELj8EiliEEv20rocsparse_direction_T4_S2_S2_S2_S2_21rocsparse_index_base_PKT2_PKT3_PKS2_S3_PS4_PS7_PS2_, .Lfunc_end12-_ZN9rocsparseL42csr2bsr_wavefront_per_row_multipass_kernelILj256ELj32ELj8EiliEEv20rocsparse_direction_T4_S2_S2_S2_S2_21rocsparse_index_base_PKT2_PKT3_PKS2_S3_PS4_PS7_PS2_
                                        ; -- End function
	.section	.AMDGPU.csdata,"",@progbits
; Kernel info:
; codeLenInByte = 1920
; NumSgprs: 24
; NumVgprs: 42
; ScratchSize: 0
; MemoryBound: 0
; FloatMode: 240
; IeeeMode: 1
; LDSByteSize: 2056 bytes/workgroup (compile time only)
; SGPRBlocks: 2
; VGPRBlocks: 5
; NumSGPRsForWavesPerEU: 24
; NumVGPRsForWavesPerEU: 42
; Occupancy: 16
; WaveLimiterHint : 0
; COMPUTE_PGM_RSRC2:SCRATCH_EN: 0
; COMPUTE_PGM_RSRC2:USER_SGPR: 15
; COMPUTE_PGM_RSRC2:TRAP_HANDLER: 0
; COMPUTE_PGM_RSRC2:TGID_X_EN: 1
; COMPUTE_PGM_RSRC2:TGID_Y_EN: 0
; COMPUTE_PGM_RSRC2:TGID_Z_EN: 0
; COMPUTE_PGM_RSRC2:TIDIG_COMP_CNT: 0
	.section	.text._ZN9rocsparseL42csr2bsr_wavefront_per_row_multipass_kernelILj256ELj64ELj16EiliEEv20rocsparse_direction_T4_S2_S2_S2_S2_21rocsparse_index_base_PKT2_PKT3_PKS2_S3_PS4_PS7_PS2_,"axG",@progbits,_ZN9rocsparseL42csr2bsr_wavefront_per_row_multipass_kernelILj256ELj64ELj16EiliEEv20rocsparse_direction_T4_S2_S2_S2_S2_21rocsparse_index_base_PKT2_PKT3_PKS2_S3_PS4_PS7_PS2_,comdat
	.globl	_ZN9rocsparseL42csr2bsr_wavefront_per_row_multipass_kernelILj256ELj64ELj16EiliEEv20rocsparse_direction_T4_S2_S2_S2_S2_21rocsparse_index_base_PKT2_PKT3_PKS2_S3_PS4_PS7_PS2_ ; -- Begin function _ZN9rocsparseL42csr2bsr_wavefront_per_row_multipass_kernelILj256ELj64ELj16EiliEEv20rocsparse_direction_T4_S2_S2_S2_S2_21rocsparse_index_base_PKT2_PKT3_PKS2_S3_PS4_PS7_PS2_
	.p2align	8
	.type	_ZN9rocsparseL42csr2bsr_wavefront_per_row_multipass_kernelILj256ELj64ELj16EiliEEv20rocsparse_direction_T4_S2_S2_S2_S2_21rocsparse_index_base_PKT2_PKT3_PKS2_S3_PS4_PS7_PS2_,@function
_ZN9rocsparseL42csr2bsr_wavefront_per_row_multipass_kernelILj256ELj64ELj16EiliEEv20rocsparse_direction_T4_S2_S2_S2_S2_21rocsparse_index_base_PKT2_PKT3_PKS2_S3_PS4_PS7_PS2_: ; @_ZN9rocsparseL42csr2bsr_wavefront_per_row_multipass_kernelILj256ELj64ELj16EiliEEv20rocsparse_direction_T4_S2_S2_S2_S2_21rocsparse_index_base_PKT2_PKT3_PKS2_S3_PS4_PS7_PS2_
; %bb.0:
	s_clause 0x1
	s_load_b128 s[4:7], s[0:1], 0xc
	s_load_b64 s[16:17], s[0:1], 0x0
	v_lshrrev_b32_e32 v28, 6, v0
	v_bfe_u32 v9, v0, 2, 4
	s_load_b64 s[8:9], s[0:1], 0x28
	v_mov_b32_e32 v1, 0
	v_mov_b32_e32 v2, 0
	v_lshl_or_b32 v5, s15, 2, v28
	s_delay_alu instid0(VALU_DEP_2) | instskip(SKIP_1) | instid1(VALU_DEP_2)
	v_dual_mov_b32 v8, v2 :: v_dual_mov_b32 v7, v1
	s_waitcnt lgkmcnt(0)
	v_mad_u64_u32 v[3:4], null, v5, s6, v[9:10]
	v_cmp_gt_i32_e32 vcc_lo, s6, v9
	s_delay_alu instid0(VALU_DEP_2) | instskip(NEXT) | instid1(VALU_DEP_1)
	v_cmp_gt_i32_e64 s2, s17, v3
	s_and_b32 s3, vcc_lo, s2
	s_delay_alu instid0(SALU_CYCLE_1)
	s_and_saveexec_b32 s10, s3
	s_cbranch_execz .LBB13_2
; %bb.1:
	v_ashrrev_i32_e32 v4, 31, v3
	s_delay_alu instid0(VALU_DEP_1) | instskip(NEXT) | instid1(VALU_DEP_1)
	v_lshlrev_b64 v[6:7], 3, v[3:4]
	v_add_co_u32 v6, s2, s8, v6
	s_delay_alu instid0(VALU_DEP_1) | instskip(SKIP_3) | instid1(VALU_DEP_1)
	v_add_co_ci_u32_e64 v7, s2, s9, v7, s2
	global_load_b64 v[7:8], v[6:7], off
	s_waitcnt vmcnt(0)
	v_sub_co_u32 v7, s2, v7, s7
	v_subrev_co_ci_u32_e64 v8, s2, 0, v8, s2
.LBB13_2:
	s_or_b32 exec_lo, exec_lo, s10
	s_and_saveexec_b32 s10, s3
	s_cbranch_execz .LBB13_4
; %bb.3:
	v_ashrrev_i32_e32 v4, 31, v3
	s_delay_alu instid0(VALU_DEP_1) | instskip(NEXT) | instid1(VALU_DEP_1)
	v_lshlrev_b64 v[1:2], 3, v[3:4]
	v_add_co_u32 v1, s2, s8, v1
	s_delay_alu instid0(VALU_DEP_1) | instskip(SKIP_3) | instid1(VALU_DEP_1)
	v_add_co_ci_u32_e64 v2, s2, s9, v2, s2
	global_load_b64 v[1:2], v[1:2], off offset:8
	s_waitcnt vmcnt(0)
	v_sub_co_u32 v1, s2, v1, s7
	v_subrev_co_ci_u32_e64 v2, s2, 0, v2, s2
.LBB13_4:
	s_or_b32 exec_lo, exec_lo, s10
	s_load_b32 s14, s[0:1], 0x38
	v_mov_b32_e32 v3, 0
	v_mov_b32_e32 v4, 0
	s_mov_b32 s3, exec_lo
	v_cmpx_gt_i32_e64 s4, v5
	s_cbranch_execz .LBB13_6
; %bb.5:
	s_load_b64 s[8:9], s[0:1], 0x48
	v_ashrrev_i32_e32 v6, 31, v5
	s_delay_alu instid0(VALU_DEP_1) | instskip(SKIP_1) | instid1(VALU_DEP_1)
	v_lshlrev_b64 v[3:4], 3, v[5:6]
	s_waitcnt lgkmcnt(0)
	v_add_co_u32 v3, s2, s8, v3
	s_delay_alu instid0(VALU_DEP_1) | instskip(SKIP_3) | instid1(VALU_DEP_1)
	v_add_co_ci_u32_e64 v4, s2, s9, v4, s2
	global_load_b64 v[3:4], v[3:4], off
	s_waitcnt vmcnt(0)
	v_sub_co_u32 v3, s2, v3, s14
	v_subrev_co_ci_u32_e64 v4, s2, 0, v4, s2
.LBB13_6:
	s_or_b32 exec_lo, exec_lo, s3
	s_cmp_lt_i32 s5, 1
	s_cbranch_scc1 .LBB13_40
; %bb.7:
	v_mbcnt_lo_u32_b32 v11, -1, 0
	s_load_b64 s[8:9], s[0:1], 0x20
	v_lshlrev_b32_e32 v5, 8, v28
	s_clause 0x2
	s_load_b64 s[10:11], s[0:1], 0x50
	s_load_b64 s[2:3], s[0:1], 0x40
	;; [unrolled: 1-line block ×3, first 2 shown]
	v_lshlrev_b32_e32 v12, 2, v9
	v_xor_b32_e32 v6, 2, v11
	v_xor_b32_e32 v10, 1, v11
	v_lshl_or_b32 v29, v9, 4, v5
	s_cmp_lg_u32 s16, 0
	v_xor_b32_e32 v13, 4, v11
	v_cmp_gt_i32_e64 s0, 32, v6
	s_cselect_b32 s15, -1, 0
	s_abs_i32 s18, s6
	s_lshl_b32 s19, s6, 2
	v_lshl_or_b32 v32, v11, 2, 12
	v_cndmask_b32_e64 v5, v11, v6, s0
	v_cmp_gt_i32_e64 s0, 32, v10
	v_mov_b32_e32 v6, 0
	v_bfrev_b32_e32 v41, 0.5
	s_mov_b32 s4, 0
	v_lshlrev_b32_e32 v30, 2, v5
	v_mul_lo_u32 v5, v9, s6
	v_cndmask_b32_e64 v10, v11, v10, s0
	s_waitcnt lgkmcnt(0)
	v_add_co_u32 v33, s0, s2, v12
	s_delay_alu instid0(VALU_DEP_1) | instskip(NEXT) | instid1(VALU_DEP_3)
	v_add_co_ci_u32_e64 v34, null, s3, 0, s0
	v_lshlrev_b32_e32 v31, 2, v10
	v_xor_b32_e32 v12, 8, v11
	v_lshlrev_b64 v[9:10], 2, v[5:6]
	v_or_b32_e32 v5, 32, v11
	s_mul_hi_u32 s16, s6, s6
	s_mul_i32 s17, s6, s6
	s_ashr_i32 s21, s6, 31
	v_mov_b32_e32 v16, v6
	v_add_co_u32 v35, s0, s2, v9
	s_delay_alu instid0(VALU_DEP_1) | instskip(SKIP_3) | instid1(VALU_DEP_2)
	v_add_co_ci_u32_e64 v36, s0, s3, v10, s0
	v_xor_b32_e32 v9, 16, v11
	v_cvt_f32_u32_e32 v10, s18
	v_cmp_gt_i32_e64 s0, 32, v5
	v_rcp_iflag_f32_e32 v10, v10
	s_delay_alu instid0(VALU_DEP_1) | instskip(SKIP_2) | instid1(VALU_DEP_3)
	v_cndmask_b32_e64 v5, v11, v5, s0
	v_cmp_gt_i32_e64 s0, 32, v9
	v_and_b32_e32 v0, 3, v0
	v_lshlrev_b32_e32 v37, 2, v5
	s_delay_alu instid0(VALU_DEP_3)
	v_cndmask_b32_e64 v9, v11, v9, s0
	v_cmp_gt_i32_e64 s0, 32, v12
	s_delay_alu instid0(TRANS32_DEP_1) | instid1(VALU_DEP_2)
	v_dual_mul_f32 v9, 0x4f7ffffe, v10 :: v_dual_lshlrev_b32 v38, 2, v9
	s_delay_alu instid0(VALU_DEP_2)
	v_cndmask_b32_e64 v12, v11, v12, s0
	v_cmp_gt_i32_e64 s0, 32, v13
	v_or_b32_e32 v10, v29, v0
	v_or_b32_e32 v15, 12, v0
	v_cvt_u32_f32_e32 v9, v9
	v_lshlrev_b32_e32 v39, 2, v12
	v_cndmask_b32_e64 v5, v11, v13, s0
	s_sub_i32 s0, 0, s18
	v_lshlrev_b32_e32 v42, 2, v10
	v_mul_lo_u32 v14, s0, v9
	v_or_b32_e32 v10, 4, v0
	v_lshlrev_b32_e32 v40, 2, v5
	v_mul_lo_u32 v5, v0, s6
	v_mov_b32_e32 v12, v6
	v_cmp_gt_u32_e64 s3, s6, v15
	v_cmp_gt_u32_e64 s1, s6, v10
	v_or_b32_e32 v10, 8, v0
	v_mul_hi_u32 v17, v9, v14
	v_mov_b32_e32 v14, v6
	v_cmp_gt_u32_e64 s0, s6, v0
	v_add_nc_u32_e32 v11, s19, v5
	v_cmp_gt_u32_e64 s2, s6, v10
	s_and_b32 s20, vcc_lo, s1
	s_and_b32 s3, vcc_lo, s3
	v_add_nc_u32_e32 v43, v9, v17
	v_mov_b32_e32 v17, 0
	v_dual_mov_b32 v18, 0 :: v_dual_add_nc_u32 v13, s19, v11
	v_lshlrev_b64 v[9:10], 2, v[5:6]
	v_lshlrev_b64 v[11:12], 2, v[11:12]
	v_mov_b32_e32 v5, 1
	s_and_b32 s2, vcc_lo, s2
	v_add_nc_u32_e32 v15, s19, v13
	v_lshlrev_b64 v[13:14], 2, v[13:14]
	s_and_b32 s19, s0, vcc_lo
	s_delay_alu instid0(VALU_DEP_2)
	v_lshlrev_b64 v[15:16], 2, v[15:16]
	s_branch .LBB13_11
.LBB13_8:                               ;   in Loop: Header=BB13_11 Depth=1
	v_dual_mov_b32 v19, s1 :: v_dual_mov_b32 v18, s0
.LBB13_9:                               ;   in Loop: Header=BB13_11 Depth=1
	s_or_b32 exec_lo, exec_lo, s23
.LBB13_10:                              ;   in Loop: Header=BB13_11 Depth=1
	s_delay_alu instid0(SALU_CYCLE_1) | instskip(SKIP_2) | instid1(VALU_DEP_1)
	s_or_b32 exec_lo, exec_lo, s22
	ds_bpermute_b32 v17, v37, v44
	v_add_co_u32 v3, s0, v18, v3
	v_add_co_ci_u32_e64 v4, s0, v19, v4, s0
	s_waitcnt lgkmcnt(0)
	s_waitcnt_vscnt null, 0x0
	buffer_gl0_inv
	buffer_gl0_inv
	v_min_i32_e32 v17, v17, v44
	ds_bpermute_b32 v20, v38, v17
	s_waitcnt lgkmcnt(0)
	v_min_i32_e32 v17, v20, v17
	ds_bpermute_b32 v20, v39, v17
	s_waitcnt lgkmcnt(0)
	v_min_i32_e32 v17, v20, v17
	ds_bpermute_b32 v20, v40, v17
	s_waitcnt lgkmcnt(0)
	v_min_i32_e32 v17, v20, v17
	ds_bpermute_b32 v20, v30, v17
	s_waitcnt lgkmcnt(0)
	v_min_i32_e32 v17, v20, v17
	ds_bpermute_b32 v20, v31, v17
	s_waitcnt lgkmcnt(0)
	v_min_i32_e32 v17, v20, v17
	ds_bpermute_b32 v17, v41, v17
	s_waitcnt lgkmcnt(0)
	v_cmp_le_i32_e32 vcc_lo, s5, v17
	v_ashrrev_i32_e32 v18, 31, v17
	s_or_b32 s4, vcc_lo, s4
	s_delay_alu instid0(SALU_CYCLE_1)
	s_and_not1_b32 exec_lo, exec_lo, s4
	s_cbranch_execz .LBB13_40
.LBB13_11:                              ; =>This Loop Header: Depth=1
                                        ;     Child Loop BB13_14 Depth 2
	v_add_co_u32 v7, vcc_lo, v7, v0
	v_mov_b32_e32 v24, v2
	v_add_co_ci_u32_e32 v8, vcc_lo, 0, v8, vcc_lo
	v_dual_mov_b32 v44, s5 :: v_dual_mov_b32 v23, v1
	s_mov_b32 s1, exec_lo
	ds_store_b8 v28, v6 offset:4096
	ds_store_2addr_b32 v42, v6, v6 offset1:4
	ds_store_2addr_b32 v42, v6, v6 offset0:8 offset1:12
	s_waitcnt lgkmcnt(0)
	buffer_gl0_inv
	v_cmpx_lt_i64_e64 v[7:8], v[1:2]
	s_cbranch_execz .LBB13_19
; %bb.12:                               ;   in Loop: Header=BB13_11 Depth=1
	v_lshlrev_b64 v[21:22], 2, v[7:8]
	v_mov_b32_e32 v24, v2
	v_dual_mov_b32 v44, s5 :: v_dual_mov_b32 v23, v1
	s_mov_b32 s22, 0
	s_delay_alu instid0(VALU_DEP_3) | instskip(NEXT) | instid1(VALU_DEP_4)
	v_add_co_u32 v19, vcc_lo, s8, v21
	v_add_co_ci_u32_e32 v20, vcc_lo, s9, v22, vcc_lo
	v_add_co_u32 v21, vcc_lo, s12, v21
	v_add_co_ci_u32_e32 v22, vcc_lo, s13, v22, vcc_lo
	s_branch .LBB13_14
.LBB13_13:                              ;   in Loop: Header=BB13_14 Depth=2
	s_or_b32 exec_lo, exec_lo, s0
	v_add_co_u32 v7, s0, v7, 4
	s_delay_alu instid0(VALU_DEP_1) | instskip(SKIP_2) | instid1(VALU_DEP_2)
	v_add_co_ci_u32_e64 v8, s0, 0, v8, s0
	s_xor_b32 s23, vcc_lo, -1
	v_add_co_u32 v19, vcc_lo, v19, 16
	v_cmp_ge_i64_e64 s0, v[7:8], v[1:2]
	v_add_co_ci_u32_e32 v20, vcc_lo, 0, v20, vcc_lo
	v_add_co_u32 v21, vcc_lo, v21, 16
	v_add_co_ci_u32_e32 v22, vcc_lo, 0, v22, vcc_lo
	s_delay_alu instid0(VALU_DEP_4) | instskip(NEXT) | instid1(SALU_CYCLE_1)
	s_or_b32 s0, s23, s0
	s_and_b32 s0, exec_lo, s0
	s_delay_alu instid0(SALU_CYCLE_1) | instskip(NEXT) | instid1(SALU_CYCLE_1)
	s_or_b32 s22, s0, s22
	s_and_not1_b32 exec_lo, exec_lo, s22
	s_cbranch_execz .LBB13_18
.LBB13_14:                              ;   Parent Loop BB13_11 Depth=1
                                        ; =>  This Inner Loop Header: Depth=2
	global_load_b32 v25, v[21:22], off
	s_waitcnt vmcnt(0)
	v_subrev_nc_u32_e32 v45, s7, v25
	s_delay_alu instid0(VALU_DEP_1) | instskip(NEXT) | instid1(VALU_DEP_1)
	v_sub_nc_u32_e32 v25, 0, v45
	v_max_i32_e32 v25, v45, v25
	s_delay_alu instid0(VALU_DEP_1) | instskip(NEXT) | instid1(VALU_DEP_1)
	v_mul_hi_u32 v26, v25, v43
	v_mul_lo_u32 v27, v26, s18
	s_delay_alu instid0(VALU_DEP_1) | instskip(SKIP_1) | instid1(VALU_DEP_2)
	v_sub_nc_u32_e32 v25, v25, v27
	v_add_nc_u32_e32 v27, 1, v26
	v_subrev_nc_u32_e32 v46, s18, v25
	v_cmp_le_u32_e32 vcc_lo, s18, v25
	s_delay_alu instid0(VALU_DEP_2) | instskip(SKIP_1) | instid1(VALU_DEP_2)
	v_dual_cndmask_b32 v26, v26, v27 :: v_dual_cndmask_b32 v25, v25, v46
	v_ashrrev_i32_e32 v27, 31, v45
	v_add_nc_u32_e32 v46, 1, v26
	s_delay_alu instid0(VALU_DEP_3) | instskip(NEXT) | instid1(VALU_DEP_3)
	v_cmp_le_u32_e32 vcc_lo, s18, v25
	v_xor_b32_e32 v27, s21, v27
	s_delay_alu instid0(VALU_DEP_3) | instskip(NEXT) | instid1(VALU_DEP_1)
	v_cndmask_b32_e32 v25, v26, v46, vcc_lo
	v_xor_b32_e32 v25, v25, v27
	s_delay_alu instid0(VALU_DEP_1) | instskip(NEXT) | instid1(VALU_DEP_1)
	v_sub_nc_u32_e32 v25, v25, v27
	v_ashrrev_i32_e32 v26, 31, v25
	s_delay_alu instid0(VALU_DEP_1) | instskip(SKIP_2) | instid1(VALU_DEP_2)
	v_cmp_eq_u64_e32 vcc_lo, v[17:18], v[25:26]
	v_cmp_ne_u64_e64 s0, v[17:18], v[25:26]
	v_dual_mov_b32 v27, v24 :: v_dual_mov_b32 v26, v23
	s_and_saveexec_b32 s23, s0
	s_delay_alu instid0(SALU_CYCLE_1)
	s_xor_b32 s0, exec_lo, s23
; %bb.15:                               ;   in Loop: Header=BB13_14 Depth=2
	v_min_i32_e32 v44, v25, v44
                                        ; implicit-def: $vgpr25
                                        ; implicit-def: $vgpr45
                                        ; implicit-def: $vgpr26_vgpr27
; %bb.16:                               ;   in Loop: Header=BB13_14 Depth=2
	s_or_saveexec_b32 s0, s0
	v_dual_mov_b32 v24, v8 :: v_dual_mov_b32 v23, v7
	s_xor_b32 exec_lo, exec_lo, s0
	s_cbranch_execz .LBB13_13
; %bb.17:                               ;   in Loop: Header=BB13_14 Depth=2
	global_load_b32 v46, v[19:20], off
	v_mul_lo_u32 v23, v25, s6
	s_delay_alu instid0(VALU_DEP_1) | instskip(NEXT) | instid1(VALU_DEP_1)
	v_sub_nc_u32_e32 v23, v45, v23
	v_add_lshl_u32 v25, v29, v23, 2
	v_dual_mov_b32 v23, v26 :: v_dual_mov_b32 v24, v27
	ds_store_b8 v28, v5 offset:4096
	s_waitcnt vmcnt(0)
	ds_store_b32 v25, v46
	s_branch .LBB13_13
.LBB13_18:                              ;   in Loop: Header=BB13_11 Depth=1
	s_or_b32 exec_lo, exec_lo, s22
.LBB13_19:                              ;   in Loop: Header=BB13_11 Depth=1
	s_delay_alu instid0(SALU_CYCLE_1)
	s_or_b32 exec_lo, exec_lo, s1
	ds_bpermute_b32 v7, v30, v23
	ds_bpermute_b32 v8, v30, v24
	s_waitcnt lgkmcnt(0)
	buffer_gl0_inv
	ds_load_u8 v20, v28 offset:4096
	s_mov_b32 s22, exec_lo
	v_cmp_lt_i64_e32 vcc_lo, v[7:8], v[23:24]
	s_waitcnt lgkmcnt(0)
	v_and_b32_e32 v20, 1, v20
	v_dual_cndmask_b32 v8, v24, v8 :: v_dual_cndmask_b32 v7, v23, v7
	ds_bpermute_b32 v19, v31, v8
	ds_bpermute_b32 v18, v31, v7
	s_waitcnt lgkmcnt(0)
	v_cmp_lt_i64_e32 vcc_lo, v[18:19], v[7:8]
	v_dual_cndmask_b32 v8, v8, v19 :: v_dual_cndmask_b32 v7, v7, v18
	v_mov_b32_e32 v18, 0
	v_mov_b32_e32 v19, 0
	ds_bpermute_b32 v8, v32, v8
	ds_bpermute_b32 v7, v32, v7
	v_cmpx_eq_u32_e32 1, v20
	s_cbranch_execz .LBB13_10
; %bb.20:                               ;   in Loop: Header=BB13_11 Depth=1
	v_mul_lo_u32 v20, s16, v3
	v_mul_lo_u32 v21, s17, v4
	v_mad_u64_u32 v[18:19], null, s17, v3, 0
	v_add_nc_u32_e32 v25, s14, v17
	s_delay_alu instid0(VALU_DEP_2) | instskip(SKIP_1) | instid1(VALU_DEP_2)
	v_add3_u32 v19, v19, v21, v20
	v_lshlrev_b64 v[20:21], 2, v[3:4]
	v_lshlrev_b64 v[17:18], 2, v[18:19]
	s_delay_alu instid0(VALU_DEP_2) | instskip(NEXT) | instid1(VALU_DEP_3)
	v_add_co_u32 v23, vcc_lo, s10, v20
	v_add_co_ci_u32_e32 v24, vcc_lo, s11, v21, vcc_lo
	s_delay_alu instid0(VALU_DEP_3) | instskip(NEXT) | instid1(VALU_DEP_4)
	v_add_co_u32 v21, vcc_lo, v33, v17
	v_add_co_ci_u32_e32 v22, vcc_lo, v34, v18, vcc_lo
	v_add_co_u32 v17, vcc_lo, v35, v17
	v_add_co_ci_u32_e32 v20, vcc_lo, v36, v18, vcc_lo
	global_store_b32 v[23:24], v25, off
	s_and_saveexec_b32 s0, s19
	s_cbranch_execz .LBB13_24
; %bb.21:                               ;   in Loop: Header=BB13_11 Depth=1
	s_and_b32 vcc_lo, exec_lo, s15
	s_cbranch_vccz .LBB13_35
; %bb.22:                               ;   in Loop: Header=BB13_11 Depth=1
	ds_load_b32 v23, v42
	v_add_co_u32 v18, vcc_lo, v21, v9
	v_add_co_ci_u32_e32 v19, vcc_lo, v22, v10, vcc_lo
	s_waitcnt lgkmcnt(0)
	global_store_b32 v[18:19], v23, off
	s_cbranch_execnz .LBB13_24
.LBB13_23:                              ;   in Loop: Header=BB13_11 Depth=1
	ds_load_b32 v23, v42
	v_lshlrev_b32_e32 v18, 2, v0
	s_delay_alu instid0(VALU_DEP_1)
	v_add_co_u32 v18, vcc_lo, v17, v18
	v_add_co_ci_u32_e32 v19, vcc_lo, 0, v20, vcc_lo
	s_waitcnt lgkmcnt(0)
	global_store_b32 v[18:19], v23, off
.LBB13_24:                              ;   in Loop: Header=BB13_11 Depth=1
	s_or_b32 exec_lo, exec_lo, s0
	s_and_saveexec_b32 s0, s20
	s_cbranch_execz .LBB13_28
; %bb.25:                               ;   in Loop: Header=BB13_11 Depth=1
	s_and_not1_b32 vcc_lo, exec_lo, s15
	s_cbranch_vccnz .LBB13_36
; %bb.26:                               ;   in Loop: Header=BB13_11 Depth=1
	ds_load_b32 v23, v42 offset:16
	v_add_co_u32 v18, vcc_lo, v21, v11
	v_add_co_ci_u32_e32 v19, vcc_lo, v22, v12, vcc_lo
	s_waitcnt lgkmcnt(0)
	global_store_b32 v[18:19], v23, off
	s_cbranch_execnz .LBB13_28
.LBB13_27:                              ;   in Loop: Header=BB13_11 Depth=1
	ds_load_b32 v23, v42 offset:16
	v_lshlrev_b32_e32 v18, 2, v0
	s_delay_alu instid0(VALU_DEP_1)
	v_add_co_u32 v18, vcc_lo, v17, v18
	v_add_co_ci_u32_e32 v19, vcc_lo, 0, v20, vcc_lo
	s_waitcnt lgkmcnt(0)
	global_store_b32 v[18:19], v23, off offset:16
.LBB13_28:                              ;   in Loop: Header=BB13_11 Depth=1
	s_or_b32 exec_lo, exec_lo, s0
	s_and_saveexec_b32 s0, s2
	s_cbranch_execz .LBB13_32
; %bb.29:                               ;   in Loop: Header=BB13_11 Depth=1
	s_and_not1_b32 vcc_lo, exec_lo, s15
	s_cbranch_vccnz .LBB13_37
; %bb.30:                               ;   in Loop: Header=BB13_11 Depth=1
	ds_load_b32 v23, v42 offset:32
	v_add_co_u32 v18, vcc_lo, v21, v13
	v_add_co_ci_u32_e32 v19, vcc_lo, v22, v14, vcc_lo
	s_waitcnt lgkmcnt(0)
	global_store_b32 v[18:19], v23, off
	s_cbranch_execnz .LBB13_32
.LBB13_31:                              ;   in Loop: Header=BB13_11 Depth=1
	ds_load_b32 v23, v42 offset:32
	v_lshlrev_b32_e32 v18, 2, v0
	s_delay_alu instid0(VALU_DEP_1)
	v_add_co_u32 v18, vcc_lo, v17, v18
	v_add_co_ci_u32_e32 v19, vcc_lo, 0, v20, vcc_lo
	s_waitcnt lgkmcnt(0)
	global_store_b32 v[18:19], v23, off offset:32
.LBB13_32:                              ;   in Loop: Header=BB13_11 Depth=1
	s_or_b32 exec_lo, exec_lo, s0
	v_mov_b32_e32 v18, 1
	v_mov_b32_e32 v19, 0
	s_and_saveexec_b32 s23, s3
	s_cbranch_execz .LBB13_9
; %bb.33:                               ;   in Loop: Header=BB13_11 Depth=1
	s_and_not1_b32 vcc_lo, exec_lo, s15
	s_cbranch_vccnz .LBB13_38
; %bb.34:                               ;   in Loop: Header=BB13_11 Depth=1
	ds_load_b32 v23, v42 offset:48
	v_add_co_u32 v18, vcc_lo, v21, v15
	v_add_co_ci_u32_e32 v19, vcc_lo, v22, v16, vcc_lo
	s_mov_b64 s[0:1], 1
	s_waitcnt lgkmcnt(0)
	global_store_b32 v[18:19], v23, off
	s_cbranch_execnz .LBB13_8
	s_branch .LBB13_39
.LBB13_35:                              ;   in Loop: Header=BB13_11 Depth=1
	s_branch .LBB13_23
.LBB13_36:                              ;   in Loop: Header=BB13_11 Depth=1
	s_branch .LBB13_27
.LBB13_37:                              ;   in Loop: Header=BB13_11 Depth=1
	s_branch .LBB13_31
.LBB13_38:                              ;   in Loop: Header=BB13_11 Depth=1
                                        ; implicit-def: $sgpr0_sgpr1
.LBB13_39:                              ;   in Loop: Header=BB13_11 Depth=1
	ds_load_b32 v19, v42 offset:48
	v_lshlrev_b32_e32 v18, 2, v0
	s_mov_b64 s[0:1], 1
	s_delay_alu instid0(VALU_DEP_1)
	v_add_co_u32 v17, vcc_lo, v17, v18
	v_add_co_ci_u32_e32 v18, vcc_lo, 0, v20, vcc_lo
	s_waitcnt lgkmcnt(0)
	global_store_b32 v[17:18], v19, off offset:48
	s_branch .LBB13_8
.LBB13_40:
	s_endpgm
	.section	.rodata,"a",@progbits
	.p2align	6, 0x0
	.amdhsa_kernel _ZN9rocsparseL42csr2bsr_wavefront_per_row_multipass_kernelILj256ELj64ELj16EiliEEv20rocsparse_direction_T4_S2_S2_S2_S2_21rocsparse_index_base_PKT2_PKT3_PKS2_S3_PS4_PS7_PS2_
		.amdhsa_group_segment_fixed_size 4100
		.amdhsa_private_segment_fixed_size 0
		.amdhsa_kernarg_size 88
		.amdhsa_user_sgpr_count 15
		.amdhsa_user_sgpr_dispatch_ptr 0
		.amdhsa_user_sgpr_queue_ptr 0
		.amdhsa_user_sgpr_kernarg_segment_ptr 1
		.amdhsa_user_sgpr_dispatch_id 0
		.amdhsa_user_sgpr_private_segment_size 0
		.amdhsa_wavefront_size32 1
		.amdhsa_uses_dynamic_stack 0
		.amdhsa_enable_private_segment 0
		.amdhsa_system_sgpr_workgroup_id_x 1
		.amdhsa_system_sgpr_workgroup_id_y 0
		.amdhsa_system_sgpr_workgroup_id_z 0
		.amdhsa_system_sgpr_workgroup_info 0
		.amdhsa_system_vgpr_workitem_id 0
		.amdhsa_next_free_vgpr 47
		.amdhsa_next_free_sgpr 24
		.amdhsa_reserve_vcc 1
		.amdhsa_float_round_mode_32 0
		.amdhsa_float_round_mode_16_64 0
		.amdhsa_float_denorm_mode_32 3
		.amdhsa_float_denorm_mode_16_64 3
		.amdhsa_dx10_clamp 1
		.amdhsa_ieee_mode 1
		.amdhsa_fp16_overflow 0
		.amdhsa_workgroup_processor_mode 1
		.amdhsa_memory_ordered 1
		.amdhsa_forward_progress 0
		.amdhsa_shared_vgpr_count 0
		.amdhsa_exception_fp_ieee_invalid_op 0
		.amdhsa_exception_fp_denorm_src 0
		.amdhsa_exception_fp_ieee_div_zero 0
		.amdhsa_exception_fp_ieee_overflow 0
		.amdhsa_exception_fp_ieee_underflow 0
		.amdhsa_exception_fp_ieee_inexact 0
		.amdhsa_exception_int_div_zero 0
	.end_amdhsa_kernel
	.section	.text._ZN9rocsparseL42csr2bsr_wavefront_per_row_multipass_kernelILj256ELj64ELj16EiliEEv20rocsparse_direction_T4_S2_S2_S2_S2_21rocsparse_index_base_PKT2_PKT3_PKS2_S3_PS4_PS7_PS2_,"axG",@progbits,_ZN9rocsparseL42csr2bsr_wavefront_per_row_multipass_kernelILj256ELj64ELj16EiliEEv20rocsparse_direction_T4_S2_S2_S2_S2_21rocsparse_index_base_PKT2_PKT3_PKS2_S3_PS4_PS7_PS2_,comdat
.Lfunc_end13:
	.size	_ZN9rocsparseL42csr2bsr_wavefront_per_row_multipass_kernelILj256ELj64ELj16EiliEEv20rocsparse_direction_T4_S2_S2_S2_S2_21rocsparse_index_base_PKT2_PKT3_PKS2_S3_PS4_PS7_PS2_, .Lfunc_end13-_ZN9rocsparseL42csr2bsr_wavefront_per_row_multipass_kernelILj256ELj64ELj16EiliEEv20rocsparse_direction_T4_S2_S2_S2_S2_21rocsparse_index_base_PKT2_PKT3_PKS2_S3_PS4_PS7_PS2_
                                        ; -- End function
	.section	.AMDGPU.csdata,"",@progbits
; Kernel info:
; codeLenInByte = 2224
; NumSgprs: 26
; NumVgprs: 47
; ScratchSize: 0
; MemoryBound: 0
; FloatMode: 240
; IeeeMode: 1
; LDSByteSize: 4100 bytes/workgroup (compile time only)
; SGPRBlocks: 3
; VGPRBlocks: 5
; NumSGPRsForWavesPerEU: 26
; NumVGPRsForWavesPerEU: 47
; Occupancy: 16
; WaveLimiterHint : 0
; COMPUTE_PGM_RSRC2:SCRATCH_EN: 0
; COMPUTE_PGM_RSRC2:USER_SGPR: 15
; COMPUTE_PGM_RSRC2:TRAP_HANDLER: 0
; COMPUTE_PGM_RSRC2:TGID_X_EN: 1
; COMPUTE_PGM_RSRC2:TGID_Y_EN: 0
; COMPUTE_PGM_RSRC2:TGID_Z_EN: 0
; COMPUTE_PGM_RSRC2:TIDIG_COMP_CNT: 0
	.section	.text._ZN9rocsparseL42csr2bsr_wavefront_per_row_multipass_kernelILj256ELj32ELj16EiliEEv20rocsparse_direction_T4_S2_S2_S2_S2_21rocsparse_index_base_PKT2_PKT3_PKS2_S3_PS4_PS7_PS2_,"axG",@progbits,_ZN9rocsparseL42csr2bsr_wavefront_per_row_multipass_kernelILj256ELj32ELj16EiliEEv20rocsparse_direction_T4_S2_S2_S2_S2_21rocsparse_index_base_PKT2_PKT3_PKS2_S3_PS4_PS7_PS2_,comdat
	.globl	_ZN9rocsparseL42csr2bsr_wavefront_per_row_multipass_kernelILj256ELj32ELj16EiliEEv20rocsparse_direction_T4_S2_S2_S2_S2_21rocsparse_index_base_PKT2_PKT3_PKS2_S3_PS4_PS7_PS2_ ; -- Begin function _ZN9rocsparseL42csr2bsr_wavefront_per_row_multipass_kernelILj256ELj32ELj16EiliEEv20rocsparse_direction_T4_S2_S2_S2_S2_21rocsparse_index_base_PKT2_PKT3_PKS2_S3_PS4_PS7_PS2_
	.p2align	8
	.type	_ZN9rocsparseL42csr2bsr_wavefront_per_row_multipass_kernelILj256ELj32ELj16EiliEEv20rocsparse_direction_T4_S2_S2_S2_S2_21rocsparse_index_base_PKT2_PKT3_PKS2_S3_PS4_PS7_PS2_,@function
_ZN9rocsparseL42csr2bsr_wavefront_per_row_multipass_kernelILj256ELj32ELj16EiliEEv20rocsparse_direction_T4_S2_S2_S2_S2_21rocsparse_index_base_PKT2_PKT3_PKS2_S3_PS4_PS7_PS2_: ; @_ZN9rocsparseL42csr2bsr_wavefront_per_row_multipass_kernelILj256ELj32ELj16EiliEEv20rocsparse_direction_T4_S2_S2_S2_S2_21rocsparse_index_base_PKT2_PKT3_PKS2_S3_PS4_PS7_PS2_
; %bb.0:
	s_clause 0x1
	s_load_b128 s[8:11], s[0:1], 0xc
	s_load_b64 s[4:5], s[0:1], 0x0
	v_lshrrev_b32_e32 v36, 5, v0
	v_bfe_u32 v9, v0, 1, 4
	s_load_b64 s[6:7], s[0:1], 0x28
	v_mov_b32_e32 v1, 0
	v_mov_b32_e32 v2, 0
	v_lshl_or_b32 v5, s15, 3, v36
	s_delay_alu instid0(VALU_DEP_2) | instskip(SKIP_1) | instid1(VALU_DEP_2)
	v_dual_mov_b32 v8, v2 :: v_dual_mov_b32 v7, v1
	s_waitcnt lgkmcnt(0)
	v_mad_u64_u32 v[3:4], null, v5, s10, v[9:10]
	v_cmp_gt_i32_e32 vcc_lo, s10, v9
	s_delay_alu instid0(VALU_DEP_2) | instskip(NEXT) | instid1(VALU_DEP_1)
	v_cmp_gt_i32_e64 s2, s5, v3
	s_and_b32 s3, vcc_lo, s2
	s_delay_alu instid0(SALU_CYCLE_1)
	s_and_saveexec_b32 s5, s3
	s_cbranch_execz .LBB14_2
; %bb.1:
	v_ashrrev_i32_e32 v4, 31, v3
	s_delay_alu instid0(VALU_DEP_1) | instskip(NEXT) | instid1(VALU_DEP_1)
	v_lshlrev_b64 v[6:7], 3, v[3:4]
	v_add_co_u32 v6, s2, s6, v6
	s_delay_alu instid0(VALU_DEP_1) | instskip(SKIP_3) | instid1(VALU_DEP_1)
	v_add_co_ci_u32_e64 v7, s2, s7, v7, s2
	global_load_b64 v[7:8], v[6:7], off
	s_waitcnt vmcnt(0)
	v_sub_co_u32 v7, s2, v7, s11
	v_subrev_co_ci_u32_e64 v8, s2, 0, v8, s2
.LBB14_2:
	s_or_b32 exec_lo, exec_lo, s5
	s_and_saveexec_b32 s5, s3
	s_cbranch_execz .LBB14_4
; %bb.3:
	v_ashrrev_i32_e32 v4, 31, v3
	s_delay_alu instid0(VALU_DEP_1) | instskip(NEXT) | instid1(VALU_DEP_1)
	v_lshlrev_b64 v[1:2], 3, v[3:4]
	v_add_co_u32 v1, s2, s6, v1
	s_delay_alu instid0(VALU_DEP_1) | instskip(SKIP_3) | instid1(VALU_DEP_1)
	v_add_co_ci_u32_e64 v2, s2, s7, v2, s2
	global_load_b64 v[1:2], v[1:2], off offset:8
	s_waitcnt vmcnt(0)
	v_sub_co_u32 v1, s2, v1, s11
	v_subrev_co_ci_u32_e64 v2, s2, 0, v2, s2
.LBB14_4:
	s_or_b32 exec_lo, exec_lo, s5
	s_load_b32 s18, s[0:1], 0x38
	v_mov_b32_e32 v3, 0
	v_mov_b32_e32 v4, 0
	s_mov_b32 s3, exec_lo
	v_cmpx_gt_i32_e64 s8, v5
	s_cbranch_execz .LBB14_6
; %bb.5:
	s_load_b64 s[6:7], s[0:1], 0x48
	v_ashrrev_i32_e32 v6, 31, v5
	s_delay_alu instid0(VALU_DEP_1) | instskip(SKIP_1) | instid1(VALU_DEP_1)
	v_lshlrev_b64 v[3:4], 3, v[5:6]
	s_waitcnt lgkmcnt(0)
	v_add_co_u32 v3, s2, s6, v3
	s_delay_alu instid0(VALU_DEP_1) | instskip(SKIP_3) | instid1(VALU_DEP_1)
	v_add_co_ci_u32_e64 v4, s2, s7, v4, s2
	global_load_b64 v[3:4], v[3:4], off
	s_waitcnt vmcnt(0)
	v_sub_co_u32 v3, s2, v3, s18
	v_subrev_co_ci_u32_e64 v4, s2, 0, v4, s2
.LBB14_6:
	s_or_b32 exec_lo, exec_lo, s3
	s_cmp_lt_i32 s9, 1
	s_cbranch_scc1 .LBB14_60
; %bb.7:
	v_mbcnt_lo_u32_b32 v11, -1, 0
	s_clause 0x3
	s_load_b64 s[12:13], s[0:1], 0x20
	s_load_b64 s[14:15], s[0:1], 0x50
	;; [unrolled: 1-line block ×4, first 2 shown]
	v_lshlrev_b32_e32 v10, 8, v36
	v_mov_b32_e32 v6, 0
	v_xor_b32_e32 v5, 1, v11
	v_dual_mov_b32 v25, 0 :: v_dual_and_b32 v0, 1, v0
	s_delay_alu instid0(VALU_DEP_4) | instskip(SKIP_1) | instid1(VALU_DEP_3)
	v_lshl_or_b32 v37, v9, 4, v10
	s_cmp_lg_u32 s4, 0
	v_cmp_gt_i32_e64 s0, 32, v5
	s_cselect_b32 s19, -1, 0
	s_abs_i32 s22, s10
	v_lshl_or_b32 v39, v11, 2, 4
	s_lshl_b32 s23, s10, 1
	v_cndmask_b32_e64 v12, v11, v5, s0
	v_mul_lo_u32 v5, v9, s10
	v_or_b32_e32 v15, 6, v0
	v_or_b32_e32 v19, 10, v0
	s_sub_i32 s6, 0, s22
	v_lshlrev_b32_e32 v38, 2, v12
	v_lshlrev_b32_e32 v12, 2, v9
	v_or_b32_e32 v23, 14, v0
	v_cmp_gt_u32_e64 s5, s10, v19
	v_lshlrev_b64 v[9:10], 2, v[5:6]
	v_xor_b32_e32 v5, 16, v11
	s_waitcnt lgkmcnt(0)
	v_add_co_u32 v40, s0, s2, v12
	s_delay_alu instid0(VALU_DEP_1) | instskip(NEXT) | instid1(VALU_DEP_4)
	v_add_co_ci_u32_e64 v41, null, s3, 0, s0
	v_add_co_u32 v42, s0, s2, v9
	s_delay_alu instid0(VALU_DEP_1)
	v_add_co_ci_u32_e64 v43, s0, s3, v10, s0
	v_xor_b32_e32 v9, 8, v11
	v_cmp_gt_i32_e64 s0, 32, v5
	v_xor_b32_e32 v10, 4, v11
	v_xor_b32_e32 v12, 2, v11
	v_cmp_gt_u32_e64 s3, s10, v15
	v_cmp_gt_u32_e64 s7, s10, v23
	v_cndmask_b32_e64 v5, v11, v5, s0
	v_cmp_gt_i32_e64 s0, 32, v9
	v_mov_b32_e32 v26, 0
	s_mov_b32 s8, 0
	s_mul_hi_u32 s20, s10, s10
	v_lshlrev_b32_e32 v44, 2, v5
	v_cndmask_b32_e64 v9, v11, v9, s0
	v_cmp_gt_i32_e64 s0, 32, v10
	v_mul_lo_u32 v5, v0, s10
	s_mul_i32 s21, s10, s10
	s_and_b32 s3, vcc_lo, s3
	v_lshlrev_b32_e32 v45, 2, v9
	v_cndmask_b32_e64 v10, v11, v10, s0
	v_cmp_gt_i32_e64 s0, 32, v12
	v_or_b32_e32 v9, v37, v0
	s_and_b32 s5, vcc_lo, s5
	s_and_b32 s7, vcc_lo, s7
	v_lshlrev_b32_e32 v46, 2, v10
	v_cndmask_b32_e64 v11, v11, v12, s0
	v_cvt_f32_u32_e32 v10, s22
	v_dual_mov_b32 v12, v6 :: v_dual_lshlrev_b32 v49, 2, v9
	v_or_b32_e32 v9, 2, v0
	s_delay_alu instid0(VALU_DEP_4) | instskip(SKIP_2) | instid1(VALU_DEP_3)
	v_dual_mov_b32 v48, 0x7c :: v_dual_lshlrev_b32 v47, 2, v11
	v_dual_mov_b32 v14, v6 :: v_dual_add_nc_u32 v11, s23, v5
	v_rcp_iflag_f32_e32 v10, v10
	v_cmp_gt_u32_e64 s1, s10, v9
	v_or_b32_e32 v9, 4, v0
	s_delay_alu instid0(VALU_DEP_3) | instskip(SKIP_2) | instid1(VALU_DEP_4)
	v_dual_mov_b32 v16, v6 :: v_dual_add_nc_u32 v13, s23, v11
	v_mov_b32_e32 v18, v6
	v_cmp_gt_u32_e64 s0, s10, v0
	v_cmp_gt_u32_e64 s2, s10, v9
	s_delay_alu instid0(VALU_DEP_4) | instskip(SKIP_1) | instid1(TRANS32_DEP_1)
	v_add_nc_u32_e32 v15, s23, v13
	v_or_b32_e32 v9, 8, v0
	v_mul_f32_e32 v10, 0x4f7ffffe, v10
	v_mov_b32_e32 v20, v6
	v_lshlrev_b64 v[11:12], 2, v[11:12]
	v_add_nc_u32_e32 v17, s23, v15
	v_cmp_gt_u32_e64 s4, s10, v9
	v_cvt_u32_f32_e32 v9, v10
	v_or_b32_e32 v10, 12, v0
	s_delay_alu instid0(VALU_DEP_4) | instskip(SKIP_1) | instid1(VALU_DEP_4)
	v_dual_mov_b32 v22, v6 :: v_dual_add_nc_u32 v19, s23, v17
	v_lshlrev_b64 v[13:14], 2, v[13:14]
	v_mul_lo_u32 v24, s6, v9
	s_delay_alu instid0(VALU_DEP_4)
	v_cmp_gt_u32_e64 s6, s10, v10
	v_lshlrev_b64 v[15:16], 2, v[15:16]
	v_add_nc_u32_e32 v21, s23, v19
	v_lshlrev_b64 v[17:18], 2, v[17:18]
	v_lshlrev_b64 v[19:20], 2, v[19:20]
	s_and_b32 s24, vcc_lo, s1
	s_and_b32 s2, vcc_lo, s2
	v_mul_hi_u32 v10, v9, v24
	v_dual_mov_b32 v24, v6 :: v_dual_add_nc_u32 v23, s23, v21
	v_lshlrev_b64 v[21:22], 2, v[21:22]
	s_and_b32 s23, s0, vcc_lo
	s_and_b32 s4, vcc_lo, s4
	s_and_b32 s6, vcc_lo, s6
	v_lshlrev_b64 v[23:24], 2, v[23:24]
	s_delay_alu instid0(VALU_DEP_4)
	v_add_nc_u32_e32 v50, v9, v10
	v_lshlrev_b64 v[9:10], 2, v[5:6]
	v_mov_b32_e32 v5, 1
	s_ashr_i32 s25, s10, 31
	s_branch .LBB14_11
.LBB14_8:                               ;   in Loop: Header=BB14_11 Depth=1
	v_dual_mov_b32 v27, s1 :: v_dual_mov_b32 v26, s0
.LBB14_9:                               ;   in Loop: Header=BB14_11 Depth=1
	s_or_b32 exec_lo, exec_lo, s27
.LBB14_10:                              ;   in Loop: Header=BB14_11 Depth=1
	s_delay_alu instid0(SALU_CYCLE_1) | instskip(SKIP_2) | instid1(VALU_DEP_1)
	s_or_b32 exec_lo, exec_lo, s26
	ds_bpermute_b32 v25, v44, v51
	v_add_co_u32 v3, s0, v26, v3
	v_add_co_ci_u32_e64 v4, s0, v27, v4, s0
	s_waitcnt lgkmcnt(0)
	s_waitcnt_vscnt null, 0x0
	buffer_gl0_inv
	buffer_gl0_inv
	v_min_i32_e32 v25, v25, v51
	ds_bpermute_b32 v28, v45, v25
	s_waitcnt lgkmcnt(0)
	v_min_i32_e32 v25, v28, v25
	ds_bpermute_b32 v28, v46, v25
	s_waitcnt lgkmcnt(0)
	;; [unrolled: 3-line block ×5, first 2 shown]
	v_cmp_le_i32_e32 vcc_lo, s9, v25
	v_ashrrev_i32_e32 v26, 31, v25
	s_or_b32 s8, vcc_lo, s8
	s_delay_alu instid0(SALU_CYCLE_1)
	s_and_not1_b32 exec_lo, exec_lo, s8
	s_cbranch_execz .LBB14_60
.LBB14_11:                              ; =>This Loop Header: Depth=1
                                        ;     Child Loop BB14_14 Depth 2
	v_add_co_u32 v7, vcc_lo, v7, v0
	v_dual_mov_b32 v51, s9 :: v_dual_mov_b32 v32, v2
	v_add_co_ci_u32_e32 v8, vcc_lo, 0, v8, vcc_lo
	v_mov_b32_e32 v31, v1
	s_mov_b32 s1, exec_lo
	ds_store_b8 v36, v6 offset:8192
	ds_store_2addr_b32 v49, v6, v6 offset1:2
	ds_store_2addr_b32 v49, v6, v6 offset0:4 offset1:6
	ds_store_2addr_b32 v49, v6, v6 offset0:8 offset1:10
	;; [unrolled: 1-line block ×3, first 2 shown]
	s_waitcnt lgkmcnt(0)
	buffer_gl0_inv
	v_cmpx_lt_i64_e64 v[7:8], v[1:2]
	s_cbranch_execz .LBB14_19
; %bb.12:                               ;   in Loop: Header=BB14_11 Depth=1
	v_lshlrev_b64 v[29:30], 2, v[7:8]
	v_dual_mov_b32 v51, s9 :: v_dual_mov_b32 v32, v2
	v_mov_b32_e32 v31, v1
	s_mov_b32 s26, 0
	s_delay_alu instid0(VALU_DEP_3) | instskip(NEXT) | instid1(VALU_DEP_4)
	v_add_co_u32 v27, vcc_lo, s12, v29
	v_add_co_ci_u32_e32 v28, vcc_lo, s13, v30, vcc_lo
	v_add_co_u32 v29, vcc_lo, s16, v29
	v_add_co_ci_u32_e32 v30, vcc_lo, s17, v30, vcc_lo
	s_branch .LBB14_14
.LBB14_13:                              ;   in Loop: Header=BB14_14 Depth=2
	s_or_b32 exec_lo, exec_lo, s0
	v_add_co_u32 v7, s0, v7, 2
	s_delay_alu instid0(VALU_DEP_1) | instskip(SKIP_2) | instid1(VALU_DEP_2)
	v_add_co_ci_u32_e64 v8, s0, 0, v8, s0
	s_xor_b32 s27, vcc_lo, -1
	v_add_co_u32 v27, vcc_lo, v27, 8
	v_cmp_ge_i64_e64 s0, v[7:8], v[1:2]
	v_add_co_ci_u32_e32 v28, vcc_lo, 0, v28, vcc_lo
	v_add_co_u32 v29, vcc_lo, v29, 8
	v_add_co_ci_u32_e32 v30, vcc_lo, 0, v30, vcc_lo
	s_delay_alu instid0(VALU_DEP_4) | instskip(NEXT) | instid1(SALU_CYCLE_1)
	s_or_b32 s0, s27, s0
	s_and_b32 s0, exec_lo, s0
	s_delay_alu instid0(SALU_CYCLE_1) | instskip(NEXT) | instid1(SALU_CYCLE_1)
	s_or_b32 s26, s0, s26
	s_and_not1_b32 exec_lo, exec_lo, s26
	s_cbranch_execz .LBB14_18
.LBB14_14:                              ;   Parent Loop BB14_11 Depth=1
                                        ; =>  This Inner Loop Header: Depth=2
	global_load_b32 v33, v[29:30], off
	s_waitcnt vmcnt(0)
	v_subrev_nc_u32_e32 v52, s11, v33
	s_delay_alu instid0(VALU_DEP_1) | instskip(NEXT) | instid1(VALU_DEP_1)
	v_sub_nc_u32_e32 v33, 0, v52
	v_max_i32_e32 v33, v52, v33
	s_delay_alu instid0(VALU_DEP_1) | instskip(NEXT) | instid1(VALU_DEP_1)
	v_mul_hi_u32 v34, v33, v50
	v_mul_lo_u32 v35, v34, s22
	s_delay_alu instid0(VALU_DEP_1) | instskip(SKIP_1) | instid1(VALU_DEP_2)
	v_sub_nc_u32_e32 v33, v33, v35
	v_add_nc_u32_e32 v35, 1, v34
	v_subrev_nc_u32_e32 v53, s22, v33
	v_cmp_le_u32_e32 vcc_lo, s22, v33
	s_delay_alu instid0(VALU_DEP_2) | instskip(SKIP_1) | instid1(VALU_DEP_2)
	v_dual_cndmask_b32 v34, v34, v35 :: v_dual_cndmask_b32 v33, v33, v53
	v_ashrrev_i32_e32 v35, 31, v52
	v_add_nc_u32_e32 v53, 1, v34
	s_delay_alu instid0(VALU_DEP_3) | instskip(NEXT) | instid1(VALU_DEP_3)
	v_cmp_le_u32_e32 vcc_lo, s22, v33
	v_xor_b32_e32 v35, s25, v35
	s_delay_alu instid0(VALU_DEP_3) | instskip(NEXT) | instid1(VALU_DEP_1)
	v_cndmask_b32_e32 v33, v34, v53, vcc_lo
	v_xor_b32_e32 v33, v33, v35
	s_delay_alu instid0(VALU_DEP_1) | instskip(NEXT) | instid1(VALU_DEP_1)
	v_sub_nc_u32_e32 v33, v33, v35
	v_ashrrev_i32_e32 v34, 31, v33
	s_delay_alu instid0(VALU_DEP_1) | instskip(SKIP_2) | instid1(VALU_DEP_2)
	v_cmp_eq_u64_e32 vcc_lo, v[25:26], v[33:34]
	v_cmp_ne_u64_e64 s0, v[25:26], v[33:34]
	v_dual_mov_b32 v35, v32 :: v_dual_mov_b32 v34, v31
	s_and_saveexec_b32 s27, s0
	s_delay_alu instid0(SALU_CYCLE_1)
	s_xor_b32 s0, exec_lo, s27
; %bb.15:                               ;   in Loop: Header=BB14_14 Depth=2
	v_min_i32_e32 v51, v33, v51
                                        ; implicit-def: $vgpr33
                                        ; implicit-def: $vgpr52
                                        ; implicit-def: $vgpr34_vgpr35
; %bb.16:                               ;   in Loop: Header=BB14_14 Depth=2
	s_or_saveexec_b32 s0, s0
	v_dual_mov_b32 v32, v8 :: v_dual_mov_b32 v31, v7
	s_xor_b32 exec_lo, exec_lo, s0
	s_cbranch_execz .LBB14_13
; %bb.17:                               ;   in Loop: Header=BB14_14 Depth=2
	global_load_b32 v53, v[27:28], off
	v_mul_lo_u32 v31, v33, s10
	s_delay_alu instid0(VALU_DEP_1) | instskip(NEXT) | instid1(VALU_DEP_1)
	v_sub_nc_u32_e32 v31, v52, v31
	v_add_lshl_u32 v33, v37, v31, 2
	v_dual_mov_b32 v31, v34 :: v_dual_mov_b32 v32, v35
	ds_store_b8 v36, v5 offset:8192
	s_waitcnt vmcnt(0)
	ds_store_b32 v33, v53
	s_branch .LBB14_13
.LBB14_18:                              ;   in Loop: Header=BB14_11 Depth=1
	s_or_b32 exec_lo, exec_lo, s26
.LBB14_19:                              ;   in Loop: Header=BB14_11 Depth=1
	s_delay_alu instid0(SALU_CYCLE_1)
	s_or_b32 exec_lo, exec_lo, s1
	ds_bpermute_b32 v7, v38, v31
	ds_bpermute_b32 v8, v38, v32
	s_waitcnt lgkmcnt(0)
	buffer_gl0_inv
	ds_load_u8 v26, v36 offset:8192
	s_mov_b32 s26, exec_lo
	v_cmp_lt_i64_e32 vcc_lo, v[7:8], v[31:32]
	s_waitcnt lgkmcnt(0)
	v_and_b32_e32 v28, 1, v26
	v_mov_b32_e32 v26, 0
	v_dual_mov_b32 v27, 0 :: v_dual_cndmask_b32 v8, v32, v8
	v_cndmask_b32_e32 v7, v31, v7, vcc_lo
	ds_bpermute_b32 v8, v39, v8
	ds_bpermute_b32 v7, v39, v7
	v_cmpx_eq_u32_e32 1, v28
	s_cbranch_execz .LBB14_10
; %bb.20:                               ;   in Loop: Header=BB14_11 Depth=1
	v_mul_lo_u32 v28, s20, v3
	v_mul_lo_u32 v29, s21, v4
	v_mad_u64_u32 v[26:27], null, s21, v3, 0
	v_add_nc_u32_e32 v33, s18, v25
	s_delay_alu instid0(VALU_DEP_2) | instskip(SKIP_1) | instid1(VALU_DEP_2)
	v_add3_u32 v27, v27, v29, v28
	v_lshlrev_b64 v[28:29], 2, v[3:4]
	v_lshlrev_b64 v[25:26], 2, v[26:27]
	s_delay_alu instid0(VALU_DEP_2) | instskip(NEXT) | instid1(VALU_DEP_3)
	v_add_co_u32 v31, vcc_lo, s14, v28
	v_add_co_ci_u32_e32 v32, vcc_lo, s15, v29, vcc_lo
	s_delay_alu instid0(VALU_DEP_3) | instskip(NEXT) | instid1(VALU_DEP_4)
	v_add_co_u32 v29, vcc_lo, v40, v25
	v_add_co_ci_u32_e32 v30, vcc_lo, v41, v26, vcc_lo
	v_add_co_u32 v25, vcc_lo, v42, v25
	v_add_co_ci_u32_e32 v28, vcc_lo, v43, v26, vcc_lo
	global_store_b32 v[31:32], v33, off
	s_and_saveexec_b32 s0, s23
	s_cbranch_execz .LBB14_24
; %bb.21:                               ;   in Loop: Header=BB14_11 Depth=1
	s_and_b32 vcc_lo, exec_lo, s19
	s_cbranch_vccz .LBB14_51
; %bb.22:                               ;   in Loop: Header=BB14_11 Depth=1
	ds_load_b32 v31, v49
	v_add_co_u32 v26, vcc_lo, v29, v9
	v_add_co_ci_u32_e32 v27, vcc_lo, v30, v10, vcc_lo
	s_waitcnt lgkmcnt(0)
	global_store_b32 v[26:27], v31, off
	s_cbranch_execnz .LBB14_24
.LBB14_23:                              ;   in Loop: Header=BB14_11 Depth=1
	ds_load_b32 v31, v49
	v_lshlrev_b32_e32 v26, 2, v0
	s_delay_alu instid0(VALU_DEP_1)
	v_add_co_u32 v26, vcc_lo, v25, v26
	v_add_co_ci_u32_e32 v27, vcc_lo, 0, v28, vcc_lo
	s_waitcnt lgkmcnt(0)
	global_store_b32 v[26:27], v31, off
.LBB14_24:                              ;   in Loop: Header=BB14_11 Depth=1
	s_or_b32 exec_lo, exec_lo, s0
	s_and_saveexec_b32 s0, s24
	s_cbranch_execz .LBB14_28
; %bb.25:                               ;   in Loop: Header=BB14_11 Depth=1
	s_and_not1_b32 vcc_lo, exec_lo, s19
	s_cbranch_vccnz .LBB14_52
; %bb.26:                               ;   in Loop: Header=BB14_11 Depth=1
	ds_load_b32 v31, v49 offset:8
	v_add_co_u32 v26, vcc_lo, v29, v11
	v_add_co_ci_u32_e32 v27, vcc_lo, v30, v12, vcc_lo
	s_waitcnt lgkmcnt(0)
	global_store_b32 v[26:27], v31, off
	s_cbranch_execnz .LBB14_28
.LBB14_27:                              ;   in Loop: Header=BB14_11 Depth=1
	ds_load_b32 v31, v49 offset:8
	v_lshlrev_b32_e32 v26, 2, v0
	s_delay_alu instid0(VALU_DEP_1)
	v_add_co_u32 v26, vcc_lo, v25, v26
	v_add_co_ci_u32_e32 v27, vcc_lo, 0, v28, vcc_lo
	s_waitcnt lgkmcnt(0)
	global_store_b32 v[26:27], v31, off offset:8
.LBB14_28:                              ;   in Loop: Header=BB14_11 Depth=1
	s_or_b32 exec_lo, exec_lo, s0
	s_and_saveexec_b32 s0, s2
	s_cbranch_execz .LBB14_32
; %bb.29:                               ;   in Loop: Header=BB14_11 Depth=1
	s_and_not1_b32 vcc_lo, exec_lo, s19
	s_cbranch_vccnz .LBB14_53
; %bb.30:                               ;   in Loop: Header=BB14_11 Depth=1
	ds_load_b32 v31, v49 offset:16
	v_add_co_u32 v26, vcc_lo, v29, v13
	v_add_co_ci_u32_e32 v27, vcc_lo, v30, v14, vcc_lo
	s_waitcnt lgkmcnt(0)
	global_store_b32 v[26:27], v31, off
	s_cbranch_execnz .LBB14_32
.LBB14_31:                              ;   in Loop: Header=BB14_11 Depth=1
	ds_load_b32 v31, v49 offset:16
	v_lshlrev_b32_e32 v26, 2, v0
	s_delay_alu instid0(VALU_DEP_1)
	v_add_co_u32 v26, vcc_lo, v25, v26
	v_add_co_ci_u32_e32 v27, vcc_lo, 0, v28, vcc_lo
	s_waitcnt lgkmcnt(0)
	global_store_b32 v[26:27], v31, off offset:16
.LBB14_32:                              ;   in Loop: Header=BB14_11 Depth=1
	s_or_b32 exec_lo, exec_lo, s0
	s_and_saveexec_b32 s0, s3
	s_cbranch_execz .LBB14_36
; %bb.33:                               ;   in Loop: Header=BB14_11 Depth=1
	s_and_not1_b32 vcc_lo, exec_lo, s19
	s_cbranch_vccnz .LBB14_54
; %bb.34:                               ;   in Loop: Header=BB14_11 Depth=1
	ds_load_b32 v31, v49 offset:24
	v_add_co_u32 v26, vcc_lo, v29, v15
	v_add_co_ci_u32_e32 v27, vcc_lo, v30, v16, vcc_lo
	s_waitcnt lgkmcnt(0)
	global_store_b32 v[26:27], v31, off
	s_cbranch_execnz .LBB14_36
.LBB14_35:                              ;   in Loop: Header=BB14_11 Depth=1
	ds_load_b32 v31, v49 offset:24
	v_lshlrev_b32_e32 v26, 2, v0
	s_delay_alu instid0(VALU_DEP_1)
	v_add_co_u32 v26, vcc_lo, v25, v26
	v_add_co_ci_u32_e32 v27, vcc_lo, 0, v28, vcc_lo
	s_waitcnt lgkmcnt(0)
	global_store_b32 v[26:27], v31, off offset:24
.LBB14_36:                              ;   in Loop: Header=BB14_11 Depth=1
	s_or_b32 exec_lo, exec_lo, s0
	s_and_saveexec_b32 s0, s4
	s_cbranch_execz .LBB14_40
; %bb.37:                               ;   in Loop: Header=BB14_11 Depth=1
	s_and_not1_b32 vcc_lo, exec_lo, s19
	s_cbranch_vccnz .LBB14_55
; %bb.38:                               ;   in Loop: Header=BB14_11 Depth=1
	ds_load_b32 v31, v49 offset:32
	v_add_co_u32 v26, vcc_lo, v29, v17
	v_add_co_ci_u32_e32 v27, vcc_lo, v30, v18, vcc_lo
	s_waitcnt lgkmcnt(0)
	global_store_b32 v[26:27], v31, off
	s_cbranch_execnz .LBB14_40
.LBB14_39:                              ;   in Loop: Header=BB14_11 Depth=1
	ds_load_b32 v31, v49 offset:32
	v_lshlrev_b32_e32 v26, 2, v0
	s_delay_alu instid0(VALU_DEP_1)
	v_add_co_u32 v26, vcc_lo, v25, v26
	v_add_co_ci_u32_e32 v27, vcc_lo, 0, v28, vcc_lo
	s_waitcnt lgkmcnt(0)
	global_store_b32 v[26:27], v31, off offset:32
.LBB14_40:                              ;   in Loop: Header=BB14_11 Depth=1
	s_or_b32 exec_lo, exec_lo, s0
	s_and_saveexec_b32 s0, s5
	s_cbranch_execz .LBB14_44
; %bb.41:                               ;   in Loop: Header=BB14_11 Depth=1
	s_and_not1_b32 vcc_lo, exec_lo, s19
	s_cbranch_vccnz .LBB14_56
; %bb.42:                               ;   in Loop: Header=BB14_11 Depth=1
	ds_load_b32 v31, v49 offset:40
	v_add_co_u32 v26, vcc_lo, v29, v19
	v_add_co_ci_u32_e32 v27, vcc_lo, v30, v20, vcc_lo
	s_waitcnt lgkmcnt(0)
	global_store_b32 v[26:27], v31, off
	s_cbranch_execnz .LBB14_44
.LBB14_43:                              ;   in Loop: Header=BB14_11 Depth=1
	ds_load_b32 v31, v49 offset:40
	v_lshlrev_b32_e32 v26, 2, v0
	s_delay_alu instid0(VALU_DEP_1)
	v_add_co_u32 v26, vcc_lo, v25, v26
	v_add_co_ci_u32_e32 v27, vcc_lo, 0, v28, vcc_lo
	s_waitcnt lgkmcnt(0)
	global_store_b32 v[26:27], v31, off offset:40
.LBB14_44:                              ;   in Loop: Header=BB14_11 Depth=1
	s_or_b32 exec_lo, exec_lo, s0
	s_and_saveexec_b32 s0, s6
	s_cbranch_execz .LBB14_48
; %bb.45:                               ;   in Loop: Header=BB14_11 Depth=1
	s_and_not1_b32 vcc_lo, exec_lo, s19
	s_cbranch_vccnz .LBB14_57
; %bb.46:                               ;   in Loop: Header=BB14_11 Depth=1
	ds_load_b32 v31, v49 offset:48
	v_add_co_u32 v26, vcc_lo, v29, v21
	v_add_co_ci_u32_e32 v27, vcc_lo, v30, v22, vcc_lo
	s_waitcnt lgkmcnt(0)
	global_store_b32 v[26:27], v31, off
	s_cbranch_execnz .LBB14_48
.LBB14_47:                              ;   in Loop: Header=BB14_11 Depth=1
	ds_load_b32 v31, v49 offset:48
	v_lshlrev_b32_e32 v26, 2, v0
	s_delay_alu instid0(VALU_DEP_1)
	v_add_co_u32 v26, vcc_lo, v25, v26
	v_add_co_ci_u32_e32 v27, vcc_lo, 0, v28, vcc_lo
	s_waitcnt lgkmcnt(0)
	global_store_b32 v[26:27], v31, off offset:48
.LBB14_48:                              ;   in Loop: Header=BB14_11 Depth=1
	s_or_b32 exec_lo, exec_lo, s0
	v_mov_b32_e32 v26, 1
	v_mov_b32_e32 v27, 0
	s_and_saveexec_b32 s27, s7
	s_cbranch_execz .LBB14_9
; %bb.49:                               ;   in Loop: Header=BB14_11 Depth=1
	s_and_not1_b32 vcc_lo, exec_lo, s19
	s_cbranch_vccnz .LBB14_58
; %bb.50:                               ;   in Loop: Header=BB14_11 Depth=1
	ds_load_b32 v31, v49 offset:56
	v_add_co_u32 v26, vcc_lo, v29, v23
	v_add_co_ci_u32_e32 v27, vcc_lo, v30, v24, vcc_lo
	s_mov_b64 s[0:1], 1
	s_waitcnt lgkmcnt(0)
	global_store_b32 v[26:27], v31, off
	s_cbranch_execnz .LBB14_8
	s_branch .LBB14_59
.LBB14_51:                              ;   in Loop: Header=BB14_11 Depth=1
	s_branch .LBB14_23
.LBB14_52:                              ;   in Loop: Header=BB14_11 Depth=1
	s_branch .LBB14_27
.LBB14_53:                              ;   in Loop: Header=BB14_11 Depth=1
	s_branch .LBB14_31
.LBB14_54:                              ;   in Loop: Header=BB14_11 Depth=1
	s_branch .LBB14_35
.LBB14_55:                              ;   in Loop: Header=BB14_11 Depth=1
	s_branch .LBB14_39
.LBB14_56:                              ;   in Loop: Header=BB14_11 Depth=1
	s_branch .LBB14_43
.LBB14_57:                              ;   in Loop: Header=BB14_11 Depth=1
	s_branch .LBB14_47
.LBB14_58:                              ;   in Loop: Header=BB14_11 Depth=1
                                        ; implicit-def: $sgpr0_sgpr1
.LBB14_59:                              ;   in Loop: Header=BB14_11 Depth=1
	ds_load_b32 v27, v49 offset:56
	v_lshlrev_b32_e32 v26, 2, v0
	s_mov_b64 s[0:1], 1
	s_delay_alu instid0(VALU_DEP_1)
	v_add_co_u32 v25, vcc_lo, v25, v26
	v_add_co_ci_u32_e32 v26, vcc_lo, 0, v28, vcc_lo
	s_waitcnt lgkmcnt(0)
	global_store_b32 v[25:26], v27, off offset:56
	s_branch .LBB14_8
.LBB14_60:
	s_endpgm
	.section	.rodata,"a",@progbits
	.p2align	6, 0x0
	.amdhsa_kernel _ZN9rocsparseL42csr2bsr_wavefront_per_row_multipass_kernelILj256ELj32ELj16EiliEEv20rocsparse_direction_T4_S2_S2_S2_S2_21rocsparse_index_base_PKT2_PKT3_PKS2_S3_PS4_PS7_PS2_
		.amdhsa_group_segment_fixed_size 8200
		.amdhsa_private_segment_fixed_size 0
		.amdhsa_kernarg_size 88
		.amdhsa_user_sgpr_count 15
		.amdhsa_user_sgpr_dispatch_ptr 0
		.amdhsa_user_sgpr_queue_ptr 0
		.amdhsa_user_sgpr_kernarg_segment_ptr 1
		.amdhsa_user_sgpr_dispatch_id 0
		.amdhsa_user_sgpr_private_segment_size 0
		.amdhsa_wavefront_size32 1
		.amdhsa_uses_dynamic_stack 0
		.amdhsa_enable_private_segment 0
		.amdhsa_system_sgpr_workgroup_id_x 1
		.amdhsa_system_sgpr_workgroup_id_y 0
		.amdhsa_system_sgpr_workgroup_id_z 0
		.amdhsa_system_sgpr_workgroup_info 0
		.amdhsa_system_vgpr_workitem_id 0
		.amdhsa_next_free_vgpr 54
		.amdhsa_next_free_sgpr 28
		.amdhsa_reserve_vcc 1
		.amdhsa_float_round_mode_32 0
		.amdhsa_float_round_mode_16_64 0
		.amdhsa_float_denorm_mode_32 3
		.amdhsa_float_denorm_mode_16_64 3
		.amdhsa_dx10_clamp 1
		.amdhsa_ieee_mode 1
		.amdhsa_fp16_overflow 0
		.amdhsa_workgroup_processor_mode 1
		.amdhsa_memory_ordered 1
		.amdhsa_forward_progress 0
		.amdhsa_shared_vgpr_count 0
		.amdhsa_exception_fp_ieee_invalid_op 0
		.amdhsa_exception_fp_denorm_src 0
		.amdhsa_exception_fp_ieee_div_zero 0
		.amdhsa_exception_fp_ieee_overflow 0
		.amdhsa_exception_fp_ieee_underflow 0
		.amdhsa_exception_fp_ieee_inexact 0
		.amdhsa_exception_int_div_zero 0
	.end_amdhsa_kernel
	.section	.text._ZN9rocsparseL42csr2bsr_wavefront_per_row_multipass_kernelILj256ELj32ELj16EiliEEv20rocsparse_direction_T4_S2_S2_S2_S2_21rocsparse_index_base_PKT2_PKT3_PKS2_S3_PS4_PS7_PS2_,"axG",@progbits,_ZN9rocsparseL42csr2bsr_wavefront_per_row_multipass_kernelILj256ELj32ELj16EiliEEv20rocsparse_direction_T4_S2_S2_S2_S2_21rocsparse_index_base_PKT2_PKT3_PKS2_S3_PS4_PS7_PS2_,comdat
.Lfunc_end14:
	.size	_ZN9rocsparseL42csr2bsr_wavefront_per_row_multipass_kernelILj256ELj32ELj16EiliEEv20rocsparse_direction_T4_S2_S2_S2_S2_21rocsparse_index_base_PKT2_PKT3_PKS2_S3_PS4_PS7_PS2_, .Lfunc_end14-_ZN9rocsparseL42csr2bsr_wavefront_per_row_multipass_kernelILj256ELj32ELj16EiliEEv20rocsparse_direction_T4_S2_S2_S2_S2_21rocsparse_index_base_PKT2_PKT3_PKS2_S3_PS4_PS7_PS2_
                                        ; -- End function
	.section	.AMDGPU.csdata,"",@progbits
; Kernel info:
; codeLenInByte = 2708
; NumSgprs: 30
; NumVgprs: 54
; ScratchSize: 0
; MemoryBound: 0
; FloatMode: 240
; IeeeMode: 1
; LDSByteSize: 8200 bytes/workgroup (compile time only)
; SGPRBlocks: 3
; VGPRBlocks: 6
; NumSGPRsForWavesPerEU: 30
; NumVGPRsForWavesPerEU: 54
; Occupancy: 16
; WaveLimiterHint : 0
; COMPUTE_PGM_RSRC2:SCRATCH_EN: 0
; COMPUTE_PGM_RSRC2:USER_SGPR: 15
; COMPUTE_PGM_RSRC2:TRAP_HANDLER: 0
; COMPUTE_PGM_RSRC2:TGID_X_EN: 1
; COMPUTE_PGM_RSRC2:TGID_Y_EN: 0
; COMPUTE_PGM_RSRC2:TGID_Z_EN: 0
; COMPUTE_PGM_RSRC2:TIDIG_COMP_CNT: 0
	.section	.text._ZN9rocsparseL38csr2bsr_block_per_row_multipass_kernelILj256ELj32EiliEEv20rocsparse_direction_T3_S2_S2_S2_S2_21rocsparse_index_base_PKT1_PKT2_PKS2_S3_PS4_PS7_PS2_,"axG",@progbits,_ZN9rocsparseL38csr2bsr_block_per_row_multipass_kernelILj256ELj32EiliEEv20rocsparse_direction_T3_S2_S2_S2_S2_21rocsparse_index_base_PKT1_PKT2_PKS2_S3_PS4_PS7_PS2_,comdat
	.globl	_ZN9rocsparseL38csr2bsr_block_per_row_multipass_kernelILj256ELj32EiliEEv20rocsparse_direction_T3_S2_S2_S2_S2_21rocsparse_index_base_PKT1_PKT2_PKS2_S3_PS4_PS7_PS2_ ; -- Begin function _ZN9rocsparseL38csr2bsr_block_per_row_multipass_kernelILj256ELj32EiliEEv20rocsparse_direction_T3_S2_S2_S2_S2_21rocsparse_index_base_PKT1_PKT2_PKS2_S3_PS4_PS7_PS2_
	.p2align	8
	.type	_ZN9rocsparseL38csr2bsr_block_per_row_multipass_kernelILj256ELj32EiliEEv20rocsparse_direction_T3_S2_S2_S2_S2_21rocsparse_index_base_PKT1_PKT2_PKS2_S3_PS4_PS7_PS2_,@function
_ZN9rocsparseL38csr2bsr_block_per_row_multipass_kernelILj256ELj32EiliEEv20rocsparse_direction_T3_S2_S2_S2_S2_21rocsparse_index_base_PKT1_PKT2_PKS2_S3_PS4_PS7_PS2_: ; @_ZN9rocsparseL38csr2bsr_block_per_row_multipass_kernelILj256ELj32EiliEEv20rocsparse_direction_T3_S2_S2_S2_S2_21rocsparse_index_base_PKT1_PKT2_PKS2_S3_PS4_PS7_PS2_
; %bb.0:
	s_clause 0x1
	s_load_b128 s[16:19], s[0:1], 0x10
	s_load_b64 s[8:9], s[0:1], 0x0
	v_lshrrev_b32_e32 v3, 3, v0
	s_load_b64 s[6:7], s[0:1], 0x28
	s_mov_b32 s4, s15
	v_mov_b32_e32 v1, 0
	v_mov_b32_e32 v2, 0
	s_delay_alu instid0(VALU_DEP_1) | instskip(SKIP_3) | instid1(VALU_DEP_2)
	v_dual_mov_b32 v10, v2 :: v_dual_mov_b32 v9, v1
	s_waitcnt lgkmcnt(0)
	v_mad_u64_u32 v[4:5], null, s4, s17, v[3:4]
	v_cmp_gt_i32_e32 vcc_lo, s17, v3
	v_cmp_gt_i32_e64 s2, s9, v4
	s_delay_alu instid0(VALU_DEP_1) | instskip(NEXT) | instid1(SALU_CYCLE_1)
	s_and_b32 s3, vcc_lo, s2
	s_and_saveexec_b32 s5, s3
	s_cbranch_execnz .LBB15_3
; %bb.1:
	s_or_b32 exec_lo, exec_lo, s5
	s_and_saveexec_b32 s5, s3
	s_cbranch_execnz .LBB15_4
.LBB15_2:
	s_or_b32 exec_lo, exec_lo, s5
	s_cmp_lt_i32 s16, 1
	s_cbranch_scc0 .LBB15_5
	s_branch .LBB15_41
.LBB15_3:
	v_ashrrev_i32_e32 v5, 31, v4
	s_delay_alu instid0(VALU_DEP_1) | instskip(NEXT) | instid1(VALU_DEP_1)
	v_lshlrev_b64 v[5:6], 3, v[4:5]
	v_add_co_u32 v5, s2, s6, v5
	s_delay_alu instid0(VALU_DEP_1) | instskip(SKIP_3) | instid1(VALU_DEP_1)
	v_add_co_ci_u32_e64 v6, s2, s7, v6, s2
	global_load_b64 v[5:6], v[5:6], off
	s_waitcnt vmcnt(0)
	v_sub_co_u32 v9, s2, v5, s18
	v_subrev_co_ci_u32_e64 v10, s2, 0, v6, s2
	s_or_b32 exec_lo, exec_lo, s5
	s_and_saveexec_b32 s5, s3
	s_cbranch_execz .LBB15_2
.LBB15_4:
	v_ashrrev_i32_e32 v5, 31, v4
	s_delay_alu instid0(VALU_DEP_1) | instskip(NEXT) | instid1(VALU_DEP_1)
	v_lshlrev_b64 v[1:2], 3, v[4:5]
	v_add_co_u32 v1, s2, s6, v1
	s_delay_alu instid0(VALU_DEP_1) | instskip(SKIP_3) | instid1(VALU_DEP_1)
	v_add_co_ci_u32_e64 v2, s2, s7, v2, s2
	global_load_b64 v[1:2], v[1:2], off offset:8
	s_waitcnt vmcnt(0)
	v_sub_co_u32 v1, s2, v1, s18
	v_subrev_co_ci_u32_e64 v2, s2, 0, v2, s2
	s_or_b32 exec_lo, exec_lo, s5
	s_cmp_lt_i32 s16, 1
	s_cbranch_scc1 .LBB15_41
.LBB15_5:
	s_clause 0x4
	s_load_b128 s[20:23], s[0:1], 0x40
	s_load_b64 s[14:15], s[0:1], 0x50
	s_load_b64 s[24:25], s[0:1], 0x20
	;; [unrolled: 1-line block ×3, first 2 shown]
	s_load_b32 s19, s[0:1], 0x38
	s_ashr_i32 s5, s4, 31
	v_mbcnt_lo_u32_b32 v5, -1, 0
	s_lshl_b64 s[0:1], s[4:5], 3
	v_dual_mov_b32 v4, 0 :: v_dual_lshlrev_b32 v27, 5, v3
	v_lshlrev_b32_e32 v7, 2, v3
	s_delay_alu instid0(VALU_DEP_3)
	v_xor_b32_e32 v6, 4, v5
	v_xor_b32_e32 v11, 2, v5
	;; [unrolled: 1-line block ×3, first 2 shown]
	v_mul_lo_u32 v3, v3, s17
	v_dual_mov_b32 v15, 0 :: v_dual_and_b32 v26, 7, v0
	v_cmp_gt_u32_e64 s2, 32, v0
	v_cmp_gt_u32_e64 s3, 16, v0
	;; [unrolled: 1-line block ×3, first 2 shown]
	s_waitcnt lgkmcnt(0)
	s_add_u32 s0, s22, s0
	s_addc_u32 s1, s23, s1
	v_cmp_gt_u32_e64 s5, 4, v0
	s_load_b64 s[10:11], s[0:1], 0x0
	v_cmp_gt_u32_e64 s0, 0x80, v0
	v_cmp_gt_u32_e64 s1, 64, v0
	;; [unrolled: 1-line block ×3, first 2 shown]
	v_cmp_eq_u32_e64 s7, 0, v0
	v_or_b32_e32 v20, v27, v26
	v_lshlrev_b64 v[17:18], 2, v[3:4]
	v_mul_lo_u32 v3, v26, s17
	v_mov_b32_e32 v12, v4
	s_delay_alu instid0(VALU_DEP_4)
	v_dual_mov_b32 v16, 0 :: v_dual_lshlrev_b32 v29, 2, v20
	v_dual_mov_b32 v8, v4 :: v_dual_lshlrev_b32 v19, 2, v26
	v_or_b32_e32 v21, 8, v26
	v_or_b32_e32 v22, 16, v26
	;; [unrolled: 1-line block ×3, first 2 shown]
	v_cmp_gt_u32_e64 s9, s17, v26
	s_mul_hi_u32 s28, s17, s17
	s_mul_i32 s29, s17, s17
	v_mov_b32_e32 v37, 1
	s_waitcnt lgkmcnt(0)
	s_sub_u32 s22, s10, s19
	s_subb_u32 s23, s11, 0
	s_cmp_eq_u32 s8, 0
	v_cmp_gt_i32_e64 s10, 32, v6
	s_cselect_b32 s8, -1, 0
	s_abs_i32 s30, s17
	s_lshl_b32 s31, s17, 3
	v_cvt_f32_u32_e32 v23, s30
	v_cndmask_b32_e64 v6, v5, v6, s10
	v_cmp_gt_i32_e64 s10, 32, v11
	s_sub_i32 s13, 0, s30
	v_cmp_gt_u32_e64 s11, s17, v22
	v_rcp_iflag_f32_e32 v23, v23
	v_lshlrev_b32_e32 v28, 2, v0
	v_cndmask_b32_e64 v11, v5, v11, s10
	v_cmp_gt_i32_e64 s10, 32, v13
	v_lshl_or_b32 v0, v5, 2, 28
	v_mov_b32_e32 v14, v4
	v_lshlrev_b32_e32 v30, 2, v6
	v_lshlrev_b32_e32 v31, 2, v11
	v_cndmask_b32_e64 v5, v5, v13, s10
	v_cmp_gt_u32_e64 s10, s17, v21
	v_mul_f32_e32 v13, 0x4f7ffffe, v23
	v_cmp_gt_u32_e64 s12, s17, v24
	s_delay_alu instid0(VALU_DEP_4) | instskip(SKIP_1) | instid1(VALU_DEP_4)
	v_lshlrev_b32_e32 v32, 2, v5
	v_lshlrev_b64 v[5:6], 2, v[3:4]
	v_cvt_u32_f32_e32 v20, v13
	s_delay_alu instid0(VALU_DEP_4) | instskip(NEXT) | instid1(VALU_DEP_1)
	s_and_b32 s12, vcc_lo, s12
	v_mul_lo_u32 v13, s13, v20
	v_add_co_u32 v33, s13, s20, v7
	v_add_nc_u32_e32 v7, s31, v3
	v_add_co_ci_u32_e64 v34, null, s21, 0, s13
	v_add_co_u32 v3, s13, s20, v17
	s_delay_alu instid0(VALU_DEP_3) | instskip(SKIP_2) | instid1(VALU_DEP_4)
	v_add_nc_u32_e32 v11, s31, v7
	v_add_co_ci_u32_e64 v17, s13, s21, v18, s13
	v_mul_hi_u32 v18, v20, v13
	v_add_co_u32 v3, s13, v3, v19
	s_delay_alu instid0(VALU_DEP_4) | instskip(SKIP_3) | instid1(VALU_DEP_4)
	v_add_nc_u32_e32 v13, s31, v11
	v_lshlrev_b64 v[7:8], 2, v[7:8]
	v_lshlrev_b64 v[11:12], 2, v[11:12]
	v_add_co_ci_u32_e64 v35, s13, 0, v17, s13
	v_lshlrev_b64 v[13:14], 2, v[13:14]
	v_add_nc_u32_e32 v36, v20, v18
	s_and_b32 s13, vcc_lo, s9
	s_and_b32 s20, vcc_lo, s10
	;; [unrolled: 1-line block ×3, first 2 shown]
	s_ashr_i32 s31, s17, 31
	s_branch .LBB15_7
.LBB15_6:                               ;   in Loop: Header=BB15_7 Depth=1
	s_or_b32 exec_lo, exec_lo, s9
	s_waitcnt lgkmcnt(0)
	s_barrier
	buffer_gl0_inv
	ds_load_b32 v15, v4
	s_add_u32 s22, s10, s22
	s_addc_u32 s23, s11, s23
	s_waitcnt lgkmcnt(0)
	s_barrier
	buffer_gl0_inv
	v_cmp_gt_i32_e32 vcc_lo, s16, v15
	v_ashrrev_i32_e32 v16, 31, v15
	s_cbranch_vccz .LBB15_41
.LBB15_7:                               ; =>This Loop Header: Depth=1
                                        ;     Child Loop BB15_10 Depth 2
	v_add_co_u32 v9, vcc_lo, v9, v26
	v_mov_b32_e32 v22, v2
	v_add_co_ci_u32_e32 v10, vcc_lo, 0, v10, vcc_lo
	v_dual_mov_b32 v38, s16 :: v_dual_mov_b32 v21, v1
	s_mov_b32 s10, exec_lo
	ds_store_b8 v4, v4 offset:4096
	ds_store_2addr_b32 v29, v4, v4 offset1:8
	ds_store_2addr_b32 v29, v4, v4 offset0:16 offset1:24
	s_waitcnt lgkmcnt(0)
	s_barrier
	buffer_gl0_inv
	v_cmpx_lt_i64_e64 v[9:10], v[1:2]
	s_cbranch_execz .LBB15_15
; %bb.8:                                ;   in Loop: Header=BB15_7 Depth=1
	v_lshlrev_b64 v[19:20], 2, v[9:10]
	v_mov_b32_e32 v22, v2
	v_dual_mov_b32 v38, s16 :: v_dual_mov_b32 v21, v1
	s_mov_b32 s11, 0
	s_delay_alu instid0(VALU_DEP_3) | instskip(NEXT) | instid1(VALU_DEP_4)
	v_add_co_u32 v17, vcc_lo, s24, v19
	v_add_co_ci_u32_e32 v18, vcc_lo, s25, v20, vcc_lo
	v_add_co_u32 v19, vcc_lo, s26, v19
	v_add_co_ci_u32_e32 v20, vcc_lo, s27, v20, vcc_lo
	s_branch .LBB15_10
.LBB15_9:                               ;   in Loop: Header=BB15_10 Depth=2
	s_or_b32 exec_lo, exec_lo, s9
	v_add_co_u32 v9, s9, v9, 8
	s_delay_alu instid0(VALU_DEP_1) | instskip(SKIP_2) | instid1(VALU_DEP_2)
	v_add_co_ci_u32_e64 v10, s9, 0, v10, s9
	s_xor_b32 s33, vcc_lo, -1
	v_add_co_u32 v17, vcc_lo, v17, 32
	v_cmp_ge_i64_e64 s9, v[9:10], v[1:2]
	v_add_co_ci_u32_e32 v18, vcc_lo, 0, v18, vcc_lo
	v_add_co_u32 v19, vcc_lo, v19, 32
	v_add_co_ci_u32_e32 v20, vcc_lo, 0, v20, vcc_lo
	s_delay_alu instid0(VALU_DEP_4) | instskip(NEXT) | instid1(SALU_CYCLE_1)
	s_or_b32 s9, s33, s9
	s_and_b32 s9, exec_lo, s9
	s_delay_alu instid0(SALU_CYCLE_1) | instskip(NEXT) | instid1(SALU_CYCLE_1)
	s_or_b32 s11, s9, s11
	s_and_not1_b32 exec_lo, exec_lo, s11
	s_cbranch_execz .LBB15_14
.LBB15_10:                              ;   Parent Loop BB15_7 Depth=1
                                        ; =>  This Inner Loop Header: Depth=2
	global_load_b32 v23, v[19:20], off
	s_waitcnt vmcnt(0)
	v_subrev_nc_u32_e32 v39, s18, v23
	s_delay_alu instid0(VALU_DEP_1) | instskip(NEXT) | instid1(VALU_DEP_1)
	v_sub_nc_u32_e32 v23, 0, v39
	v_max_i32_e32 v23, v39, v23
	s_delay_alu instid0(VALU_DEP_1) | instskip(NEXT) | instid1(VALU_DEP_1)
	v_mul_hi_u32 v24, v23, v36
	v_mul_lo_u32 v25, v24, s30
	s_delay_alu instid0(VALU_DEP_1) | instskip(SKIP_1) | instid1(VALU_DEP_2)
	v_sub_nc_u32_e32 v23, v23, v25
	v_add_nc_u32_e32 v25, 1, v24
	v_subrev_nc_u32_e32 v40, s30, v23
	v_cmp_le_u32_e32 vcc_lo, s30, v23
	s_delay_alu instid0(VALU_DEP_2) | instskip(SKIP_1) | instid1(VALU_DEP_2)
	v_dual_cndmask_b32 v24, v24, v25 :: v_dual_cndmask_b32 v23, v23, v40
	v_ashrrev_i32_e32 v25, 31, v39
	v_add_nc_u32_e32 v40, 1, v24
	s_delay_alu instid0(VALU_DEP_3) | instskip(NEXT) | instid1(VALU_DEP_3)
	v_cmp_le_u32_e32 vcc_lo, s30, v23
	v_xor_b32_e32 v25, s31, v25
	s_delay_alu instid0(VALU_DEP_3) | instskip(NEXT) | instid1(VALU_DEP_1)
	v_cndmask_b32_e32 v23, v24, v40, vcc_lo
	v_xor_b32_e32 v23, v23, v25
	s_delay_alu instid0(VALU_DEP_1) | instskip(NEXT) | instid1(VALU_DEP_1)
	v_sub_nc_u32_e32 v23, v23, v25
	v_ashrrev_i32_e32 v24, 31, v23
	s_delay_alu instid0(VALU_DEP_1) | instskip(SKIP_2) | instid1(VALU_DEP_2)
	v_cmp_eq_u64_e32 vcc_lo, v[15:16], v[23:24]
	v_cmp_ne_u64_e64 s9, v[15:16], v[23:24]
	v_dual_mov_b32 v25, v22 :: v_dual_mov_b32 v24, v21
	s_and_saveexec_b32 s33, s9
	s_delay_alu instid0(SALU_CYCLE_1)
	s_xor_b32 s9, exec_lo, s33
; %bb.11:                               ;   in Loop: Header=BB15_10 Depth=2
	v_min_i32_e32 v38, v23, v38
                                        ; implicit-def: $vgpr23
                                        ; implicit-def: $vgpr39
                                        ; implicit-def: $vgpr24_vgpr25
; %bb.12:                               ;   in Loop: Header=BB15_10 Depth=2
	s_or_saveexec_b32 s9, s9
	v_dual_mov_b32 v22, v10 :: v_dual_mov_b32 v21, v9
	s_xor_b32 exec_lo, exec_lo, s9
	s_cbranch_execz .LBB15_9
; %bb.13:                               ;   in Loop: Header=BB15_10 Depth=2
	global_load_b32 v40, v[17:18], off
	v_mul_lo_u32 v21, v23, s17
	s_delay_alu instid0(VALU_DEP_1) | instskip(NEXT) | instid1(VALU_DEP_1)
	v_sub_nc_u32_e32 v21, v39, v21
	v_add_lshl_u32 v23, v21, v27, 2
	v_dual_mov_b32 v21, v24 :: v_dual_mov_b32 v22, v25
	ds_store_b8 v4, v37 offset:4096
	s_waitcnt vmcnt(0)
	ds_store_b32 v23, v40
	s_branch .LBB15_9
.LBB15_14:                              ;   in Loop: Header=BB15_7 Depth=1
	s_or_b32 exec_lo, exec_lo, s11
.LBB15_15:                              ;   in Loop: Header=BB15_7 Depth=1
	s_delay_alu instid0(SALU_CYCLE_1)
	s_or_b32 exec_lo, exec_lo, s10
	ds_bpermute_b32 v9, v30, v21
	ds_bpermute_b32 v10, v30, v22
	s_waitcnt lgkmcnt(0)
	s_barrier
	buffer_gl0_inv
	ds_load_u8 v18, v4 offset:4096
	s_mov_b64 s[10:11], 0
	v_cmp_lt_i64_e32 vcc_lo, v[9:10], v[21:22]
	v_dual_cndmask_b32 v10, v22, v10 :: v_dual_cndmask_b32 v9, v21, v9
	ds_bpermute_b32 v17, v31, v10
	ds_bpermute_b32 v16, v31, v9
	s_waitcnt lgkmcnt(0)
	v_cmp_lt_i64_e32 vcc_lo, v[16:17], v[9:10]
	v_dual_cndmask_b32 v10, v10, v17 :: v_dual_cndmask_b32 v9, v9, v16
	ds_bpermute_b32 v17, v32, v10
	ds_bpermute_b32 v16, v32, v9
	s_waitcnt lgkmcnt(0)
	v_cmp_lt_i64_e32 vcc_lo, v[16:17], v[9:10]
	v_dual_cndmask_b32 v10, v10, v17 :: v_dual_cndmask_b32 v9, v9, v16
	v_cmp_eq_u32_e32 vcc_lo, 0, v18
	ds_bpermute_b32 v10, v0, v10
	ds_bpermute_b32 v9, v0, v9
	s_cbranch_vccnz .LBB15_22
; %bb.16:                               ;   in Loop: Header=BB15_7 Depth=1
	s_lshl_b64 s[10:11], s[22:23], 2
	s_mul_i32 s9, s29, s23
	s_mul_hi_u32 s33, s29, s22
	s_add_u32 s10, s14, s10
	s_addc_u32 s11, s15, s11
	s_add_i32 s9, s33, s9
	s_mul_i32 s33, s28, s22
	s_mul_i32 s34, s29, s22
	s_add_i32 s35, s9, s33
	v_add_nc_u32_e32 v19, s19, v15
	s_lshl_b64 s[34:35], s[34:35], 2
	s_delay_alu instid0(SALU_CYCLE_1)
	v_add_co_u32 v15, vcc_lo, v33, s34
	v_add_co_ci_u32_e32 v16, vcc_lo, s35, v34, vcc_lo
	v_add_co_u32 v17, vcc_lo, v3, s34
	v_add_co_ci_u32_e32 v18, vcc_lo, s35, v35, vcc_lo
	global_store_b32 v4, v19, s[10:11]
	s_and_saveexec_b32 s9, s13
	s_cbranch_execnz .LBB15_38
; %bb.17:                               ;   in Loop: Header=BB15_7 Depth=1
	s_or_b32 exec_lo, exec_lo, s9
	s_and_saveexec_b32 s9, s20
	s_cbranch_execnz .LBB15_39
.LBB15_18:                              ;   in Loop: Header=BB15_7 Depth=1
	s_or_b32 exec_lo, exec_lo, s9
	s_and_saveexec_b32 s9, s21
	s_cbranch_execnz .LBB15_40
.LBB15_19:                              ;   in Loop: Header=BB15_7 Depth=1
	s_or_b32 exec_lo, exec_lo, s9
	s_and_saveexec_b32 s9, s12
	s_cbranch_execz .LBB15_21
.LBB15_20:                              ;   in Loop: Header=BB15_7 Depth=1
	ds_load_b32 v19, v29 offset:96
	v_add_co_u32 v17, vcc_lo, 0x60, v17
	v_add_co_ci_u32_e32 v18, vcc_lo, 0, v18, vcc_lo
	v_add_co_u32 v15, vcc_lo, v15, v13
	v_add_co_ci_u32_e32 v16, vcc_lo, v16, v14, vcc_lo
	s_delay_alu instid0(VALU_DEP_2) | instskip(NEXT) | instid1(VALU_DEP_2)
	v_cndmask_b32_e64 v15, v15, v17, s8
	v_cndmask_b32_e64 v16, v16, v18, s8
	s_waitcnt lgkmcnt(0)
	global_store_b32 v[15:16], v19, off
.LBB15_21:                              ;   in Loop: Header=BB15_7 Depth=1
	s_or_b32 exec_lo, exec_lo, s9
	s_mov_b64 s[10:11], 1
.LBB15_22:                              ;   in Loop: Header=BB15_7 Depth=1
	s_waitcnt lgkmcnt(0)
	s_waitcnt_vscnt null, 0x0
	s_barrier
	buffer_gl0_inv
	ds_store_b32 v28, v38
	s_waitcnt lgkmcnt(0)
	s_barrier
	buffer_gl0_inv
	s_and_saveexec_b32 s9, s0
	s_cbranch_execz .LBB15_24
; %bb.23:                               ;   in Loop: Header=BB15_7 Depth=1
	ds_load_2addr_stride64_b32 v[15:16], v28 offset1:2
	s_waitcnt lgkmcnt(0)
	v_min_i32_e32 v15, v16, v15
	ds_store_b32 v28, v15
.LBB15_24:                              ;   in Loop: Header=BB15_7 Depth=1
	s_or_b32 exec_lo, exec_lo, s9
	s_waitcnt lgkmcnt(0)
	s_barrier
	buffer_gl0_inv
	s_and_saveexec_b32 s9, s1
	s_cbranch_execz .LBB15_26
; %bb.25:                               ;   in Loop: Header=BB15_7 Depth=1
	ds_load_2addr_stride64_b32 v[15:16], v28 offset1:1
	s_waitcnt lgkmcnt(0)
	v_min_i32_e32 v15, v16, v15
	ds_store_b32 v28, v15
.LBB15_26:                              ;   in Loop: Header=BB15_7 Depth=1
	s_or_b32 exec_lo, exec_lo, s9
	s_waitcnt lgkmcnt(0)
	s_barrier
	buffer_gl0_inv
	s_and_saveexec_b32 s9, s2
	s_cbranch_execz .LBB15_28
; %bb.27:                               ;   in Loop: Header=BB15_7 Depth=1
	ds_load_2addr_b32 v[15:16], v28 offset1:32
	s_waitcnt lgkmcnt(0)
	v_min_i32_e32 v15, v16, v15
	ds_store_b32 v28, v15
.LBB15_28:                              ;   in Loop: Header=BB15_7 Depth=1
	s_or_b32 exec_lo, exec_lo, s9
	s_waitcnt lgkmcnt(0)
	s_barrier
	buffer_gl0_inv
	s_and_saveexec_b32 s9, s3
	s_cbranch_execz .LBB15_30
; %bb.29:                               ;   in Loop: Header=BB15_7 Depth=1
	ds_load_2addr_b32 v[15:16], v28 offset1:16
	s_waitcnt lgkmcnt(0)
	v_min_i32_e32 v15, v16, v15
	ds_store_b32 v28, v15
.LBB15_30:                              ;   in Loop: Header=BB15_7 Depth=1
	;; [unrolled: 12-line block ×5, first 2 shown]
	s_or_b32 exec_lo, exec_lo, s9
	s_waitcnt lgkmcnt(0)
	s_barrier
	buffer_gl0_inv
	s_and_saveexec_b32 s9, s7
	s_cbranch_execz .LBB15_6
; %bb.37:                               ;   in Loop: Header=BB15_7 Depth=1
	ds_load_b64 v[15:16], v4
	s_waitcnt lgkmcnt(0)
	v_min_i32_e32 v15, v16, v15
	ds_store_b32 v4, v15
	s_branch .LBB15_6
.LBB15_38:                              ;   in Loop: Header=BB15_7 Depth=1
	ds_load_b32 v21, v29
	v_add_co_u32 v19, vcc_lo, v15, v5
	v_add_co_ci_u32_e32 v20, vcc_lo, v16, v6, vcc_lo
	s_delay_alu instid0(VALU_DEP_2) | instskip(NEXT) | instid1(VALU_DEP_2)
	v_cndmask_b32_e64 v19, v19, v17, s8
	v_cndmask_b32_e64 v20, v20, v18, s8
	s_waitcnt lgkmcnt(0)
	global_store_b32 v[19:20], v21, off
	s_or_b32 exec_lo, exec_lo, s9
	s_and_saveexec_b32 s9, s20
	s_cbranch_execz .LBB15_18
.LBB15_39:                              ;   in Loop: Header=BB15_7 Depth=1
	ds_load_b32 v21, v29 offset:32
	v_add_co_u32 v19, vcc_lo, v17, 32
	v_add_co_ci_u32_e32 v20, vcc_lo, 0, v18, vcc_lo
	v_add_co_u32 v22, vcc_lo, v15, v7
	v_add_co_ci_u32_e32 v23, vcc_lo, v16, v8, vcc_lo
	s_delay_alu instid0(VALU_DEP_2) | instskip(NEXT) | instid1(VALU_DEP_2)
	v_cndmask_b32_e64 v19, v22, v19, s8
	v_cndmask_b32_e64 v20, v23, v20, s8
	s_waitcnt lgkmcnt(0)
	global_store_b32 v[19:20], v21, off
	s_or_b32 exec_lo, exec_lo, s9
	s_and_saveexec_b32 s9, s21
	s_cbranch_execz .LBB15_19
.LBB15_40:                              ;   in Loop: Header=BB15_7 Depth=1
	ds_load_b32 v21, v29 offset:64
	v_add_co_u32 v19, vcc_lo, v17, 64
	v_add_co_ci_u32_e32 v20, vcc_lo, 0, v18, vcc_lo
	v_add_co_u32 v22, vcc_lo, v15, v11
	v_add_co_ci_u32_e32 v23, vcc_lo, v16, v12, vcc_lo
	s_delay_alu instid0(VALU_DEP_2) | instskip(NEXT) | instid1(VALU_DEP_2)
	v_cndmask_b32_e64 v19, v22, v19, s8
	v_cndmask_b32_e64 v20, v23, v20, s8
	s_waitcnt lgkmcnt(0)
	global_store_b32 v[19:20], v21, off
	s_or_b32 exec_lo, exec_lo, s9
	s_and_saveexec_b32 s9, s12
	s_cbranch_execnz .LBB15_20
	s_branch .LBB15_21
.LBB15_41:
	s_endpgm
	.section	.rodata,"a",@progbits
	.p2align	6, 0x0
	.amdhsa_kernel _ZN9rocsparseL38csr2bsr_block_per_row_multipass_kernelILj256ELj32EiliEEv20rocsparse_direction_T3_S2_S2_S2_S2_21rocsparse_index_base_PKT1_PKT2_PKS2_S3_PS4_PS7_PS2_
		.amdhsa_group_segment_fixed_size 4100
		.amdhsa_private_segment_fixed_size 0
		.amdhsa_kernarg_size 88
		.amdhsa_user_sgpr_count 15
		.amdhsa_user_sgpr_dispatch_ptr 0
		.amdhsa_user_sgpr_queue_ptr 0
		.amdhsa_user_sgpr_kernarg_segment_ptr 1
		.amdhsa_user_sgpr_dispatch_id 0
		.amdhsa_user_sgpr_private_segment_size 0
		.amdhsa_wavefront_size32 1
		.amdhsa_uses_dynamic_stack 0
		.amdhsa_enable_private_segment 0
		.amdhsa_system_sgpr_workgroup_id_x 1
		.amdhsa_system_sgpr_workgroup_id_y 0
		.amdhsa_system_sgpr_workgroup_id_z 0
		.amdhsa_system_sgpr_workgroup_info 0
		.amdhsa_system_vgpr_workitem_id 0
		.amdhsa_next_free_vgpr 41
		.amdhsa_next_free_sgpr 36
		.amdhsa_reserve_vcc 1
		.amdhsa_float_round_mode_32 0
		.amdhsa_float_round_mode_16_64 0
		.amdhsa_float_denorm_mode_32 3
		.amdhsa_float_denorm_mode_16_64 3
		.amdhsa_dx10_clamp 1
		.amdhsa_ieee_mode 1
		.amdhsa_fp16_overflow 0
		.amdhsa_workgroup_processor_mode 1
		.amdhsa_memory_ordered 1
		.amdhsa_forward_progress 0
		.amdhsa_shared_vgpr_count 0
		.amdhsa_exception_fp_ieee_invalid_op 0
		.amdhsa_exception_fp_denorm_src 0
		.amdhsa_exception_fp_ieee_div_zero 0
		.amdhsa_exception_fp_ieee_overflow 0
		.amdhsa_exception_fp_ieee_underflow 0
		.amdhsa_exception_fp_ieee_inexact 0
		.amdhsa_exception_int_div_zero 0
	.end_amdhsa_kernel
	.section	.text._ZN9rocsparseL38csr2bsr_block_per_row_multipass_kernelILj256ELj32EiliEEv20rocsparse_direction_T3_S2_S2_S2_S2_21rocsparse_index_base_PKT1_PKT2_PKS2_S3_PS4_PS7_PS2_,"axG",@progbits,_ZN9rocsparseL38csr2bsr_block_per_row_multipass_kernelILj256ELj32EiliEEv20rocsparse_direction_T3_S2_S2_S2_S2_21rocsparse_index_base_PKT1_PKT2_PKS2_S3_PS4_PS7_PS2_,comdat
.Lfunc_end15:
	.size	_ZN9rocsparseL38csr2bsr_block_per_row_multipass_kernelILj256ELj32EiliEEv20rocsparse_direction_T3_S2_S2_S2_S2_21rocsparse_index_base_PKT1_PKT2_PKS2_S3_PS4_PS7_PS2_, .Lfunc_end15-_ZN9rocsparseL38csr2bsr_block_per_row_multipass_kernelILj256ELj32EiliEEv20rocsparse_direction_T3_S2_S2_S2_S2_21rocsparse_index_base_PKT1_PKT2_PKS2_S3_PS4_PS7_PS2_
                                        ; -- End function
	.section	.AMDGPU.csdata,"",@progbits
; Kernel info:
; codeLenInByte = 2408
; NumSgprs: 38
; NumVgprs: 41
; ScratchSize: 0
; MemoryBound: 0
; FloatMode: 240
; IeeeMode: 1
; LDSByteSize: 4100 bytes/workgroup (compile time only)
; SGPRBlocks: 4
; VGPRBlocks: 5
; NumSGPRsForWavesPerEU: 38
; NumVGPRsForWavesPerEU: 41
; Occupancy: 16
; WaveLimiterHint : 0
; COMPUTE_PGM_RSRC2:SCRATCH_EN: 0
; COMPUTE_PGM_RSRC2:USER_SGPR: 15
; COMPUTE_PGM_RSRC2:TRAP_HANDLER: 0
; COMPUTE_PGM_RSRC2:TGID_X_EN: 1
; COMPUTE_PGM_RSRC2:TGID_Y_EN: 0
; COMPUTE_PGM_RSRC2:TGID_Z_EN: 0
; COMPUTE_PGM_RSRC2:TIDIG_COMP_CNT: 0
	.section	.text._ZN9rocsparseL38csr2bsr_block_per_row_multipass_kernelILj256ELj64EiliEEv20rocsparse_direction_T3_S2_S2_S2_S2_21rocsparse_index_base_PKT1_PKT2_PKS2_S3_PS4_PS7_PS2_,"axG",@progbits,_ZN9rocsparseL38csr2bsr_block_per_row_multipass_kernelILj256ELj64EiliEEv20rocsparse_direction_T3_S2_S2_S2_S2_21rocsparse_index_base_PKT1_PKT2_PKS2_S3_PS4_PS7_PS2_,comdat
	.globl	_ZN9rocsparseL38csr2bsr_block_per_row_multipass_kernelILj256ELj64EiliEEv20rocsparse_direction_T3_S2_S2_S2_S2_21rocsparse_index_base_PKT1_PKT2_PKS2_S3_PS4_PS7_PS2_ ; -- Begin function _ZN9rocsparseL38csr2bsr_block_per_row_multipass_kernelILj256ELj64EiliEEv20rocsparse_direction_T3_S2_S2_S2_S2_21rocsparse_index_base_PKT1_PKT2_PKS2_S3_PS4_PS7_PS2_
	.p2align	8
	.type	_ZN9rocsparseL38csr2bsr_block_per_row_multipass_kernelILj256ELj64EiliEEv20rocsparse_direction_T3_S2_S2_S2_S2_21rocsparse_index_base_PKT1_PKT2_PKS2_S3_PS4_PS7_PS2_,@function
_ZN9rocsparseL38csr2bsr_block_per_row_multipass_kernelILj256ELj64EiliEEv20rocsparse_direction_T3_S2_S2_S2_S2_21rocsparse_index_base_PKT1_PKT2_PKS2_S3_PS4_PS7_PS2_: ; @_ZN9rocsparseL38csr2bsr_block_per_row_multipass_kernelILj256ELj64EiliEEv20rocsparse_direction_T3_S2_S2_S2_S2_21rocsparse_index_base_PKT1_PKT2_PKS2_S3_PS4_PS7_PS2_
; %bb.0:
	s_mov_b32 s10, s15
	s_clause 0x1
	s_load_b128 s[12:15], s[0:1], 0x10
	s_load_b64 s[8:9], s[0:1], 0x0
	v_lshrrev_b32_e32 v3, 2, v0
	s_load_b64 s[4:5], s[0:1], 0x28
	v_mov_b32_e32 v1, 0
	v_mov_b32_e32 v2, 0
	s_delay_alu instid0(VALU_DEP_1) | instskip(SKIP_3) | instid1(VALU_DEP_2)
	v_dual_mov_b32 v6, v2 :: v_dual_mov_b32 v5, v1
	s_waitcnt lgkmcnt(0)
	v_mad_u64_u32 v[7:8], null, s10, s13, v[3:4]
	v_cmp_gt_i32_e32 vcc_lo, s13, v3
	v_cmp_gt_i32_e64 s2, s9, v7
	s_delay_alu instid0(VALU_DEP_1) | instskip(NEXT) | instid1(SALU_CYCLE_1)
	s_and_b32 s3, vcc_lo, s2
	s_and_saveexec_b32 s6, s3
	s_cbranch_execnz .LBB16_3
; %bb.1:
	s_or_b32 exec_lo, exec_lo, s6
	s_and_saveexec_b32 s6, s3
	s_cbranch_execnz .LBB16_4
.LBB16_2:
	s_or_b32 exec_lo, exec_lo, s6
	s_cmp_lt_i32 s12, 1
	s_cbranch_scc0 .LBB16_5
	s_branch .LBB16_65
.LBB16_3:
	v_ashrrev_i32_e32 v8, 31, v7
	s_delay_alu instid0(VALU_DEP_1) | instskip(NEXT) | instid1(VALU_DEP_1)
	v_lshlrev_b64 v[4:5], 3, v[7:8]
	v_add_co_u32 v4, s2, s4, v4
	s_delay_alu instid0(VALU_DEP_1) | instskip(SKIP_3) | instid1(VALU_DEP_1)
	v_add_co_ci_u32_e64 v5, s2, s5, v5, s2
	global_load_b64 v[5:6], v[4:5], off
	s_waitcnt vmcnt(0)
	v_sub_co_u32 v5, s2, v5, s14
	v_subrev_co_ci_u32_e64 v6, s2, 0, v6, s2
	s_or_b32 exec_lo, exec_lo, s6
	s_and_saveexec_b32 s6, s3
	s_cbranch_execz .LBB16_2
.LBB16_4:
	v_ashrrev_i32_e32 v8, 31, v7
	s_delay_alu instid0(VALU_DEP_1) | instskip(NEXT) | instid1(VALU_DEP_1)
	v_lshlrev_b64 v[1:2], 3, v[7:8]
	v_add_co_u32 v1, s2, s4, v1
	s_delay_alu instid0(VALU_DEP_1) | instskip(SKIP_3) | instid1(VALU_DEP_1)
	v_add_co_ci_u32_e64 v2, s2, s5, v2, s2
	global_load_b64 v[1:2], v[1:2], off offset:8
	s_waitcnt vmcnt(0)
	v_sub_co_u32 v1, s2, v1, s14
	v_subrev_co_ci_u32_e64 v2, s2, 0, v2, s2
	s_or_b32 exec_lo, exec_lo, s6
	s_cmp_lt_i32 s12, 1
	s_cbranch_scc1 .LBB16_65
.LBB16_5:
	s_clause 0x4
	s_load_b128 s[4:7], s[0:1], 0x40
	s_load_b64 s[16:17], s[0:1], 0x50
	s_load_b64 s[18:19], s[0:1], 0x20
	;; [unrolled: 1-line block ×3, first 2 shown]
	s_load_b32 s15, s[0:1], 0x38
	v_mbcnt_lo_u32_b32 v7, -1, 0
	s_ashr_i32 s11, s10, 31
	v_dual_mov_b32 v4, 0 :: v_dual_lshlrev_b32 v51, 6, v3
	s_lshl_b64 s[0:1], s[10:11], 3
	s_delay_alu instid0(VALU_DEP_2)
	v_xor_b32_e32 v8, 2, v7
	v_xor_b32_e32 v10, 1, v7
	v_lshlrev_b32_e32 v9, 2, v3
	v_mul_lo_u32 v3, v3, s13
	v_lshl_or_b32 v53, v7, 2, 12
	v_cmp_gt_i32_e64 s2, 32, v8
	v_and_b32_e32 v50, 3, v0
	v_dual_mov_b32 v39, 0 :: v_dual_lshlrev_b32 v52, 2, v0
	v_cmp_gt_u32_e64 s3, 32, v0
	s_waitcnt lgkmcnt(0)
	s_add_u32 s0, s6, s0
	s_addc_u32 s1, s7, s1
	v_cndmask_b32_e64 v11, v7, v8, s2
	s_load_b64 s[6:7], s[0:1], 0x0
	v_cmp_gt_i32_e64 s2, 32, v10
	v_lshlrev_b32_e32 v12, 2, v50
	v_cmp_gt_u32_e64 s0, 0x80, v0
	v_cmp_gt_u32_e64 s1, 64, v0
	;; [unrolled: 1-line block ×3, first 2 shown]
	v_cndmask_b32_e64 v10, v7, v10, s2
	v_lshlrev_b64 v[7:8], 2, v[3:4]
	v_lshlrev_b32_e32 v54, 2, v11
	s_mul_hi_u32 s24, s13, s13
	s_mul_i32 s25, s13, s13
	v_dual_mov_b32 v10, v4 :: v_dual_lshlrev_b32 v55, 2, v10
	v_add_co_u32 v56, s2, s4, v9
	s_delay_alu instid0(VALU_DEP_1) | instskip(SKIP_1) | instid1(VALU_DEP_1)
	v_add_co_ci_u32_e64 v57, null, s5, 0, s2
	v_add_co_u32 v3, s2, s4, v7
	v_add_co_ci_u32_e64 v7, s2, s5, v8, s2
	s_waitcnt lgkmcnt(0)
	s_sub_u32 s22, s6, s15
	s_delay_alu instid0(VALU_DEP_2)
	v_add_co_u32 v58, s2, v3, v12
	v_mov_b32_e32 v12, v4
	s_subb_u32 s23, s7, 0
	s_cmp_eq_u32 s8, 0
	v_add_co_ci_u32_e64 v59, s2, 0, v7, s2
	v_cmp_gt_u32_e64 s4, 16, v0
	v_cmp_gt_u32_e64 s5, 8, v0
	;; [unrolled: 1-line block ×4, first 2 shown]
	v_cmp_eq_u32_e64 s8, 0, v0
	v_or_b32_e32 v0, 4, v50
	v_or_b32_e32 v7, v51, v50
	;; [unrolled: 1-line block ×3, first 2 shown]
	s_cselect_b32 s2, -1, 0
	s_and_b32 s26, vcc_lo, s9
	v_cmp_gt_u32_e64 s10, s13, v0
	v_lshlrev_b32_e32 v0, 2, v7
	v_cmp_gt_u32_e64 s9, s13, v8
	v_or_b32_e32 v7, 12, v50
	v_or_b32_e32 v8, 16, v50
	s_and_b32 s27, vcc_lo, s10
	s_abs_i32 s36, s13
	s_and_b32 s28, vcc_lo, s9
	v_cmp_gt_u32_e64 s9, s13, v7
	v_or_b32_e32 v7, 20, v50
	v_cmp_gt_u32_e64 s10, s13, v8
	v_or_b32_e32 v8, 28, v50
	s_lshl_b32 s11, s13, 2
	s_and_b32 s29, vcc_lo, s9
	v_cmp_gt_u32_e64 s9, s13, v7
	v_or_b32_e32 v7, 24, v50
	s_and_b32 s30, vcc_lo, s10
	v_cmp_gt_u32_e64 s10, s13, v8
	v_cvt_f32_u32_e32 v8, s36
	s_and_b32 s31, vcc_lo, s9
	v_cmp_gt_u32_e64 s9, s13, v7
	v_or_b32_e32 v7, 32, v50
	s_and_b32 s34, vcc_lo, s10
	s_sub_i32 s40, 0, s36
	s_ashr_i32 s44, s13, 31
	s_and_b32 s33, vcc_lo, s9
	v_cmp_gt_u32_e64 s9, s13, v7
	v_or_b32_e32 v7, 36, v50
	v_mov_b32_e32 v14, v4
	v_mov_b32_e32 v16, v4
	;; [unrolled: 1-line block ×3, first 2 shown]
	s_and_b32 s35, vcc_lo, s9
	v_cmp_gt_u32_e64 s9, s13, v7
	v_rcp_iflag_f32_e32 v7, v8
	v_mov_b32_e32 v20, v4
	v_mov_b32_e32 v22, v4
	;; [unrolled: 1-line block ×3, first 2 shown]
	s_and_b32 s37, vcc_lo, s9
	v_mov_b32_e32 v26, v4
	v_mov_b32_e32 v28, v4
	;; [unrolled: 1-line block ×4, first 2 shown]
	s_delay_alu instid0(TRANS32_DEP_1)
	v_dual_mov_b32 v38, v4 :: v_dual_mul_f32 v7, 0x4f7ffffe, v7
	v_mul_lo_u32 v3, v50, s13
	v_or_b32_e32 v25, 40, v50
	v_or_b32_e32 v30, 52, v50
	;; [unrolled: 1-line block ×3, first 2 shown]
	v_cvt_u32_f32_e32 v7, v7
	v_or_b32_e32 v36, 56, v50
	v_cmp_gt_u32_e64 s10, s13, v25
	v_or_b32_e32 v37, 60, v50
	v_add_nc_u32_e32 v9, s11, v3
	v_cmp_gt_u32_e64 s9, s13, v8
	v_or_b32_e32 v8, 48, v50
	s_and_b32 s38, vcc_lo, s10
	v_cmp_gt_u32_e64 s10, s13, v30
	v_dual_mov_b32 v30, v4 :: v_dual_add_nc_u32 v11, s11, v9
	s_and_b32 s39, vcc_lo, s9
	v_cmp_gt_u32_e64 s9, s13, v8
	v_mul_lo_u32 v8, s40, v7
	s_delay_alu instid0(VALU_DEP_3)
	v_add_nc_u32_e32 v13, s11, v11
	s_and_b32 s41, vcc_lo, s10
	v_cmp_gt_u32_e64 s10, s13, v37
	s_and_b32 s40, vcc_lo, s9
	v_cmp_gt_u32_e64 s9, s13, v36
	v_dual_mov_b32 v36, v4 :: v_dual_add_nc_u32 v15, s11, v13
	v_mul_hi_u32 v8, v7, v8
	v_lshlrev_b64 v[9:10], 2, v[9:10]
	v_lshlrev_b64 v[11:12], 2, v[11:12]
	s_delay_alu instid0(VALU_DEP_4)
	v_add_nc_u32_e32 v17, s11, v15
	v_lshlrev_b64 v[13:14], 2, v[13:14]
	v_lshlrev_b64 v[15:16], 2, v[15:16]
	s_and_b32 s42, vcc_lo, s9
	s_and_b32 s43, vcc_lo, s10
	v_add_nc_u32_e32 v19, s11, v17
	v_add_nc_u32_e32 v60, v7, v8
	v_lshlrev_b64 v[7:8], 2, v[3:4]
	v_lshlrev_b64 v[17:18], 2, v[17:18]
	v_mov_b32_e32 v3, 1
	v_add_nc_u32_e32 v21, s11, v19
	v_lshlrev_b64 v[19:20], 2, v[19:20]
	s_delay_alu instid0(VALU_DEP_2) | instskip(SKIP_1) | instid1(VALU_DEP_2)
	v_dual_mov_b32 v40, 0 :: v_dual_add_nc_u32 v23, s11, v21
	v_lshlrev_b64 v[21:22], 2, v[21:22]
	v_add_nc_u32_e32 v25, s11, v23
	v_lshlrev_b64 v[23:24], 2, v[23:24]
	s_delay_alu instid0(VALU_DEP_2) | instskip(SKIP_1) | instid1(VALU_DEP_2)
	v_add_nc_u32_e32 v27, s11, v25
	v_lshlrev_b64 v[25:26], 2, v[25:26]
	v_add_nc_u32_e32 v29, s11, v27
	v_lshlrev_b64 v[27:28], 2, v[27:28]
	s_delay_alu instid0(VALU_DEP_2) | instskip(SKIP_1) | instid1(VALU_DEP_2)
	v_add_nc_u32_e32 v31, s11, v29
	;; [unrolled: 5-line block ×3, first 2 shown]
	v_lshlrev_b64 v[33:34], 2, v[33:34]
	v_add_nc_u32_e32 v37, s11, v35
	v_lshlrev_b64 v[35:36], 2, v[35:36]
	s_delay_alu instid0(VALU_DEP_2)
	v_lshlrev_b64 v[37:38], 2, v[37:38]
	s_branch .LBB16_7
.LBB16_6:                               ;   in Loop: Header=BB16_7 Depth=1
	s_or_b32 exec_lo, exec_lo, s9
	s_waitcnt lgkmcnt(0)
	s_barrier
	buffer_gl0_inv
	ds_load_b32 v39, v4
	s_add_u32 s22, s10, s22
	s_addc_u32 s23, s11, s23
	s_waitcnt lgkmcnt(0)
	s_barrier
	buffer_gl0_inv
	v_cmp_gt_i32_e32 vcc_lo, s12, v39
	v_ashrrev_i32_e32 v40, 31, v39
	s_cbranch_vccz .LBB16_65
.LBB16_7:                               ; =>This Loop Header: Depth=1
                                        ;     Child Loop BB16_10 Depth 2
	v_add_co_u32 v5, vcc_lo, v5, v50
	v_dual_mov_b32 v61, s12 :: v_dual_mov_b32 v46, v2
	v_add_co_ci_u32_e32 v6, vcc_lo, 0, v6, vcc_lo
	v_mov_b32_e32 v45, v1
	s_mov_b32 s10, exec_lo
	ds_store_b8 v4, v4 offset:16384
	ds_store_2addr_b32 v0, v4, v4 offset1:4
	ds_store_2addr_b32 v0, v4, v4 offset0:8 offset1:12
	ds_store_2addr_b32 v0, v4, v4 offset0:16 offset1:20
	;; [unrolled: 1-line block ×7, first 2 shown]
	s_waitcnt lgkmcnt(0)
	s_barrier
	buffer_gl0_inv
	v_cmpx_lt_i64_e64 v[5:6], v[1:2]
	s_cbranch_execz .LBB16_15
; %bb.8:                                ;   in Loop: Header=BB16_7 Depth=1
	v_lshlrev_b64 v[43:44], 2, v[5:6]
	v_dual_mov_b32 v61, s12 :: v_dual_mov_b32 v46, v2
	v_mov_b32_e32 v45, v1
	s_mov_b32 s11, 0
	s_delay_alu instid0(VALU_DEP_3) | instskip(NEXT) | instid1(VALU_DEP_4)
	v_add_co_u32 v41, vcc_lo, s18, v43
	v_add_co_ci_u32_e32 v42, vcc_lo, s19, v44, vcc_lo
	v_add_co_u32 v43, vcc_lo, s20, v43
	v_add_co_ci_u32_e32 v44, vcc_lo, s21, v44, vcc_lo
	s_branch .LBB16_10
.LBB16_9:                               ;   in Loop: Header=BB16_10 Depth=2
	s_or_b32 exec_lo, exec_lo, s9
	v_add_co_u32 v5, s9, v5, 4
	s_delay_alu instid0(VALU_DEP_1) | instskip(SKIP_2) | instid1(VALU_DEP_2)
	v_add_co_ci_u32_e64 v6, s9, 0, v6, s9
	s_xor_b32 s45, vcc_lo, -1
	v_add_co_u32 v41, vcc_lo, v41, 16
	v_cmp_ge_i64_e64 s9, v[5:6], v[1:2]
	v_add_co_ci_u32_e32 v42, vcc_lo, 0, v42, vcc_lo
	v_add_co_u32 v43, vcc_lo, v43, 16
	v_add_co_ci_u32_e32 v44, vcc_lo, 0, v44, vcc_lo
	s_delay_alu instid0(VALU_DEP_4) | instskip(NEXT) | instid1(SALU_CYCLE_1)
	s_or_b32 s9, s45, s9
	s_and_b32 s9, exec_lo, s9
	s_delay_alu instid0(SALU_CYCLE_1) | instskip(NEXT) | instid1(SALU_CYCLE_1)
	s_or_b32 s11, s9, s11
	s_and_not1_b32 exec_lo, exec_lo, s11
	s_cbranch_execz .LBB16_14
.LBB16_10:                              ;   Parent Loop BB16_7 Depth=1
                                        ; =>  This Inner Loop Header: Depth=2
	global_load_b32 v47, v[43:44], off
	s_waitcnt vmcnt(0)
	v_subrev_nc_u32_e32 v62, s14, v47
	s_delay_alu instid0(VALU_DEP_1) | instskip(NEXT) | instid1(VALU_DEP_1)
	v_sub_nc_u32_e32 v47, 0, v62
	v_max_i32_e32 v47, v62, v47
	s_delay_alu instid0(VALU_DEP_1) | instskip(NEXT) | instid1(VALU_DEP_1)
	v_mul_hi_u32 v48, v47, v60
	v_mul_lo_u32 v49, v48, s36
	s_delay_alu instid0(VALU_DEP_1) | instskip(SKIP_1) | instid1(VALU_DEP_2)
	v_sub_nc_u32_e32 v47, v47, v49
	v_add_nc_u32_e32 v49, 1, v48
	v_subrev_nc_u32_e32 v63, s36, v47
	v_cmp_le_u32_e32 vcc_lo, s36, v47
	s_delay_alu instid0(VALU_DEP_2) | instskip(SKIP_1) | instid1(VALU_DEP_2)
	v_dual_cndmask_b32 v48, v48, v49 :: v_dual_cndmask_b32 v47, v47, v63
	v_ashrrev_i32_e32 v49, 31, v62
	v_add_nc_u32_e32 v63, 1, v48
	s_delay_alu instid0(VALU_DEP_3) | instskip(NEXT) | instid1(VALU_DEP_3)
	v_cmp_le_u32_e32 vcc_lo, s36, v47
	v_xor_b32_e32 v49, s44, v49
	s_delay_alu instid0(VALU_DEP_3) | instskip(NEXT) | instid1(VALU_DEP_1)
	v_cndmask_b32_e32 v47, v48, v63, vcc_lo
	v_xor_b32_e32 v47, v47, v49
	s_delay_alu instid0(VALU_DEP_1) | instskip(NEXT) | instid1(VALU_DEP_1)
	v_sub_nc_u32_e32 v47, v47, v49
	v_ashrrev_i32_e32 v48, 31, v47
	s_delay_alu instid0(VALU_DEP_1) | instskip(SKIP_2) | instid1(VALU_DEP_2)
	v_cmp_eq_u64_e32 vcc_lo, v[39:40], v[47:48]
	v_cmp_ne_u64_e64 s9, v[39:40], v[47:48]
	v_dual_mov_b32 v49, v46 :: v_dual_mov_b32 v48, v45
	s_and_saveexec_b32 s45, s9
	s_delay_alu instid0(SALU_CYCLE_1)
	s_xor_b32 s9, exec_lo, s45
; %bb.11:                               ;   in Loop: Header=BB16_10 Depth=2
	v_min_i32_e32 v61, v47, v61
                                        ; implicit-def: $vgpr47
                                        ; implicit-def: $vgpr62
                                        ; implicit-def: $vgpr48_vgpr49
; %bb.12:                               ;   in Loop: Header=BB16_10 Depth=2
	s_or_saveexec_b32 s9, s9
	v_dual_mov_b32 v46, v6 :: v_dual_mov_b32 v45, v5
	s_xor_b32 exec_lo, exec_lo, s9
	s_cbranch_execz .LBB16_9
; %bb.13:                               ;   in Loop: Header=BB16_10 Depth=2
	global_load_b32 v63, v[41:42], off
	v_mul_lo_u32 v45, v47, s13
	s_delay_alu instid0(VALU_DEP_1) | instskip(NEXT) | instid1(VALU_DEP_1)
	v_sub_nc_u32_e32 v45, v62, v45
	v_add_lshl_u32 v47, v45, v51, 2
	v_dual_mov_b32 v45, v48 :: v_dual_mov_b32 v46, v49
	ds_store_b8 v4, v3 offset:16384
	s_waitcnt vmcnt(0)
	ds_store_b32 v47, v63
	s_branch .LBB16_9
.LBB16_14:                              ;   in Loop: Header=BB16_7 Depth=1
	s_or_b32 exec_lo, exec_lo, s11
.LBB16_15:                              ;   in Loop: Header=BB16_7 Depth=1
	s_delay_alu instid0(SALU_CYCLE_1)
	s_or_b32 exec_lo, exec_lo, s10
	ds_bpermute_b32 v5, v54, v45
	ds_bpermute_b32 v6, v54, v46
	s_waitcnt lgkmcnt(0)
	s_barrier
	buffer_gl0_inv
	ds_load_u8 v42, v4 offset:16384
	s_mov_b64 s[10:11], 0
	v_cmp_lt_i64_e32 vcc_lo, v[5:6], v[45:46]
	v_dual_cndmask_b32 v6, v46, v6 :: v_dual_cndmask_b32 v5, v45, v5
	ds_bpermute_b32 v41, v55, v6
	ds_bpermute_b32 v40, v55, v5
	s_waitcnt lgkmcnt(0)
	v_cmp_lt_i64_e32 vcc_lo, v[40:41], v[5:6]
	v_dual_cndmask_b32 v6, v6, v41 :: v_dual_cndmask_b32 v5, v5, v40
	v_cmp_eq_u32_e32 vcc_lo, 0, v42
	ds_bpermute_b32 v6, v53, v6
	ds_bpermute_b32 v5, v53, v5
	s_cbranch_vccnz .LBB16_34
; %bb.16:                               ;   in Loop: Header=BB16_7 Depth=1
	s_lshl_b64 s[10:11], s[22:23], 2
	s_mul_i32 s9, s25, s23
	s_mul_hi_u32 s45, s25, s22
	s_add_u32 s10, s16, s10
	s_addc_u32 s11, s17, s11
	s_add_i32 s9, s45, s9
	s_mul_i32 s45, s24, s22
	s_mul_i32 s46, s25, s22
	s_add_i32 s47, s9, s45
	v_add_nc_u32_e32 v43, s15, v39
	s_lshl_b64 s[46:47], s[46:47], 2
	s_delay_alu instid0(SALU_CYCLE_1)
	v_add_co_u32 v39, vcc_lo, v56, s46
	v_add_co_ci_u32_e32 v40, vcc_lo, s47, v57, vcc_lo
	v_add_co_u32 v41, vcc_lo, v58, s46
	v_add_co_ci_u32_e32 v42, vcc_lo, s47, v59, vcc_lo
	global_store_b32 v4, v43, s[10:11]
	s_and_saveexec_b32 s9, s26
	s_cbranch_execnz .LBB16_50
; %bb.17:                               ;   in Loop: Header=BB16_7 Depth=1
	s_or_b32 exec_lo, exec_lo, s9
	s_and_saveexec_b32 s9, s27
	s_cbranch_execnz .LBB16_51
.LBB16_18:                              ;   in Loop: Header=BB16_7 Depth=1
	s_or_b32 exec_lo, exec_lo, s9
	s_and_saveexec_b32 s9, s28
	s_cbranch_execnz .LBB16_52
.LBB16_19:                              ;   in Loop: Header=BB16_7 Depth=1
	s_or_b32 exec_lo, exec_lo, s9
	s_and_saveexec_b32 s9, s29
	s_cbranch_execnz .LBB16_53
.LBB16_20:                              ;   in Loop: Header=BB16_7 Depth=1
	s_or_b32 exec_lo, exec_lo, s9
	s_and_saveexec_b32 s9, s30
	s_cbranch_execnz .LBB16_54
.LBB16_21:                              ;   in Loop: Header=BB16_7 Depth=1
	s_or_b32 exec_lo, exec_lo, s9
	s_and_saveexec_b32 s9, s31
	s_cbranch_execnz .LBB16_55
.LBB16_22:                              ;   in Loop: Header=BB16_7 Depth=1
	s_or_b32 exec_lo, exec_lo, s9
	s_and_saveexec_b32 s9, s33
	s_cbranch_execnz .LBB16_56
.LBB16_23:                              ;   in Loop: Header=BB16_7 Depth=1
	s_or_b32 exec_lo, exec_lo, s9
	s_and_saveexec_b32 s9, s34
	s_cbranch_execnz .LBB16_57
.LBB16_24:                              ;   in Loop: Header=BB16_7 Depth=1
	s_or_b32 exec_lo, exec_lo, s9
	s_and_saveexec_b32 s9, s35
	s_cbranch_execnz .LBB16_58
.LBB16_25:                              ;   in Loop: Header=BB16_7 Depth=1
	s_or_b32 exec_lo, exec_lo, s9
	s_and_saveexec_b32 s9, s37
	s_cbranch_execnz .LBB16_59
.LBB16_26:                              ;   in Loop: Header=BB16_7 Depth=1
	s_or_b32 exec_lo, exec_lo, s9
	s_and_saveexec_b32 s9, s38
	s_cbranch_execnz .LBB16_60
.LBB16_27:                              ;   in Loop: Header=BB16_7 Depth=1
	s_or_b32 exec_lo, exec_lo, s9
	s_and_saveexec_b32 s9, s39
	s_cbranch_execnz .LBB16_61
.LBB16_28:                              ;   in Loop: Header=BB16_7 Depth=1
	s_or_b32 exec_lo, exec_lo, s9
	s_and_saveexec_b32 s9, s40
	s_cbranch_execnz .LBB16_62
.LBB16_29:                              ;   in Loop: Header=BB16_7 Depth=1
	s_or_b32 exec_lo, exec_lo, s9
	s_and_saveexec_b32 s9, s41
	s_cbranch_execnz .LBB16_63
.LBB16_30:                              ;   in Loop: Header=BB16_7 Depth=1
	s_or_b32 exec_lo, exec_lo, s9
	s_and_saveexec_b32 s9, s42
	s_cbranch_execnz .LBB16_64
.LBB16_31:                              ;   in Loop: Header=BB16_7 Depth=1
	s_or_b32 exec_lo, exec_lo, s9
	s_and_saveexec_b32 s9, s43
	s_cbranch_execz .LBB16_33
.LBB16_32:                              ;   in Loop: Header=BB16_7 Depth=1
	ds_load_b32 v43, v0 offset:240
	v_add_co_u32 v41, vcc_lo, 0xf0, v41
	v_add_co_ci_u32_e32 v42, vcc_lo, 0, v42, vcc_lo
	v_add_co_u32 v39, vcc_lo, v39, v37
	v_add_co_ci_u32_e32 v40, vcc_lo, v40, v38, vcc_lo
	s_delay_alu instid0(VALU_DEP_2) | instskip(NEXT) | instid1(VALU_DEP_2)
	v_cndmask_b32_e64 v39, v39, v41, s2
	v_cndmask_b32_e64 v40, v40, v42, s2
	s_waitcnt lgkmcnt(0)
	global_store_b32 v[39:40], v43, off
.LBB16_33:                              ;   in Loop: Header=BB16_7 Depth=1
	s_or_b32 exec_lo, exec_lo, s9
	s_mov_b64 s[10:11], 1
.LBB16_34:                              ;   in Loop: Header=BB16_7 Depth=1
	s_waitcnt lgkmcnt(0)
	s_waitcnt_vscnt null, 0x0
	s_barrier
	buffer_gl0_inv
	ds_store_b32 v52, v61
	s_waitcnt lgkmcnt(0)
	s_barrier
	buffer_gl0_inv
	s_and_saveexec_b32 s9, s0
	s_cbranch_execz .LBB16_36
; %bb.35:                               ;   in Loop: Header=BB16_7 Depth=1
	ds_load_2addr_stride64_b32 v[39:40], v52 offset1:2
	s_waitcnt lgkmcnt(0)
	v_min_i32_e32 v39, v40, v39
	ds_store_b32 v52, v39
.LBB16_36:                              ;   in Loop: Header=BB16_7 Depth=1
	s_or_b32 exec_lo, exec_lo, s9
	s_waitcnt lgkmcnt(0)
	s_barrier
	buffer_gl0_inv
	s_and_saveexec_b32 s9, s1
	s_cbranch_execz .LBB16_38
; %bb.37:                               ;   in Loop: Header=BB16_7 Depth=1
	ds_load_2addr_stride64_b32 v[39:40], v52 offset1:1
	s_waitcnt lgkmcnt(0)
	v_min_i32_e32 v39, v40, v39
	ds_store_b32 v52, v39
.LBB16_38:                              ;   in Loop: Header=BB16_7 Depth=1
	s_or_b32 exec_lo, exec_lo, s9
	s_waitcnt lgkmcnt(0)
	s_barrier
	buffer_gl0_inv
	s_and_saveexec_b32 s9, s3
	s_cbranch_execz .LBB16_40
; %bb.39:                               ;   in Loop: Header=BB16_7 Depth=1
	ds_load_2addr_b32 v[39:40], v52 offset1:32
	s_waitcnt lgkmcnt(0)
	v_min_i32_e32 v39, v40, v39
	ds_store_b32 v52, v39
.LBB16_40:                              ;   in Loop: Header=BB16_7 Depth=1
	s_or_b32 exec_lo, exec_lo, s9
	s_waitcnt lgkmcnt(0)
	s_barrier
	buffer_gl0_inv
	s_and_saveexec_b32 s9, s4
	s_cbranch_execz .LBB16_42
; %bb.41:                               ;   in Loop: Header=BB16_7 Depth=1
	ds_load_2addr_b32 v[39:40], v52 offset1:16
	s_waitcnt lgkmcnt(0)
	v_min_i32_e32 v39, v40, v39
	ds_store_b32 v52, v39
.LBB16_42:                              ;   in Loop: Header=BB16_7 Depth=1
	s_or_b32 exec_lo, exec_lo, s9
	s_waitcnt lgkmcnt(0)
	s_barrier
	buffer_gl0_inv
	s_and_saveexec_b32 s9, s5
	s_cbranch_execz .LBB16_44
; %bb.43:                               ;   in Loop: Header=BB16_7 Depth=1
	ds_load_2addr_b32 v[39:40], v52 offset1:8
	s_waitcnt lgkmcnt(0)
	v_min_i32_e32 v39, v40, v39
	ds_store_b32 v52, v39
.LBB16_44:                              ;   in Loop: Header=BB16_7 Depth=1
	s_or_b32 exec_lo, exec_lo, s9
	s_waitcnt lgkmcnt(0)
	s_barrier
	buffer_gl0_inv
	s_and_saveexec_b32 s9, s6
	s_cbranch_execz .LBB16_46
; %bb.45:                               ;   in Loop: Header=BB16_7 Depth=1
	ds_load_2addr_b32 v[39:40], v52 offset1:4
	s_waitcnt lgkmcnt(0)
	v_min_i32_e32 v39, v40, v39
	ds_store_b32 v52, v39
.LBB16_46:                              ;   in Loop: Header=BB16_7 Depth=1
	s_or_b32 exec_lo, exec_lo, s9
	s_waitcnt lgkmcnt(0)
	s_barrier
	buffer_gl0_inv
	s_and_saveexec_b32 s9, s7
	s_cbranch_execz .LBB16_48
; %bb.47:                               ;   in Loop: Header=BB16_7 Depth=1
	ds_load_2addr_b32 v[39:40], v52 offset1:2
	s_waitcnt lgkmcnt(0)
	v_min_i32_e32 v39, v40, v39
	ds_store_b32 v52, v39
.LBB16_48:                              ;   in Loop: Header=BB16_7 Depth=1
	s_or_b32 exec_lo, exec_lo, s9
	s_waitcnt lgkmcnt(0)
	s_barrier
	buffer_gl0_inv
	s_and_saveexec_b32 s9, s8
	s_cbranch_execz .LBB16_6
; %bb.49:                               ;   in Loop: Header=BB16_7 Depth=1
	ds_load_b64 v[39:40], v4
	s_waitcnt lgkmcnt(0)
	v_min_i32_e32 v39, v40, v39
	ds_store_b32 v4, v39
	s_branch .LBB16_6
.LBB16_50:                              ;   in Loop: Header=BB16_7 Depth=1
	ds_load_b32 v45, v0
	v_add_co_u32 v43, vcc_lo, v39, v7
	v_add_co_ci_u32_e32 v44, vcc_lo, v40, v8, vcc_lo
	s_delay_alu instid0(VALU_DEP_2) | instskip(NEXT) | instid1(VALU_DEP_2)
	v_cndmask_b32_e64 v43, v43, v41, s2
	v_cndmask_b32_e64 v44, v44, v42, s2
	s_waitcnt lgkmcnt(0)
	global_store_b32 v[43:44], v45, off
	s_or_b32 exec_lo, exec_lo, s9
	s_and_saveexec_b32 s9, s27
	s_cbranch_execz .LBB16_18
.LBB16_51:                              ;   in Loop: Header=BB16_7 Depth=1
	ds_load_b32 v45, v0 offset:16
	v_add_co_u32 v43, vcc_lo, v41, 16
	v_add_co_ci_u32_e32 v44, vcc_lo, 0, v42, vcc_lo
	v_add_co_u32 v46, vcc_lo, v39, v9
	v_add_co_ci_u32_e32 v47, vcc_lo, v40, v10, vcc_lo
	s_delay_alu instid0(VALU_DEP_2) | instskip(NEXT) | instid1(VALU_DEP_2)
	v_cndmask_b32_e64 v43, v46, v43, s2
	v_cndmask_b32_e64 v44, v47, v44, s2
	s_waitcnt lgkmcnt(0)
	global_store_b32 v[43:44], v45, off
	s_or_b32 exec_lo, exec_lo, s9
	s_and_saveexec_b32 s9, s28
	s_cbranch_execz .LBB16_19
.LBB16_52:                              ;   in Loop: Header=BB16_7 Depth=1
	ds_load_b32 v45, v0 offset:32
	v_add_co_u32 v43, vcc_lo, v41, 32
	v_add_co_ci_u32_e32 v44, vcc_lo, 0, v42, vcc_lo
	v_add_co_u32 v46, vcc_lo, v39, v11
	v_add_co_ci_u32_e32 v47, vcc_lo, v40, v12, vcc_lo
	s_delay_alu instid0(VALU_DEP_2) | instskip(NEXT) | instid1(VALU_DEP_2)
	v_cndmask_b32_e64 v43, v46, v43, s2
	v_cndmask_b32_e64 v44, v47, v44, s2
	s_waitcnt lgkmcnt(0)
	global_store_b32 v[43:44], v45, off
	s_or_b32 exec_lo, exec_lo, s9
	s_and_saveexec_b32 s9, s29
	s_cbranch_execz .LBB16_20
.LBB16_53:                              ;   in Loop: Header=BB16_7 Depth=1
	ds_load_b32 v45, v0 offset:48
	v_add_co_u32 v43, vcc_lo, v41, 48
	v_add_co_ci_u32_e32 v44, vcc_lo, 0, v42, vcc_lo
	v_add_co_u32 v46, vcc_lo, v39, v13
	v_add_co_ci_u32_e32 v47, vcc_lo, v40, v14, vcc_lo
	s_delay_alu instid0(VALU_DEP_2) | instskip(NEXT) | instid1(VALU_DEP_2)
	v_cndmask_b32_e64 v43, v46, v43, s2
	v_cndmask_b32_e64 v44, v47, v44, s2
	s_waitcnt lgkmcnt(0)
	global_store_b32 v[43:44], v45, off
	s_or_b32 exec_lo, exec_lo, s9
	s_and_saveexec_b32 s9, s30
	s_cbranch_execz .LBB16_21
.LBB16_54:                              ;   in Loop: Header=BB16_7 Depth=1
	ds_load_b32 v45, v0 offset:64
	v_add_co_u32 v43, vcc_lo, v41, 64
	v_add_co_ci_u32_e32 v44, vcc_lo, 0, v42, vcc_lo
	v_add_co_u32 v46, vcc_lo, v39, v15
	v_add_co_ci_u32_e32 v47, vcc_lo, v40, v16, vcc_lo
	s_delay_alu instid0(VALU_DEP_2) | instskip(NEXT) | instid1(VALU_DEP_2)
	v_cndmask_b32_e64 v43, v46, v43, s2
	v_cndmask_b32_e64 v44, v47, v44, s2
	s_waitcnt lgkmcnt(0)
	global_store_b32 v[43:44], v45, off
	s_or_b32 exec_lo, exec_lo, s9
	s_and_saveexec_b32 s9, s31
	s_cbranch_execz .LBB16_22
.LBB16_55:                              ;   in Loop: Header=BB16_7 Depth=1
	ds_load_b32 v45, v0 offset:80
	v_add_co_u32 v43, vcc_lo, 0x50, v41
	v_add_co_ci_u32_e32 v44, vcc_lo, 0, v42, vcc_lo
	v_add_co_u32 v46, vcc_lo, v39, v17
	v_add_co_ci_u32_e32 v47, vcc_lo, v40, v18, vcc_lo
	s_delay_alu instid0(VALU_DEP_2) | instskip(NEXT) | instid1(VALU_DEP_2)
	v_cndmask_b32_e64 v43, v46, v43, s2
	v_cndmask_b32_e64 v44, v47, v44, s2
	s_waitcnt lgkmcnt(0)
	global_store_b32 v[43:44], v45, off
	s_or_b32 exec_lo, exec_lo, s9
	s_and_saveexec_b32 s9, s33
	s_cbranch_execz .LBB16_23
.LBB16_56:                              ;   in Loop: Header=BB16_7 Depth=1
	ds_load_b32 v45, v0 offset:96
	v_add_co_u32 v43, vcc_lo, 0x60, v41
	v_add_co_ci_u32_e32 v44, vcc_lo, 0, v42, vcc_lo
	v_add_co_u32 v46, vcc_lo, v39, v19
	v_add_co_ci_u32_e32 v47, vcc_lo, v40, v20, vcc_lo
	s_delay_alu instid0(VALU_DEP_2) | instskip(NEXT) | instid1(VALU_DEP_2)
	v_cndmask_b32_e64 v43, v46, v43, s2
	v_cndmask_b32_e64 v44, v47, v44, s2
	s_waitcnt lgkmcnt(0)
	global_store_b32 v[43:44], v45, off
	s_or_b32 exec_lo, exec_lo, s9
	s_and_saveexec_b32 s9, s34
	s_cbranch_execz .LBB16_24
.LBB16_57:                              ;   in Loop: Header=BB16_7 Depth=1
	ds_load_b32 v45, v0 offset:112
	v_add_co_u32 v43, vcc_lo, 0x70, v41
	v_add_co_ci_u32_e32 v44, vcc_lo, 0, v42, vcc_lo
	v_add_co_u32 v46, vcc_lo, v39, v21
	v_add_co_ci_u32_e32 v47, vcc_lo, v40, v22, vcc_lo
	s_delay_alu instid0(VALU_DEP_2) | instskip(NEXT) | instid1(VALU_DEP_2)
	v_cndmask_b32_e64 v43, v46, v43, s2
	v_cndmask_b32_e64 v44, v47, v44, s2
	s_waitcnt lgkmcnt(0)
	global_store_b32 v[43:44], v45, off
	s_or_b32 exec_lo, exec_lo, s9
	s_and_saveexec_b32 s9, s35
	s_cbranch_execz .LBB16_25
.LBB16_58:                              ;   in Loop: Header=BB16_7 Depth=1
	ds_load_b32 v45, v0 offset:128
	v_add_co_u32 v43, vcc_lo, 0x80, v41
	v_add_co_ci_u32_e32 v44, vcc_lo, 0, v42, vcc_lo
	v_add_co_u32 v46, vcc_lo, v39, v23
	v_add_co_ci_u32_e32 v47, vcc_lo, v40, v24, vcc_lo
	s_delay_alu instid0(VALU_DEP_2) | instskip(NEXT) | instid1(VALU_DEP_2)
	v_cndmask_b32_e64 v43, v46, v43, s2
	v_cndmask_b32_e64 v44, v47, v44, s2
	s_waitcnt lgkmcnt(0)
	global_store_b32 v[43:44], v45, off
	s_or_b32 exec_lo, exec_lo, s9
	s_and_saveexec_b32 s9, s37
	s_cbranch_execz .LBB16_26
.LBB16_59:                              ;   in Loop: Header=BB16_7 Depth=1
	ds_load_b32 v45, v0 offset:144
	v_add_co_u32 v43, vcc_lo, 0x90, v41
	v_add_co_ci_u32_e32 v44, vcc_lo, 0, v42, vcc_lo
	v_add_co_u32 v46, vcc_lo, v39, v25
	v_add_co_ci_u32_e32 v47, vcc_lo, v40, v26, vcc_lo
	s_delay_alu instid0(VALU_DEP_2) | instskip(NEXT) | instid1(VALU_DEP_2)
	v_cndmask_b32_e64 v43, v46, v43, s2
	v_cndmask_b32_e64 v44, v47, v44, s2
	s_waitcnt lgkmcnt(0)
	global_store_b32 v[43:44], v45, off
	s_or_b32 exec_lo, exec_lo, s9
	s_and_saveexec_b32 s9, s38
	s_cbranch_execz .LBB16_27
.LBB16_60:                              ;   in Loop: Header=BB16_7 Depth=1
	ds_load_b32 v45, v0 offset:160
	v_add_co_u32 v43, vcc_lo, 0xa0, v41
	v_add_co_ci_u32_e32 v44, vcc_lo, 0, v42, vcc_lo
	v_add_co_u32 v46, vcc_lo, v39, v27
	v_add_co_ci_u32_e32 v47, vcc_lo, v40, v28, vcc_lo
	s_delay_alu instid0(VALU_DEP_2) | instskip(NEXT) | instid1(VALU_DEP_2)
	v_cndmask_b32_e64 v43, v46, v43, s2
	v_cndmask_b32_e64 v44, v47, v44, s2
	s_waitcnt lgkmcnt(0)
	global_store_b32 v[43:44], v45, off
	s_or_b32 exec_lo, exec_lo, s9
	s_and_saveexec_b32 s9, s39
	s_cbranch_execz .LBB16_28
.LBB16_61:                              ;   in Loop: Header=BB16_7 Depth=1
	ds_load_b32 v45, v0 offset:176
	v_add_co_u32 v43, vcc_lo, 0xb0, v41
	v_add_co_ci_u32_e32 v44, vcc_lo, 0, v42, vcc_lo
	v_add_co_u32 v46, vcc_lo, v39, v29
	v_add_co_ci_u32_e32 v47, vcc_lo, v40, v30, vcc_lo
	s_delay_alu instid0(VALU_DEP_2) | instskip(NEXT) | instid1(VALU_DEP_2)
	v_cndmask_b32_e64 v43, v46, v43, s2
	v_cndmask_b32_e64 v44, v47, v44, s2
	s_waitcnt lgkmcnt(0)
	global_store_b32 v[43:44], v45, off
	s_or_b32 exec_lo, exec_lo, s9
	s_and_saveexec_b32 s9, s40
	s_cbranch_execz .LBB16_29
.LBB16_62:                              ;   in Loop: Header=BB16_7 Depth=1
	ds_load_b32 v45, v0 offset:192
	v_add_co_u32 v43, vcc_lo, 0xc0, v41
	v_add_co_ci_u32_e32 v44, vcc_lo, 0, v42, vcc_lo
	v_add_co_u32 v46, vcc_lo, v39, v31
	v_add_co_ci_u32_e32 v47, vcc_lo, v40, v32, vcc_lo
	s_delay_alu instid0(VALU_DEP_2) | instskip(NEXT) | instid1(VALU_DEP_2)
	v_cndmask_b32_e64 v43, v46, v43, s2
	v_cndmask_b32_e64 v44, v47, v44, s2
	s_waitcnt lgkmcnt(0)
	global_store_b32 v[43:44], v45, off
	s_or_b32 exec_lo, exec_lo, s9
	s_and_saveexec_b32 s9, s41
	s_cbranch_execz .LBB16_30
.LBB16_63:                              ;   in Loop: Header=BB16_7 Depth=1
	ds_load_b32 v45, v0 offset:208
	v_add_co_u32 v43, vcc_lo, 0xd0, v41
	v_add_co_ci_u32_e32 v44, vcc_lo, 0, v42, vcc_lo
	v_add_co_u32 v46, vcc_lo, v39, v33
	v_add_co_ci_u32_e32 v47, vcc_lo, v40, v34, vcc_lo
	s_delay_alu instid0(VALU_DEP_2) | instskip(NEXT) | instid1(VALU_DEP_2)
	v_cndmask_b32_e64 v43, v46, v43, s2
	v_cndmask_b32_e64 v44, v47, v44, s2
	s_waitcnt lgkmcnt(0)
	global_store_b32 v[43:44], v45, off
	s_or_b32 exec_lo, exec_lo, s9
	s_and_saveexec_b32 s9, s42
	s_cbranch_execz .LBB16_31
.LBB16_64:                              ;   in Loop: Header=BB16_7 Depth=1
	ds_load_b32 v45, v0 offset:224
	v_add_co_u32 v43, vcc_lo, 0xe0, v41
	v_add_co_ci_u32_e32 v44, vcc_lo, 0, v42, vcc_lo
	v_add_co_u32 v46, vcc_lo, v39, v35
	v_add_co_ci_u32_e32 v47, vcc_lo, v40, v36, vcc_lo
	s_delay_alu instid0(VALU_DEP_2) | instskip(NEXT) | instid1(VALU_DEP_2)
	v_cndmask_b32_e64 v43, v46, v43, s2
	v_cndmask_b32_e64 v44, v47, v44, s2
	s_waitcnt lgkmcnt(0)
	global_store_b32 v[43:44], v45, off
	s_or_b32 exec_lo, exec_lo, s9
	s_and_saveexec_b32 s9, s43
	s_cbranch_execnz .LBB16_32
	s_branch .LBB16_33
.LBB16_65:
	s_endpgm
	.section	.rodata,"a",@progbits
	.p2align	6, 0x0
	.amdhsa_kernel _ZN9rocsparseL38csr2bsr_block_per_row_multipass_kernelILj256ELj64EiliEEv20rocsparse_direction_T3_S2_S2_S2_S2_21rocsparse_index_base_PKT1_PKT2_PKS2_S3_PS4_PS7_PS2_
		.amdhsa_group_segment_fixed_size 16388
		.amdhsa_private_segment_fixed_size 0
		.amdhsa_kernarg_size 88
		.amdhsa_user_sgpr_count 15
		.amdhsa_user_sgpr_dispatch_ptr 0
		.amdhsa_user_sgpr_queue_ptr 0
		.amdhsa_user_sgpr_kernarg_segment_ptr 1
		.amdhsa_user_sgpr_dispatch_id 0
		.amdhsa_user_sgpr_private_segment_size 0
		.amdhsa_wavefront_size32 1
		.amdhsa_uses_dynamic_stack 0
		.amdhsa_enable_private_segment 0
		.amdhsa_system_sgpr_workgroup_id_x 1
		.amdhsa_system_sgpr_workgroup_id_y 0
		.amdhsa_system_sgpr_workgroup_id_z 0
		.amdhsa_system_sgpr_workgroup_info 0
		.amdhsa_system_vgpr_workitem_id 0
		.amdhsa_next_free_vgpr 64
		.amdhsa_next_free_sgpr 48
		.amdhsa_reserve_vcc 1
		.amdhsa_float_round_mode_32 0
		.amdhsa_float_round_mode_16_64 0
		.amdhsa_float_denorm_mode_32 3
		.amdhsa_float_denorm_mode_16_64 3
		.amdhsa_dx10_clamp 1
		.amdhsa_ieee_mode 1
		.amdhsa_fp16_overflow 0
		.amdhsa_workgroup_processor_mode 1
		.amdhsa_memory_ordered 1
		.amdhsa_forward_progress 0
		.amdhsa_shared_vgpr_count 0
		.amdhsa_exception_fp_ieee_invalid_op 0
		.amdhsa_exception_fp_denorm_src 0
		.amdhsa_exception_fp_ieee_div_zero 0
		.amdhsa_exception_fp_ieee_overflow 0
		.amdhsa_exception_fp_ieee_underflow 0
		.amdhsa_exception_fp_ieee_inexact 0
		.amdhsa_exception_int_div_zero 0
	.end_amdhsa_kernel
	.section	.text._ZN9rocsparseL38csr2bsr_block_per_row_multipass_kernelILj256ELj64EiliEEv20rocsparse_direction_T3_S2_S2_S2_S2_21rocsparse_index_base_PKT1_PKT2_PKS2_S3_PS4_PS7_PS2_,"axG",@progbits,_ZN9rocsparseL38csr2bsr_block_per_row_multipass_kernelILj256ELj64EiliEEv20rocsparse_direction_T3_S2_S2_S2_S2_21rocsparse_index_base_PKT1_PKT2_PKS2_S3_PS4_PS7_PS2_,comdat
.Lfunc_end16:
	.size	_ZN9rocsparseL38csr2bsr_block_per_row_multipass_kernelILj256ELj64EiliEEv20rocsparse_direction_T3_S2_S2_S2_S2_21rocsparse_index_base_PKT1_PKT2_PKS2_S3_PS4_PS7_PS2_, .Lfunc_end16-_ZN9rocsparseL38csr2bsr_block_per_row_multipass_kernelILj256ELj64EiliEEv20rocsparse_direction_T3_S2_S2_S2_S2_21rocsparse_index_base_PKT1_PKT2_PKS2_S3_PS4_PS7_PS2_
                                        ; -- End function
	.section	.AMDGPU.csdata,"",@progbits
; Kernel info:
; codeLenInByte = 3900
; NumSgprs: 50
; NumVgprs: 64
; ScratchSize: 0
; MemoryBound: 0
; FloatMode: 240
; IeeeMode: 1
; LDSByteSize: 16388 bytes/workgroup (compile time only)
; SGPRBlocks: 6
; VGPRBlocks: 7
; NumSGPRsForWavesPerEU: 50
; NumVGPRsForWavesPerEU: 64
; Occupancy: 14
; WaveLimiterHint : 0
; COMPUTE_PGM_RSRC2:SCRATCH_EN: 0
; COMPUTE_PGM_RSRC2:USER_SGPR: 15
; COMPUTE_PGM_RSRC2:TRAP_HANDLER: 0
; COMPUTE_PGM_RSRC2:TGID_X_EN: 1
; COMPUTE_PGM_RSRC2:TGID_Y_EN: 0
; COMPUTE_PGM_RSRC2:TGID_Z_EN: 0
; COMPUTE_PGM_RSRC2:TIDIG_COMP_CNT: 0
	.section	.text._ZN9rocsparseL21csr2bsr_65_inf_kernelILj32EiliEEv20rocsparse_direction_T2_S2_S2_S2_S2_S2_21rocsparse_index_base_PKT0_PKT1_PKS2_S3_PS4_PS7_PS2_SD_SE_SC_,"axG",@progbits,_ZN9rocsparseL21csr2bsr_65_inf_kernelILj32EiliEEv20rocsparse_direction_T2_S2_S2_S2_S2_S2_21rocsparse_index_base_PKT0_PKT1_PKS2_S3_PS4_PS7_PS2_SD_SE_SC_,comdat
	.globl	_ZN9rocsparseL21csr2bsr_65_inf_kernelILj32EiliEEv20rocsparse_direction_T2_S2_S2_S2_S2_S2_21rocsparse_index_base_PKT0_PKT1_PKS2_S3_PS4_PS7_PS2_SD_SE_SC_ ; -- Begin function _ZN9rocsparseL21csr2bsr_65_inf_kernelILj32EiliEEv20rocsparse_direction_T2_S2_S2_S2_S2_S2_21rocsparse_index_base_PKT0_PKT1_PKS2_S3_PS4_PS7_PS2_SD_SE_SC_
	.p2align	8
	.type	_ZN9rocsparseL21csr2bsr_65_inf_kernelILj32EiliEEv20rocsparse_direction_T2_S2_S2_S2_S2_S2_21rocsparse_index_base_PKT0_PKT1_PKS2_S3_PS4_PS7_PS2_SD_SE_SC_,@function
_ZN9rocsparseL21csr2bsr_65_inf_kernelILj32EiliEEv20rocsparse_direction_T2_S2_S2_S2_S2_S2_21rocsparse_index_base_PKT0_PKT1_PKS2_S3_PS4_PS7_PS2_SD_SE_SC_: ; @_ZN9rocsparseL21csr2bsr_65_inf_kernelILj32EiliEEv20rocsparse_direction_T2_S2_S2_S2_S2_S2_21rocsparse_index_base_PKT0_PKT1_PKS2_S3_PS4_PS7_PS2_SD_SE_SC_
; %bb.0:
	s_clause 0x2
	s_load_b128 s[4:7], s[0:1], 0x0
	s_load_b64 s[2:3], s[0:1], 0x58
	s_load_b32 s26, s[0:1], 0x38
	s_mov_b32 s22, s15
	s_mov_b32 s25, 0
	s_waitcnt lgkmcnt(0)
	s_cmp_ge_i32 s15, s7
	s_mov_b32 s7, 0
	s_cbranch_scc1 .LBB17_2
; %bb.1:
	s_load_b64 s[8:9], s[0:1], 0x48
	s_ashr_i32 s23, s22, 31
	s_delay_alu instid0(SALU_CYCLE_1)
	s_lshl_b64 s[10:11], s[22:23], 3
	s_waitcnt lgkmcnt(0)
	s_add_u32 s8, s8, s10
	s_addc_u32 s9, s9, s11
	s_load_b32 s7, s[8:9], 0x0
	s_waitcnt lgkmcnt(0)
	s_sub_i32 s7, s7, s26
.LBB17_2:
	s_load_b128 s[8:11], s[0:1], 0x14
	s_waitcnt lgkmcnt(0)
	v_mul_lo_u32 v3, v0, s9
	s_mul_i32 s11, s22, s9
	s_delay_alu instid0(SALU_CYCLE_1) | instskip(NEXT) | instid1(SALU_CYCLE_1)
	s_lshl_b32 s24, s11, 6
	s_lshl_b64 s[12:13], s[24:25], 3
	s_delay_alu instid0(SALU_CYCLE_1) | instskip(NEXT) | instid1(VALU_DEP_1)
	s_add_u32 s27, s2, s12
	v_ashrrev_i32_e32 v4, 31, v3
	s_addc_u32 s28, s3, s13
	s_lshl_b32 s24, s9, 5
	s_cmp_gt_i32 s9, 0
	s_cselect_b32 s11, -1, 0
	v_lshlrev_b64 v[7:8], 3, v[3:4]
	s_cmp_lt_i32 s9, 1
	s_delay_alu instid0(VALU_DEP_1) | instskip(NEXT) | instid1(VALU_DEP_2)
	v_add_co_u32 v1, vcc_lo, s27, v7
	v_add_co_ci_u32_e32 v2, vcc_lo, s28, v8, vcc_lo
	s_cbranch_scc1 .LBB17_7
; %bb.3:
	s_load_b64 s[12:13], s[0:1], 0x28
	s_mov_b32 s2, 0
	s_delay_alu instid0(VALU_DEP_1) | instskip(SKIP_1) | instid1(SALU_CYCLE_1)
	v_dual_mov_b32 v15, v0 :: v_dual_mov_b32 v10, v2
	s_mov_b32 s3, s2
	v_dual_mov_b32 v9, v1 :: v_dual_mov_b32 v6, s3
	v_mov_b32_e32 v5, s2
	s_mul_i32 s16, s22, s8
	s_lshl_b64 s[14:15], s[24:25], 3
	s_mov_b32 s17, s9
	s_set_inst_prefetch_distance 0x1
	s_branch .LBB17_5
	.p2align	6
.LBB17_4:                               ;   in Loop: Header=BB17_5 Depth=1
	s_or_b32 exec_lo, exec_lo, s2
	v_add_co_u32 v9, vcc_lo, v9, 8
	v_add_co_ci_u32_e32 v10, vcc_lo, 0, v10, vcc_lo
	v_add_nc_u32_e32 v15, 32, v15
	s_add_i32 s17, s17, -1
	s_delay_alu instid0(SALU_CYCLE_1)
	s_cmp_eq_u32 s17, 0
	s_cbranch_scc1 .LBB17_7
.LBB17_5:                               ; =>This Inner Loop Header: Depth=1
	s_delay_alu instid0(VALU_DEP_1) | instskip(SKIP_2) | instid1(VALU_DEP_1)
	v_add_nc_u32_e32 v13, s16, v15
	v_cmp_gt_u32_e32 vcc_lo, s8, v15
	v_add_co_u32 v11, s3, v9, s14
	v_add_co_ci_u32_e64 v12, s3, s15, v10, s3
	s_delay_alu instid0(VALU_DEP_4) | instskip(SKIP_4) | instid1(SALU_CYCLE_1)
	v_cmp_gt_i32_e64 s2, s5, v13
	s_clause 0x1
	global_store_b64 v[9:10], v[5:6], off
	global_store_b64 v[11:12], v[5:6], off
	s_and_b32 s3, vcc_lo, s2
	s_and_saveexec_b32 s2, s3
	s_cbranch_execz .LBB17_4
; %bb.6:                                ;   in Loop: Header=BB17_5 Depth=1
	v_ashrrev_i32_e32 v14, 31, v13
	s_delay_alu instid0(VALU_DEP_1) | instskip(SKIP_1) | instid1(VALU_DEP_1)
	v_lshlrev_b64 v[13:14], 3, v[13:14]
	s_waitcnt lgkmcnt(0)
	v_add_co_u32 v13, vcc_lo, s12, v13
	s_delay_alu instid0(VALU_DEP_2)
	v_add_co_ci_u32_e32 v14, vcc_lo, s13, v14, vcc_lo
	global_load_b128 v[16:19], v[13:14], off
	s_waitcnt vmcnt(0)
	v_sub_co_u32 v13, vcc_lo, v16, s10
	v_subrev_co_ci_u32_e32 v14, vcc_lo, 0, v17, vcc_lo
	v_sub_co_u32 v16, vcc_lo, v18, s10
	v_subrev_co_ci_u32_e32 v17, vcc_lo, 0, v19, vcc_lo
	s_clause 0x1
	global_store_b64 v[9:10], v[13:14], off
	global_store_b64 v[11:12], v[16:17], off
	s_branch .LBB17_4
.LBB17_7:
	s_set_inst_prefetch_distance 0x2
	s_cmp_lt_i32 s6, 1
	s_cbranch_scc1 .LBB17_37
; %bb.8:
	s_waitcnt lgkmcnt(0)
	s_clause 0x4
	s_load_b128 s[12:15], s[0:1], 0x60
	s_load_b64 s[2:3], s[0:1], 0x20
	s_load_b64 s[16:17], s[0:1], 0x50
	;; [unrolled: 1-line block ×4, first 2 shown]
	s_lshl_b64 s[30:31], s[24:25], 3
	s_mul_i32 s22, s24, s22
	s_mov_b32 s23, 0
	s_add_u32 s1, s27, s30
	s_addc_u32 s27, s28, s31
	s_lshl_b64 s[24:25], s[22:23], 2
	v_mbcnt_lo_u32_b32 v5, -1, 0
	v_add_co_u32 v27, vcc_lo, s1, v7
	v_add_co_ci_u32_e32 v28, vcc_lo, s27, v8, vcc_lo
	s_delay_alu instid0(VALU_DEP_3)
	v_xor_b32_e32 v7, 16, v5
	v_xor_b32_e32 v8, 8, v5
	;; [unrolled: 1-line block ×4, first 2 shown]
	s_waitcnt lgkmcnt(0)
	s_add_u32 s22, s12, s24
	s_addc_u32 s28, s13, s25
	s_add_u32 s14, s14, s24
	s_addc_u32 s15, s15, s25
	s_cmp_lg_u32 s4, 0
	v_cmp_gt_i32_e32 vcc_lo, 32, v7
	s_cselect_b32 s12, -1, 0
	s_abs_i32 s13, s8
	v_xor_b32_e32 v14, 1, v5
	v_cvt_f32_u32_e32 v11, s13
	v_cndmask_b32_e32 v7, v5, v7, vcc_lo
	v_cmp_gt_i32_e32 vcc_lo, 32, v8
	s_sub_i32 s1, 0, s13
	v_lshlrev_b64 v[9:10], 2, v[3:4]
	v_rcp_iflag_f32_e32 v11, v11
	v_mul_lo_u32 v26, v0, s8
	v_cmp_eq_u32_e64 s0, 31, v0
	v_dual_mov_b32 v25, 0x7c :: v_dual_mov_b32 v4, 0
	v_dual_mov_b32 v6, 0 :: v_dual_mov_b32 v3, 0
	s_mul_hi_i32 s5, s8, s8
	s_mul_i32 s4, s8, s8
	s_waitcnt_depctr 0xfff
	v_dual_cndmask_b32 v8, v5, v8 :: v_dual_mul_f32 v11, 0x4f7ffffe, v11
	v_cmp_gt_i32_e32 vcc_lo, 32, v12
	s_lshl_b32 s24, s8, 5
	s_mov_b32 s25, 0
	s_delay_alu instid0(VALU_DEP_2) | instskip(SKIP_4) | instid1(VALU_DEP_4)
	v_lshlrev_b32_e32 v30, 2, v8
	v_cvt_u32_f32_e32 v11, v11
	v_dual_cndmask_b32 v12, v5, v12 :: v_dual_lshlrev_b32 v29, 2, v7
	v_cmp_gt_i32_e32 vcc_lo, 32, v13
	v_mov_b32_e32 v36, 0
	v_mul_lo_u32 v15, s1, v11
	s_delay_alu instid0(VALU_DEP_4) | instskip(SKIP_3) | instid1(VALU_DEP_2)
	v_lshlrev_b32_e32 v31, 2, v12
	v_mov_b32_e32 v35, 0
	v_cndmask_b32_e32 v13, v5, v13, vcc_lo
	v_cmp_gt_i32_e32 vcc_lo, 32, v14
	v_dual_cndmask_b32 v5, v5, v14 :: v_dual_lshlrev_b32 v32, 2, v13
	v_add_co_u32 v7, vcc_lo, s22, v9
	v_add_co_ci_u32_e32 v8, vcc_lo, s28, v10, vcc_lo
	s_delay_alu instid0(VALU_DEP_3)
	v_lshlrev_b32_e32 v33, 2, v5
	v_mul_hi_u32 v5, v11, v15
	v_add_co_u32 v9, vcc_lo, s14, v9
	v_add_co_ci_u32_e32 v10, vcc_lo, s15, v10, vcc_lo
	s_add_i32 s14, s7, -1
	s_ashr_i32 s15, s8, 31
	s_delay_alu instid0(VALU_DEP_3)
	v_add_nc_u32_e32 v34, v11, v5
	s_branch .LBB17_10
.LBB17_9:                               ;   in Loop: Header=BB17_10 Depth=1
	s_waitcnt lgkmcnt(1)
	v_add_nc_u32_e32 v3, 1, v19
	s_delay_alu instid0(VALU_DEP_1) | instskip(SKIP_1) | instid1(SALU_CYCLE_1)
	v_cmp_le_i32_e32 vcc_lo, s6, v3
	s_or_b32 s25, vcc_lo, s25
	s_and_not1_b32 exec_lo, exec_lo, s25
	s_cbranch_execz .LBB17_37
.LBB17_10:                              ; =>This Loop Header: Depth=1
                                        ;     Child Loop BB17_14 Depth 2
                                        ;       Child Loop BB17_17 Depth 3
                                        ;     Child Loop BB17_31 Depth 2
	v_mov_b32_e32 v5, s6
	s_and_not1_b32 vcc_lo, exec_lo, s11
	s_cbranch_vccnz .LBB17_23
; %bb.11:                               ;   in Loop: Header=BB17_10 Depth=1
	v_mov_b32_e32 v5, s6
	s_mov_b32 s22, 0
	s_branch .LBB17_14
.LBB17_12:                              ;   in Loop: Header=BB17_14 Depth=2
	s_or_b32 exec_lo, exec_lo, s1
.LBB17_13:                              ;   in Loop: Header=BB17_14 Depth=2
	s_delay_alu instid0(SALU_CYCLE_1) | instskip(SKIP_1) | instid1(SALU_CYCLE_1)
	s_or_b32 exec_lo, exec_lo, s27
	s_add_i32 s22, s22, 1
	s_cmp_eq_u32 s22, s9
	s_cbranch_scc1 .LBB17_23
.LBB17_14:                              ;   Parent Loop BB17_10 Depth=1
                                        ; =>  This Loop Header: Depth=2
                                        ;       Child Loop BB17_17 Depth 3
	s_lshl_b64 s[28:29], s[22:23], 3
	v_mov_b32_e32 v17, s6
	v_add_co_u32 v11, vcc_lo, v1, s28
	v_add_co_ci_u32_e32 v12, vcc_lo, s29, v2, vcc_lo
	v_add_co_u32 v13, vcc_lo, v27, s28
	v_add_co_ci_u32_e32 v14, vcc_lo, s29, v28, vcc_lo
	s_lshl_b64 s[28:29], s[22:23], 2
	s_clause 0x1
	global_load_b64 v[21:22], v[11:12], off
	global_load_b64 v[19:20], v[13:14], off
	v_add_co_u32 v13, vcc_lo, v9, s28
	v_add_co_ci_u32_e32 v14, vcc_lo, s29, v10, vcc_lo
	v_add_co_u32 v15, vcc_lo, v7, s28
	v_add_co_ci_u32_e32 v16, vcc_lo, s29, v8, vcc_lo
	s_mov_b32 s27, exec_lo
	global_store_b32 v[13:14], v6, off
	global_store_b32 v[15:16], v17, off
	s_waitcnt vmcnt(0)
	v_cmpx_lt_i64_e64 v[21:22], v[19:20]
	s_cbranch_execz .LBB17_13
; %bb.15:                               ;   in Loop: Header=BB17_14 Depth=2
	v_lshlrev_b64 v[17:18], 2, v[21:22]
	s_mov_b32 s28, 0
                                        ; implicit-def: $sgpr29
                                        ; implicit-def: $sgpr31
                                        ; implicit-def: $sgpr30
	s_delay_alu instid0(VALU_DEP_1) | instskip(NEXT) | instid1(VALU_DEP_2)
	v_add_co_u32 v23, vcc_lo, s20, v17
	v_add_co_ci_u32_e32 v24, vcc_lo, s21, v18, vcc_lo
	s_set_inst_prefetch_distance 0x1
	s_branch .LBB17_17
	.p2align	6
.LBB17_16:                              ;   in Loop: Header=BB17_17 Depth=3
	s_or_b32 exec_lo, exec_lo, s33
	s_delay_alu instid0(SALU_CYCLE_1) | instskip(NEXT) | instid1(SALU_CYCLE_1)
	s_and_b32 s1, exec_lo, s31
	s_or_b32 s28, s1, s28
	s_and_not1_b32 s1, s29, exec_lo
	s_and_b32 s29, s30, exec_lo
	s_delay_alu instid0(SALU_CYCLE_1)
	s_or_b32 s29, s1, s29
	s_and_not1_b32 exec_lo, exec_lo, s28
	s_cbranch_execz .LBB17_19
.LBB17_17:                              ;   Parent Loop BB17_10 Depth=1
                                        ;     Parent Loop BB17_14 Depth=2
                                        ; =>    This Inner Loop Header: Depth=3
	global_load_b32 v17, v[23:24], off
	s_or_b32 s30, s30, exec_lo
	s_or_b32 s31, s31, exec_lo
	s_mov_b32 s33, exec_lo
	s_waitcnt vmcnt(0)
	v_subrev_nc_u32_e32 v37, s10, v17
	v_dual_mov_b32 v17, v21 :: v_dual_mov_b32 v18, v22
                                        ; implicit-def: $vgpr21_vgpr22
	s_delay_alu instid0(VALU_DEP_2)
	v_cmpx_lt_i32_e64 v37, v3
	s_cbranch_execz .LBB17_16
; %bb.18:                               ;   in Loop: Header=BB17_17 Depth=3
	s_delay_alu instid0(VALU_DEP_2) | instskip(NEXT) | instid1(VALU_DEP_3)
	v_add_co_u32 v21, vcc_lo, v17, 1
	v_add_co_ci_u32_e32 v22, vcc_lo, 0, v18, vcc_lo
	v_add_co_u32 v23, s1, v23, 4
	s_delay_alu instid0(VALU_DEP_1) | instskip(NEXT) | instid1(VALU_DEP_3)
	v_add_co_ci_u32_e64 v24, s1, 0, v24, s1
	v_cmp_ge_i64_e32 vcc_lo, v[21:22], v[19:20]
	s_and_not1_b32 s1, s31, exec_lo
	s_and_not1_b32 s30, s30, exec_lo
	s_and_b32 s31, vcc_lo, exec_lo
	s_delay_alu instid0(SALU_CYCLE_1)
	s_or_b32 s31, s1, s31
	s_branch .LBB17_16
.LBB17_19:                              ;   in Loop: Header=BB17_14 Depth=2
	s_set_inst_prefetch_distance 0x2
	s_or_b32 exec_lo, exec_lo, s28
	v_lshlrev_b64 v[19:20], 2, v[17:18]
	s_xor_b32 s1, s29, -1
	s_delay_alu instid0(SALU_CYCLE_1) | instskip(NEXT) | instid1(SALU_CYCLE_1)
	s_and_saveexec_b32 s28, s1
	s_xor_b32 s1, exec_lo, s28
	s_cbranch_execz .LBB17_21
; %bb.20:                               ;   in Loop: Header=BB17_14 Depth=2
	s_delay_alu instid0(VALU_DEP_1)
	v_add_co_u32 v11, vcc_lo, s2, v19
	v_add_co_ci_u32_e32 v12, vcc_lo, s3, v20, vcc_lo
                                        ; implicit-def: $vgpr19_vgpr20
	global_load_b32 v11, v[11:12], off
	s_waitcnt vmcnt(0)
	global_store_b32 v[13:14], v11, off
	global_store_b32 v[15:16], v37, off
                                        ; implicit-def: $vgpr13_vgpr14
                                        ; implicit-def: $vgpr15_vgpr16
                                        ; implicit-def: $vgpr11_vgpr12
.LBB17_21:                              ;   in Loop: Header=BB17_14 Depth=2
	s_and_not1_saveexec_b32 s1, s1
	s_cbranch_execz .LBB17_12
; %bb.22:                               ;   in Loop: Header=BB17_14 Depth=2
	v_add_co_u32 v19, vcc_lo, s2, v19
	v_add_co_ci_u32_e32 v20, vcc_lo, s3, v20, vcc_lo
	v_min_i32_e32 v5, v37, v5
	global_load_b32 v19, v[19:20], off
	global_store_b32 v[15:16], v37, off
	s_waitcnt vmcnt(0)
	global_store_b32 v[13:14], v19, off
	global_store_b64 v[11:12], v[17:18], off
	s_branch .LBB17_12
.LBB17_23:                              ;   in Loop: Header=BB17_10 Depth=1
	ds_bpermute_b32 v3, v29, v5
	s_waitcnt lgkmcnt(0)
	v_min_i32_e32 v3, v3, v5
	ds_bpermute_b32 v5, v30, v3
	s_waitcnt lgkmcnt(0)
	v_min_i32_e32 v3, v5, v3
	;; [unrolled: 3-line block ×5, first 2 shown]
	s_delay_alu instid0(VALU_DEP_1) | instskip(SKIP_1) | instid1(SALU_CYCLE_1)
	v_cmp_gt_i32_e32 vcc_lo, s6, v3
	s_and_b32 s22, s0, vcc_lo
	s_and_saveexec_b32 s1, s22
	s_cbranch_execz .LBB17_27
; %bb.24:                               ;   in Loop: Header=BB17_10 Depth=1
	v_sub_nc_u32_e32 v5, 0, v3
	s_mov_b32 s22, exec_lo
	s_delay_alu instid0(VALU_DEP_1) | instskip(NEXT) | instid1(VALU_DEP_1)
	v_max_i32_e32 v5, v3, v5
	v_mul_hi_u32 v11, v5, v34
	s_delay_alu instid0(VALU_DEP_1) | instskip(NEXT) | instid1(VALU_DEP_1)
	v_mul_lo_u32 v12, v11, s13
	v_sub_nc_u32_e32 v5, v5, v12
	s_delay_alu instid0(VALU_DEP_1) | instskip(SKIP_1) | instid1(VALU_DEP_2)
	v_subrev_nc_u32_e32 v13, s13, v5
	v_cmp_le_u32_e32 vcc_lo, s13, v5
	v_dual_cndmask_b32 v5, v5, v13 :: v_dual_add_nc_u32 v12, 1, v11
	s_delay_alu instid0(VALU_DEP_1) | instskip(SKIP_1) | instid1(VALU_DEP_3)
	v_cndmask_b32_e32 v11, v11, v12, vcc_lo
	v_ashrrev_i32_e32 v12, 31, v3
	v_cmp_le_u32_e32 vcc_lo, s13, v5
	s_delay_alu instid0(VALU_DEP_3) | instskip(NEXT) | instid1(VALU_DEP_3)
	v_add_nc_u32_e32 v13, 1, v11
	v_xor_b32_e32 v12, s15, v12
	s_delay_alu instid0(VALU_DEP_2) | instskip(NEXT) | instid1(VALU_DEP_1)
	v_cndmask_b32_e32 v5, v11, v13, vcc_lo
	v_xor_b32_e32 v5, v5, v12
	s_delay_alu instid0(VALU_DEP_1) | instskip(NEXT) | instid1(VALU_DEP_1)
	v_sub_nc_u32_e32 v5, v5, v12
	v_cmpx_ge_i32_e64 v5, v35
	s_cbranch_execz .LBB17_26
; %bb.25:                               ;   in Loop: Header=BB17_10 Depth=1
	v_add_nc_u32_e32 v11, s7, v36
	v_add_nc_u32_e32 v35, 1, v5
	;; [unrolled: 1-line block ×4, first 2 shown]
	s_delay_alu instid0(VALU_DEP_4) | instskip(NEXT) | instid1(VALU_DEP_1)
	v_ashrrev_i32_e32 v12, 31, v11
	v_lshlrev_b64 v[11:12], 2, v[11:12]
	s_delay_alu instid0(VALU_DEP_1) | instskip(NEXT) | instid1(VALU_DEP_2)
	v_add_co_u32 v11, vcc_lo, s16, v11
	v_add_co_ci_u32_e32 v12, vcc_lo, s17, v12, vcc_lo
	global_store_b32 v[11:12], v5, off
.LBB17_26:                              ;   in Loop: Header=BB17_10 Depth=1
	s_or_b32 exec_lo, exec_lo, s22
.LBB17_27:                              ;   in Loop: Header=BB17_10 Depth=1
	s_delay_alu instid0(SALU_CYCLE_1)
	s_or_b32 exec_lo, exec_lo, s1
	ds_bpermute_b32 v19, v25, v3
	ds_bpermute_b32 v36, v25, v36
	s_and_not1_b32 vcc_lo, exec_lo, s11
	s_cbranch_vccnz .LBB17_9
; %bb.28:                               ;   in Loop: Header=BB17_10 Depth=1
	s_waitcnt lgkmcnt(1)
	v_sub_nc_u32_e32 v3, 0, v19
	s_waitcnt lgkmcnt(0)
	v_add_nc_u32_e32 v13, s14, v36
	s_mov_b32 s1, s9
	s_delay_alu instid0(VALU_DEP_2) | instskip(NEXT) | instid1(VALU_DEP_2)
	v_max_i32_e32 v3, v19, v3
	v_ashrrev_i32_e32 v14, 31, v13
	v_mul_lo_u32 v15, s5, v13
	s_delay_alu instid0(VALU_DEP_3) | instskip(NEXT) | instid1(VALU_DEP_1)
	v_mul_hi_u32 v5, v3, v34
	v_mul_lo_u32 v11, v5, s13
	s_delay_alu instid0(VALU_DEP_1) | instskip(SKIP_2) | instid1(VALU_DEP_3)
	v_sub_nc_u32_e32 v3, v3, v11
	v_mad_u64_u32 v[11:12], null, s4, v13, 0
	v_mul_lo_u32 v13, s4, v14
	v_subrev_nc_u32_e32 v14, s13, v3
	v_cmp_le_u32_e32 vcc_lo, s13, v3
	s_delay_alu instid0(VALU_DEP_2) | instskip(NEXT) | instid1(VALU_DEP_1)
	v_dual_cndmask_b32 v3, v3, v14 :: v_dual_add_nc_u32 v16, 1, v5
	v_cndmask_b32_e32 v5, v5, v16, vcc_lo
	v_ashrrev_i32_e32 v16, 31, v19
	v_add3_u32 v12, v12, v13, v15
	s_delay_alu instid0(VALU_DEP_4) | instskip(NEXT) | instid1(VALU_DEP_4)
	v_cmp_le_u32_e32 vcc_lo, s13, v3
	v_add_nc_u32_e32 v14, 1, v5
	s_delay_alu instid0(VALU_DEP_4) | instskip(NEXT) | instid1(VALU_DEP_4)
	v_xor_b32_e32 v17, s15, v16
	v_lshlrev_b64 v[15:16], 2, v[11:12]
	v_dual_mov_b32 v12, v10 :: v_dual_mov_b32 v11, v9
	s_delay_alu instid0(VALU_DEP_4) | instskip(SKIP_1) | instid1(VALU_DEP_4)
	v_dual_cndmask_b32 v5, v5, v14 :: v_dual_mov_b32 v14, v8
	v_mov_b32_e32 v13, v7
	v_add_co_u32 v20, vcc_lo, s18, v15
	s_delay_alu instid0(VALU_DEP_3) | instskip(SKIP_2) | instid1(VALU_DEP_3)
	v_xor_b32_e32 v5, v5, v17
	v_mov_b32_e32 v3, v0
	v_add_co_ci_u32_e32 v21, vcc_lo, s19, v16, vcc_lo
	v_sub_nc_u32_e32 v22, v5, v17
	v_mov_b32_e32 v5, v26
	s_branch .LBB17_31
.LBB17_29:                              ;   in Loop: Header=BB17_31 Depth=2
	s_delay_alu instid0(VALU_DEP_1) | instskip(NEXT) | instid1(VALU_DEP_2)
	v_lshlrev_b64 v[17:18], 2, v[17:18]
	v_lshlrev_b64 v[15:16], 2, v[15:16]
	s_delay_alu instid0(VALU_DEP_2) | instskip(NEXT) | instid1(VALU_DEP_3)
	v_add_co_u32 v17, vcc_lo, v20, v17
	v_add_co_ci_u32_e32 v18, vcc_lo, v21, v18, vcc_lo
	s_delay_alu instid0(VALU_DEP_2) | instskip(NEXT) | instid1(VALU_DEP_2)
	v_add_co_u32 v15, vcc_lo, v17, v15
	v_add_co_ci_u32_e32 v16, vcc_lo, v18, v16, vcc_lo
	s_waitcnt vmcnt(0)
	global_store_b32 v[15:16], v23, off
.LBB17_30:                              ;   in Loop: Header=BB17_31 Depth=2
	s_or_b32 exec_lo, exec_lo, s22
	v_add_co_u32 v13, vcc_lo, v13, 4
	v_add_co_ci_u32_e32 v14, vcc_lo, 0, v14, vcc_lo
	v_add_co_u32 v11, vcc_lo, v11, 4
	v_add_nc_u32_e32 v5, s24, v5
	v_add_nc_u32_e32 v3, 32, v3
	v_add_co_ci_u32_e32 v12, vcc_lo, 0, v12, vcc_lo
	s_add_i32 s1, s1, -1
	s_delay_alu instid0(SALU_CYCLE_1)
	s_cmp_eq_u32 s1, 0
	s_cbranch_scc1 .LBB17_9
.LBB17_31:                              ;   Parent Loop BB17_10 Depth=1
                                        ; =>  This Inner Loop Header: Depth=2
	global_load_b32 v15, v[13:14], off
	s_mov_b32 s22, exec_lo
	s_waitcnt vmcnt(0)
	v_cmpx_gt_i32_e64 s6, v15
	s_cbranch_execz .LBB17_30
; %bb.32:                               ;   in Loop: Header=BB17_31 Depth=2
	v_sub_nc_u32_e32 v16, 0, v15
	v_ashrrev_i32_e32 v37, 31, v15
	s_delay_alu instid0(VALU_DEP_2) | instskip(NEXT) | instid1(VALU_DEP_2)
	v_max_i32_e32 v16, v15, v16
	v_xor_b32_e32 v23, s15, v37
	s_delay_alu instid0(VALU_DEP_2) | instskip(NEXT) | instid1(VALU_DEP_1)
	v_mul_hi_u32 v17, v16, v34
	v_mul_lo_u32 v18, v17, s13
	s_delay_alu instid0(VALU_DEP_1) | instskip(NEXT) | instid1(VALU_DEP_1)
	v_sub_nc_u32_e32 v24, v16, v18
	v_subrev_nc_u32_e32 v38, s13, v24
	v_cmp_le_u32_e32 vcc_lo, s13, v24
	v_add_nc_u32_e32 v16, 1, v17
	s_delay_alu instid0(VALU_DEP_1) | instskip(NEXT) | instid1(VALU_DEP_1)
	v_dual_cndmask_b32 v16, v17, v16 :: v_dual_cndmask_b32 v17, v24, v38
	v_add_nc_u32_e32 v18, 1, v16
	s_delay_alu instid0(VALU_DEP_2) | instskip(NEXT) | instid1(VALU_DEP_2)
	v_cmp_le_u32_e32 vcc_lo, s13, v17
	v_cndmask_b32_e32 v16, v16, v18, vcc_lo
	s_delay_alu instid0(VALU_DEP_1) | instskip(NEXT) | instid1(VALU_DEP_1)
	v_xor_b32_e32 v16, v16, v23
	v_sub_nc_u32_e32 v16, v16, v23
	s_delay_alu instid0(VALU_DEP_1)
	v_cmp_eq_u32_e32 vcc_lo, v16, v22
	s_and_b32 exec_lo, exec_lo, vcc_lo
	s_cbranch_execz .LBB17_30
; %bb.33:                               ;   in Loop: Header=BB17_31 Depth=2
	global_load_b32 v23, v[11:12], off
	s_and_b32 vcc_lo, exec_lo, s12
	s_cbranch_vccz .LBB17_35
; %bb.34:                               ;   in Loop: Header=BB17_31 Depth=2
	v_mul_lo_u32 v16, v22, s8
	s_delay_alu instid0(VALU_DEP_1) | instskip(NEXT) | instid1(VALU_DEP_1)
	v_sub_nc_u32_e32 v15, v15, v16
	v_mul_lo_u32 v17, v15, s8
	v_dual_mov_b32 v16, v4 :: v_dual_mov_b32 v15, v3
	s_delay_alu instid0(VALU_DEP_2)
	v_ashrrev_i32_e32 v18, 31, v17
	s_cbranch_execnz .LBB17_29
	s_branch .LBB17_36
.LBB17_35:                              ;   in Loop: Header=BB17_31 Depth=2
                                        ; implicit-def: $vgpr15_vgpr16
                                        ; implicit-def: $vgpr17_vgpr18
.LBB17_36:                              ;   in Loop: Header=BB17_31 Depth=2
	v_cmp_le_u32_e32 vcc_lo, s13, v24
	v_dual_mov_b32 v18, v6 :: v_dual_mov_b32 v17, v5
	v_cndmask_b32_e32 v15, v24, v38, vcc_lo
	s_delay_alu instid0(VALU_DEP_1) | instskip(SKIP_1) | instid1(VALU_DEP_2)
	v_subrev_nc_u32_e32 v16, s13, v15
	v_cmp_le_u32_e32 vcc_lo, s13, v15
	v_cndmask_b32_e32 v15, v15, v16, vcc_lo
	s_delay_alu instid0(VALU_DEP_1) | instskip(NEXT) | instid1(VALU_DEP_1)
	v_xor_b32_e32 v15, v15, v37
	v_sub_nc_u32_e32 v15, v15, v37
	s_delay_alu instid0(VALU_DEP_1)
	v_ashrrev_i32_e32 v16, 31, v15
	s_branch .LBB17_29
.LBB17_37:
	s_nop 0
	s_sendmsg sendmsg(MSG_DEALLOC_VGPRS)
	s_endpgm
	.section	.rodata,"a",@progbits
	.p2align	6, 0x0
	.amdhsa_kernel _ZN9rocsparseL21csr2bsr_65_inf_kernelILj32EiliEEv20rocsparse_direction_T2_S2_S2_S2_S2_S2_21rocsparse_index_base_PKT0_PKT1_PKS2_S3_PS4_PS7_PS2_SD_SE_SC_
		.amdhsa_group_segment_fixed_size 0
		.amdhsa_private_segment_fixed_size 0
		.amdhsa_kernarg_size 112
		.amdhsa_user_sgpr_count 15
		.amdhsa_user_sgpr_dispatch_ptr 0
		.amdhsa_user_sgpr_queue_ptr 0
		.amdhsa_user_sgpr_kernarg_segment_ptr 1
		.amdhsa_user_sgpr_dispatch_id 0
		.amdhsa_user_sgpr_private_segment_size 0
		.amdhsa_wavefront_size32 1
		.amdhsa_uses_dynamic_stack 0
		.amdhsa_enable_private_segment 0
		.amdhsa_system_sgpr_workgroup_id_x 1
		.amdhsa_system_sgpr_workgroup_id_y 0
		.amdhsa_system_sgpr_workgroup_id_z 0
		.amdhsa_system_sgpr_workgroup_info 0
		.amdhsa_system_vgpr_workitem_id 0
		.amdhsa_next_free_vgpr 39
		.amdhsa_next_free_sgpr 34
		.amdhsa_reserve_vcc 1
		.amdhsa_float_round_mode_32 0
		.amdhsa_float_round_mode_16_64 0
		.amdhsa_float_denorm_mode_32 3
		.amdhsa_float_denorm_mode_16_64 3
		.amdhsa_dx10_clamp 1
		.amdhsa_ieee_mode 1
		.amdhsa_fp16_overflow 0
		.amdhsa_workgroup_processor_mode 1
		.amdhsa_memory_ordered 1
		.amdhsa_forward_progress 0
		.amdhsa_shared_vgpr_count 0
		.amdhsa_exception_fp_ieee_invalid_op 0
		.amdhsa_exception_fp_denorm_src 0
		.amdhsa_exception_fp_ieee_div_zero 0
		.amdhsa_exception_fp_ieee_overflow 0
		.amdhsa_exception_fp_ieee_underflow 0
		.amdhsa_exception_fp_ieee_inexact 0
		.amdhsa_exception_int_div_zero 0
	.end_amdhsa_kernel
	.section	.text._ZN9rocsparseL21csr2bsr_65_inf_kernelILj32EiliEEv20rocsparse_direction_T2_S2_S2_S2_S2_S2_21rocsparse_index_base_PKT0_PKT1_PKS2_S3_PS4_PS7_PS2_SD_SE_SC_,"axG",@progbits,_ZN9rocsparseL21csr2bsr_65_inf_kernelILj32EiliEEv20rocsparse_direction_T2_S2_S2_S2_S2_S2_21rocsparse_index_base_PKT0_PKT1_PKS2_S3_PS4_PS7_PS2_SD_SE_SC_,comdat
.Lfunc_end17:
	.size	_ZN9rocsparseL21csr2bsr_65_inf_kernelILj32EiliEEv20rocsparse_direction_T2_S2_S2_S2_S2_S2_21rocsparse_index_base_PKT0_PKT1_PKS2_S3_PS4_PS7_PS2_SD_SE_SC_, .Lfunc_end17-_ZN9rocsparseL21csr2bsr_65_inf_kernelILj32EiliEEv20rocsparse_direction_T2_S2_S2_S2_S2_S2_21rocsparse_index_base_PKT0_PKT1_PKS2_S3_PS4_PS7_PS2_SD_SE_SC_
                                        ; -- End function
	.section	.AMDGPU.csdata,"",@progbits
; Kernel info:
; codeLenInByte = 2288
; NumSgprs: 36
; NumVgprs: 39
; ScratchSize: 0
; MemoryBound: 0
; FloatMode: 240
; IeeeMode: 1
; LDSByteSize: 0 bytes/workgroup (compile time only)
; SGPRBlocks: 4
; VGPRBlocks: 4
; NumSGPRsForWavesPerEU: 36
; NumVGPRsForWavesPerEU: 39
; Occupancy: 16
; WaveLimiterHint : 0
; COMPUTE_PGM_RSRC2:SCRATCH_EN: 0
; COMPUTE_PGM_RSRC2:USER_SGPR: 15
; COMPUTE_PGM_RSRC2:TRAP_HANDLER: 0
; COMPUTE_PGM_RSRC2:TGID_X_EN: 1
; COMPUTE_PGM_RSRC2:TGID_Y_EN: 0
; COMPUTE_PGM_RSRC2:TGID_Z_EN: 0
; COMPUTE_PGM_RSRC2:TIDIG_COMP_CNT: 0
	.section	.text._ZN9rocsparseL35csr2bsr_block_dim_equals_one_kernelILj256EiilEEvT2_S1_S1_S1_21rocsparse_index_base_PKT0_PKT1_PKS1_S2_PS3_PS6_PS1_,"axG",@progbits,_ZN9rocsparseL35csr2bsr_block_dim_equals_one_kernelILj256EiilEEvT2_S1_S1_S1_21rocsparse_index_base_PKT0_PKT1_PKS1_S2_PS3_PS6_PS1_,comdat
	.globl	_ZN9rocsparseL35csr2bsr_block_dim_equals_one_kernelILj256EiilEEvT2_S1_S1_S1_21rocsparse_index_base_PKT0_PKT1_PKS1_S2_PS3_PS6_PS1_ ; -- Begin function _ZN9rocsparseL35csr2bsr_block_dim_equals_one_kernelILj256EiilEEvT2_S1_S1_S1_21rocsparse_index_base_PKT0_PKT1_PKS1_S2_PS3_PS6_PS1_
	.p2align	8
	.type	_ZN9rocsparseL35csr2bsr_block_dim_equals_one_kernelILj256EiilEEvT2_S1_S1_S1_21rocsparse_index_base_PKT0_PKT1_PKS1_S2_PS3_PS6_PS1_,@function
_ZN9rocsparseL35csr2bsr_block_dim_equals_one_kernelILj256EiilEEvT2_S1_S1_S1_21rocsparse_index_base_PKT0_PKT1_PKS1_S2_PS3_PS6_PS1_: ; @_ZN9rocsparseL35csr2bsr_block_dim_equals_one_kernelILj256EiilEEvT2_S1_S1_S1_21rocsparse_index_base_PKT0_PKT1_PKS1_S2_PS3_PS6_PS1_
; %bb.0:
	s_clause 0x1
	s_load_b64 s[2:3], s[0:1], 0x0
	s_load_b128 s[4:7], s[0:1], 0x28
	v_lshl_or_b32 v0, s15, 8, v0
	s_waitcnt lgkmcnt(0)
	s_lshl_b64 s[2:3], s[2:3], 2
	s_delay_alu instid0(SALU_CYCLE_1)
	s_add_u32 s2, s6, s2
	s_addc_u32 s3, s7, s3
	s_clause 0x1
	s_load_b32 s2, s[2:3], 0x0
	s_load_b32 s3, s[6:7], 0x0
	s_waitcnt lgkmcnt(0)
	s_sub_i32 s10, s2, s3
	s_mov_b32 s2, exec_lo
	v_cmpx_gt_i32_e64 s10, v0
	s_cbranch_execz .LBB18_3
; %bb.1:
	s_clause 0x5
	s_load_b32 s11, s[0:1], 0x40
	s_load_b64 s[2:3], s[0:1], 0x48
	s_load_b32 s12, s[0:1], 0x20
	s_load_b32 s13, s[0:1], 0x60
	s_load_b64 s[6:7], s[0:1], 0x38
	s_load_b64 s[8:9], s[0:1], 0x58
	s_mov_b32 s1, 0
	s_waitcnt lgkmcnt(0)
	s_sub_u32 s11, s11, s12
	s_subb_u32 s12, 0, 0
	s_lshl_b32 s13, s13, 8
	s_set_inst_prefetch_distance 0x1
	.p2align	6
.LBB18_2:                               ; =>This Inner Loop Header: Depth=1
	v_ashrrev_i32_e32 v1, 31, v0
	s_delay_alu instid0(VALU_DEP_1) | instskip(SKIP_2) | instid1(VALU_DEP_3)
	v_lshlrev_b64 v[2:3], 3, v[0:1]
	v_lshlrev_b64 v[6:7], 2, v[0:1]
	v_add_nc_u32_e32 v0, s13, v0
	v_add_co_u32 v4, vcc_lo, s6, v2
	s_delay_alu instid0(VALU_DEP_4) | instskip(NEXT) | instid1(VALU_DEP_4)
	v_add_co_ci_u32_e32 v5, vcc_lo, s7, v3, vcc_lo
	v_add_co_u32 v8, vcc_lo, s4, v6
	v_add_co_ci_u32_e32 v9, vcc_lo, s5, v7, vcc_lo
	global_load_b64 v[4:5], v[4:5], off
	v_add_co_u32 v1, s0, s8, v2
	global_load_b32 v8, v[8:9], off
	v_add_co_ci_u32_e64 v2, s0, s9, v3, s0
	v_cmp_le_i32_e32 vcc_lo, s10, v0
	s_or_b32 s1, vcc_lo, s1
	s_waitcnt vmcnt(1)
	v_add_co_u32 v3, s0, s11, v4
	s_delay_alu instid0(VALU_DEP_1) | instskip(SKIP_1) | instid1(VALU_DEP_1)
	v_add_co_ci_u32_e64 v4, s0, s12, v5, s0
	v_add_co_u32 v5, s0, s2, v6
	v_add_co_ci_u32_e64 v6, s0, s3, v7, s0
	global_store_b64 v[1:2], v[3:4], off
	s_waitcnt vmcnt(0)
	global_store_b32 v[5:6], v8, off
	s_and_not1_b32 exec_lo, exec_lo, s1
	s_cbranch_execnz .LBB18_2
.LBB18_3:
	s_set_inst_prefetch_distance 0x2
	s_nop 0
	s_sendmsg sendmsg(MSG_DEALLOC_VGPRS)
	s_endpgm
	.section	.rodata,"a",@progbits
	.p2align	6, 0x0
	.amdhsa_kernel _ZN9rocsparseL35csr2bsr_block_dim_equals_one_kernelILj256EiilEEvT2_S1_S1_S1_21rocsparse_index_base_PKT0_PKT1_PKS1_S2_PS3_PS6_PS1_
		.amdhsa_group_segment_fixed_size 0
		.amdhsa_private_segment_fixed_size 0
		.amdhsa_kernarg_size 352
		.amdhsa_user_sgpr_count 15
		.amdhsa_user_sgpr_dispatch_ptr 0
		.amdhsa_user_sgpr_queue_ptr 0
		.amdhsa_user_sgpr_kernarg_segment_ptr 1
		.amdhsa_user_sgpr_dispatch_id 0
		.amdhsa_user_sgpr_private_segment_size 0
		.amdhsa_wavefront_size32 1
		.amdhsa_uses_dynamic_stack 0
		.amdhsa_enable_private_segment 0
		.amdhsa_system_sgpr_workgroup_id_x 1
		.amdhsa_system_sgpr_workgroup_id_y 0
		.amdhsa_system_sgpr_workgroup_id_z 0
		.amdhsa_system_sgpr_workgroup_info 0
		.amdhsa_system_vgpr_workitem_id 0
		.amdhsa_next_free_vgpr 10
		.amdhsa_next_free_sgpr 16
		.amdhsa_reserve_vcc 1
		.amdhsa_float_round_mode_32 0
		.amdhsa_float_round_mode_16_64 0
		.amdhsa_float_denorm_mode_32 3
		.amdhsa_float_denorm_mode_16_64 3
		.amdhsa_dx10_clamp 1
		.amdhsa_ieee_mode 1
		.amdhsa_fp16_overflow 0
		.amdhsa_workgroup_processor_mode 1
		.amdhsa_memory_ordered 1
		.amdhsa_forward_progress 0
		.amdhsa_shared_vgpr_count 0
		.amdhsa_exception_fp_ieee_invalid_op 0
		.amdhsa_exception_fp_denorm_src 0
		.amdhsa_exception_fp_ieee_div_zero 0
		.amdhsa_exception_fp_ieee_overflow 0
		.amdhsa_exception_fp_ieee_underflow 0
		.amdhsa_exception_fp_ieee_inexact 0
		.amdhsa_exception_int_div_zero 0
	.end_amdhsa_kernel
	.section	.text._ZN9rocsparseL35csr2bsr_block_dim_equals_one_kernelILj256EiilEEvT2_S1_S1_S1_21rocsparse_index_base_PKT0_PKT1_PKS1_S2_PS3_PS6_PS1_,"axG",@progbits,_ZN9rocsparseL35csr2bsr_block_dim_equals_one_kernelILj256EiilEEvT2_S1_S1_S1_21rocsparse_index_base_PKT0_PKT1_PKS1_S2_PS3_PS6_PS1_,comdat
.Lfunc_end18:
	.size	_ZN9rocsparseL35csr2bsr_block_dim_equals_one_kernelILj256EiilEEvT2_S1_S1_S1_21rocsparse_index_base_PKT0_PKT1_PKS1_S2_PS3_PS6_PS1_, .Lfunc_end18-_ZN9rocsparseL35csr2bsr_block_dim_equals_one_kernelILj256EiilEEvT2_S1_S1_S1_21rocsparse_index_base_PKT0_PKT1_PKS1_S2_PS3_PS6_PS1_
                                        ; -- End function
	.section	.AMDGPU.csdata,"",@progbits
; Kernel info:
; codeLenInByte = 348
; NumSgprs: 18
; NumVgprs: 10
; ScratchSize: 0
; MemoryBound: 0
; FloatMode: 240
; IeeeMode: 1
; LDSByteSize: 0 bytes/workgroup (compile time only)
; SGPRBlocks: 2
; VGPRBlocks: 1
; NumSGPRsForWavesPerEU: 18
; NumVGPRsForWavesPerEU: 10
; Occupancy: 16
; WaveLimiterHint : 0
; COMPUTE_PGM_RSRC2:SCRATCH_EN: 0
; COMPUTE_PGM_RSRC2:USER_SGPR: 15
; COMPUTE_PGM_RSRC2:TRAP_HANDLER: 0
; COMPUTE_PGM_RSRC2:TGID_X_EN: 1
; COMPUTE_PGM_RSRC2:TGID_Y_EN: 0
; COMPUTE_PGM_RSRC2:TGID_Z_EN: 0
; COMPUTE_PGM_RSRC2:TIDIG_COMP_CNT: 0
	.section	.text._ZN9rocsparseL42csr2bsr_wavefront_per_row_multipass_kernelILj256ELj16ELj4EiilEEv20rocsparse_direction_T4_S2_S2_S2_S2_21rocsparse_index_base_PKT2_PKT3_PKS2_S3_PS4_PS7_PS2_,"axG",@progbits,_ZN9rocsparseL42csr2bsr_wavefront_per_row_multipass_kernelILj256ELj16ELj4EiilEEv20rocsparse_direction_T4_S2_S2_S2_S2_21rocsparse_index_base_PKT2_PKT3_PKS2_S3_PS4_PS7_PS2_,comdat
	.globl	_ZN9rocsparseL42csr2bsr_wavefront_per_row_multipass_kernelILj256ELj16ELj4EiilEEv20rocsparse_direction_T4_S2_S2_S2_S2_21rocsparse_index_base_PKT2_PKT3_PKS2_S3_PS4_PS7_PS2_ ; -- Begin function _ZN9rocsparseL42csr2bsr_wavefront_per_row_multipass_kernelILj256ELj16ELj4EiilEEv20rocsparse_direction_T4_S2_S2_S2_S2_21rocsparse_index_base_PKT2_PKT3_PKS2_S3_PS4_PS7_PS2_
	.p2align	8
	.type	_ZN9rocsparseL42csr2bsr_wavefront_per_row_multipass_kernelILj256ELj16ELj4EiilEEv20rocsparse_direction_T4_S2_S2_S2_S2_21rocsparse_index_base_PKT2_PKT3_PKS2_S3_PS4_PS7_PS2_,@function
_ZN9rocsparseL42csr2bsr_wavefront_per_row_multipass_kernelILj256ELj16ELj4EiilEEv20rocsparse_direction_T4_S2_S2_S2_S2_21rocsparse_index_base_PKT2_PKT3_PKS2_S3_PS4_PS7_PS2_: ; @_ZN9rocsparseL42csr2bsr_wavefront_per_row_multipass_kernelILj256ELj16ELj4EiilEEv20rocsparse_direction_T4_S2_S2_S2_S2_21rocsparse_index_base_PKT2_PKT3_PKS2_S3_PS4_PS7_PS2_
; %bb.0:
	s_load_b64 s[8:9], s[0:1], 0x28
	v_lshrrev_b32_e32 v15, 4, v0
	s_mov_b32 s10, s15
	s_ashr_i32 s11, s15, 31
	s_clause 0x1
	s_load_b64 s[14:15], s[0:1], 0x8
	s_load_b128 s[4:7], s[0:1], 0x18
	s_lshl_b64 s[2:3], s[10:11], 4
	v_mov_b32_e32 v2, 0
	v_or_b32_e32 v5, s2, v15
	v_bfe_u32 v1, v0, 2, 2
	s_clause 0x1
	s_load_b32 s16, s[0:1], 0x30
	s_load_b64 s[12:13], s[0:1], 0x40
	v_mov_b32_e32 v10, v2
	s_waitcnt lgkmcnt(0)
	v_mul_lo_u32 v6, v5, s9
	v_mad_u64_u32 v[3:4], null, v5, s8, v[1:2]
	s_mul_i32 s2, s3, s8
	s_delay_alu instid0(VALU_DEP_1) | instid1(SALU_CYCLE_1)
	v_add3_u32 v4, s2, v4, v6
	v_cmp_gt_i64_e64 s2, s[8:9], v[1:2]
	s_delay_alu instid0(VALU_DEP_2) | instskip(NEXT) | instid1(VALU_DEP_2)
	v_cmp_gt_i64_e32 vcc_lo, s[14:15], v[3:4]
	s_and_b32 s3, s2, vcc_lo
	s_delay_alu instid0(SALU_CYCLE_1)
	s_and_saveexec_b32 s11, s3
	s_cbranch_execz .LBB19_2
; %bb.1:
	v_lshlrev_b64 v[5:6], 2, v[3:4]
	s_delay_alu instid0(VALU_DEP_1) | instskip(NEXT) | instid1(VALU_DEP_2)
	v_add_co_u32 v5, vcc_lo, s12, v5
	v_add_co_ci_u32_e32 v6, vcc_lo, s13, v6, vcc_lo
	global_load_b32 v5, v[5:6], off
	s_waitcnt vmcnt(0)
	v_subrev_nc_u32_e32 v10, s16, v5
.LBB19_2:
	s_or_b32 exec_lo, exec_lo, s11
	s_and_saveexec_b32 s11, s3
	s_cbranch_execz .LBB19_4
; %bb.3:
	v_lshlrev_b64 v[2:3], 2, v[3:4]
	s_delay_alu instid0(VALU_DEP_1) | instskip(NEXT) | instid1(VALU_DEP_2)
	v_add_co_u32 v2, vcc_lo, s12, v2
	v_add_co_ci_u32_e32 v3, vcc_lo, s13, v3, vcc_lo
	global_load_b32 v2, v[2:3], off offset:4
	s_waitcnt vmcnt(0)
	v_subrev_nc_u32_e32 v2, s16, v2
.LBB19_4:
	s_or_b32 exec_lo, exec_lo, s11
	s_load_b32 s17, s[0:1], 0x50
	v_mov_b32_e32 v5, 0
	v_lshl_or_b32 v4, s10, 4, v15
	s_mov_b32 s3, exec_lo
	s_delay_alu instid0(VALU_DEP_2) | instskip(NEXT) | instid1(VALU_DEP_2)
	v_mov_b32_e32 v3, v5
	v_cmpx_gt_i64_e64 s[4:5], v[4:5]
	s_cbranch_execz .LBB19_6
; %bb.5:
	s_load_b64 s[4:5], s[0:1], 0x60
	v_lshlrev_b64 v[3:4], 2, v[4:5]
	s_waitcnt lgkmcnt(0)
	s_delay_alu instid0(VALU_DEP_1) | instskip(NEXT) | instid1(VALU_DEP_2)
	v_add_co_u32 v3, vcc_lo, s4, v3
	v_add_co_ci_u32_e32 v4, vcc_lo, s5, v4, vcc_lo
	global_load_b32 v3, v[3:4], off
	s_waitcnt vmcnt(0)
	v_subrev_nc_u32_e32 v3, s17, v3
.LBB19_6:
	s_or_b32 exec_lo, exec_lo, s3
	v_cmp_lt_i64_e64 s3, s[6:7], 1
	s_delay_alu instid0(VALU_DEP_1)
	s_and_b32 vcc_lo, exec_lo, s3
	s_cbranch_vccnz .LBB19_25
; %bb.7:
	v_lshlrev_b32_e32 v14, 2, v1
	v_mbcnt_lo_u32_b32 v21, -1, 0
	v_and_b32_e32 v5, 3, v0
	v_mad_u64_u32 v[11:12], null, v1, s8, 0
	s_delay_alu instid0(VALU_DEP_4) | instskip(NEXT) | instid1(VALU_DEP_4)
	v_and_or_b32 v16, 0x3f0, v0, v14
	v_xor_b32_e32 v0, 2, v21
	s_delay_alu instid0(VALU_DEP_4)
	v_mad_u64_u32 v[7:8], null, v5, s8, 0
	s_clause 0x4
	s_load_b64 s[4:5], s[0:1], 0x68
	s_load_b64 s[14:15], s[0:1], 0x58
	;; [unrolled: 1-line block ×4, first 2 shown]
	s_load_b32 s0, s[0:1], 0x0
	v_cmp_gt_i32_e32 vcc_lo, 32, v0
	s_mul_i32 s3, s8, s9
	v_mov_b32_e32 v26, 1
	s_mov_b32 s1, 0
	s_mul_i32 s19, s8, s8
	v_cndmask_b32_e32 v6, v21, v0, vcc_lo
	v_mov_b32_e32 v0, v8
	v_or_b32_e32 v4, v16, v5
	v_mov_b32_e32 v27, 0
	s_delay_alu instid0(VALU_DEP_3) | instskip(SKIP_1) | instid1(VALU_DEP_4)
	v_mad_u64_u32 v[8:9], null, v5, s9, v[0:1]
	v_lshlrev_b32_e32 v9, 2, v21
	v_lshlrev_b32_e32 v17, 2, v4
	v_xor_b32_e32 v4, 1, v21
	v_lshlrev_b32_e32 v18, 2, v6
	s_delay_alu instid0(VALU_DEP_4) | instskip(SKIP_1) | instid1(VALU_DEP_4)
	v_or_b32_e32 v20, 12, v9
	v_lshlrev_b64 v[7:8], 2, v[7:8]
	v_cmp_gt_i32_e32 vcc_lo, 32, v4
	s_waitcnt lgkmcnt(0)
	s_cmp_eq_u32 s0, 0
	s_mul_hi_u32 s0, s8, s8
	v_or_b32_e32 v23, 60, v9
	v_cndmask_b32_e32 v6, v21, v4, vcc_lo
	v_mov_b32_e32 v4, v12
	s_delay_alu instid0(VALU_DEP_1) | instskip(SKIP_2) | instid1(VALU_DEP_2)
	v_mad_u64_u32 v[12:13], null, v1, s9, v[4:5]
	v_add_co_u32 v1, vcc_lo, s14, v7
	v_add_co_ci_u32_e32 v4, vcc_lo, s15, v8, vcc_lo
	v_add_co_u32 v1, vcc_lo, v1, v14
	s_delay_alu instid0(VALU_DEP_4) | instskip(SKIP_1) | instid1(VALU_DEP_4)
	v_lshlrev_b64 v[7:8], 2, v[11:12]
	v_lshlrev_b32_e32 v11, 2, v5
	v_add_co_ci_u32_e32 v4, vcc_lo, 0, v4, vcc_lo
	v_xor_b32_e32 v12, 8, v21
	v_dual_mov_b32 v0, 0 :: v_dual_lshlrev_b32 v19, 2, v6
	v_add_co_u32 v7, vcc_lo, s14, v7
	v_add_co_ci_u32_e32 v8, vcc_lo, s15, v8, vcc_lo
	s_delay_alu instid0(VALU_DEP_2) | instskip(NEXT) | instid1(VALU_DEP_2)
	v_add_co_u32 v7, vcc_lo, v7, v11
	v_add_co_ci_u32_e32 v8, vcc_lo, 0, v8, vcc_lo
	v_xor_b32_e32 v11, 4, v21
	s_cselect_b32 vcc_lo, -1, 0
	s_add_i32 s14, s0, s3
	v_cmp_gt_i32_e64 s0, 32, v12
	v_cndmask_b32_e32 v24, v4, v8, vcc_lo
	v_dual_mov_b32 v8, 0 :: v_dual_cndmask_b32 v25, v1, v7
	v_mov_b32_e32 v9, 0
	s_delay_alu instid0(VALU_DEP_4) | instskip(SKIP_4) | instid1(VALU_DEP_2)
	v_cndmask_b32_e64 v12, v21, v12, s0
	v_cmp_gt_i32_e64 s0, 32, v11
	v_mov_b32_e32 v6, v0
	s_add_i32 s18, s14, s3
	s_sub_i32 s21, 0, s8
	v_cndmask_b32_e64 v11, v21, v11, s0
	v_lshlrev_b32_e32 v21, 2, v12
	v_cmp_gt_u64_e64 s0, s[8:9], v[5:6]
	s_delay_alu instid0(VALU_DEP_3) | instskip(NEXT) | instid1(VALU_DEP_2)
	v_lshlrev_b32_e32 v22, 2, v11
	s_and_b32 s20, s2, s0
	s_ashr_i32 s2, s9, 31
	s_branch .LBB19_10
.LBB19_8:                               ;   in Loop: Header=BB19_10 Depth=1
	s_or_b32 exec_lo, exec_lo, s3
	v_mov_b32_e32 v1, 1
.LBB19_9:                               ;   in Loop: Header=BB19_10 Depth=1
	s_or_b32 exec_lo, exec_lo, s0
	ds_bpermute_b32 v8, v21, v6
	ds_bpermute_b32 v9, v21, v7
	s_waitcnt lgkmcnt(0)
	s_waitcnt_vscnt null, 0x0
	buffer_gl0_inv
	buffer_gl0_inv
	v_add_nc_u32_e32 v3, v1, v3
	v_cmp_lt_i64_e32 vcc_lo, v[8:9], v[6:7]
	v_dual_cndmask_b32 v7, v7, v9 :: v_dual_cndmask_b32 v6, v6, v8
	ds_bpermute_b32 v9, v22, v7
	ds_bpermute_b32 v8, v22, v6
	s_waitcnt lgkmcnt(0)
	v_cmp_lt_i64_e32 vcc_lo, v[8:9], v[6:7]
	v_dual_cndmask_b32 v7, v7, v9 :: v_dual_cndmask_b32 v6, v6, v8
	ds_bpermute_b32 v9, v18, v7
	ds_bpermute_b32 v8, v18, v6
	s_waitcnt lgkmcnt(0)
	;; [unrolled: 5-line block ×3, first 2 shown]
	v_cmp_lt_i64_e32 vcc_lo, v[8:9], v[6:7]
	v_cndmask_b32_e32 v4, v6, v8, vcc_lo
	ds_bpermute_b32 v8, v23, v4
	s_waitcnt lgkmcnt(0)
	v_ashrrev_i32_e32 v9, 31, v8
	v_mov_b32_e32 v27, v8
	s_delay_alu instid0(VALU_DEP_2) | instskip(SKIP_1) | instid1(SALU_CYCLE_1)
	v_cmp_le_i64_e32 vcc_lo, s[6:7], v[8:9]
	s_or_b32 s1, vcc_lo, s1
	s_and_not1_b32 exec_lo, exec_lo, s1
	s_cbranch_execz .LBB19_25
.LBB19_10:                              ; =>This Loop Header: Depth=1
                                        ;     Child Loop BB19_13 Depth 2
	v_dual_mov_b32 v6, s6 :: v_dual_mov_b32 v1, v2
	v_dual_mov_b32 v7, s7 :: v_dual_add_nc_u32 v10, v10, v5
	s_mov_b32 s22, exec_lo
	ds_store_b8 v15, v0 offset:1024
	ds_store_b32 v17, v0
	s_waitcnt lgkmcnt(0)
	buffer_gl0_inv
	v_cmpx_lt_i32_e64 v10, v2
	s_cbranch_execz .LBB19_22
; %bb.11:                               ;   in Loop: Header=BB19_10 Depth=1
	v_mad_u64_u32 v[12:13], null, v8, s8, 0
	v_dual_mov_b32 v6, s6 :: v_dual_mov_b32 v7, s7
	v_mov_b32_e32 v4, v2
	s_mov_b32 s23, 0
	s_branch .LBB19_13
.LBB19_12:                              ;   in Loop: Header=BB19_13 Depth=2
	s_or_b32 exec_lo, exec_lo, s3
	v_add_nc_u32_e32 v10, 4, v10
	s_xor_b32 s3, vcc_lo, -1
	v_mov_b32_e32 v4, v1
	s_delay_alu instid0(VALU_DEP_2) | instskip(NEXT) | instid1(VALU_DEP_1)
	v_cmp_ge_i32_e64 s0, v10, v2
	s_or_b32 s0, s3, s0
	s_delay_alu instid0(SALU_CYCLE_1) | instskip(NEXT) | instid1(SALU_CYCLE_1)
	s_and_b32 s0, exec_lo, s0
	s_or_b32 s23, s0, s23
	s_delay_alu instid0(SALU_CYCLE_1)
	s_and_not1_b32 exec_lo, exec_lo, s23
	s_cbranch_execz .LBB19_21
.LBB19_13:                              ;   Parent Loop BB19_10 Depth=1
                                        ; =>  This Inner Loop Header: Depth=2
	v_ashrrev_i32_e32 v11, 31, v10
	s_mov_b32 s0, exec_lo
	s_delay_alu instid0(VALU_DEP_1) | instskip(NEXT) | instid1(VALU_DEP_1)
	v_lshlrev_b64 v[13:14], 3, v[10:11]
	v_add_co_u32 v13, vcc_lo, s10, v13
	s_delay_alu instid0(VALU_DEP_2) | instskip(SKIP_4) | instid1(VALU_DEP_1)
	v_add_co_ci_u32_e32 v14, vcc_lo, s11, v14, vcc_lo
	global_load_b64 v[13:14], v[13:14], off
	s_waitcnt vmcnt(0)
	v_sub_co_u32 v28, vcc_lo, v13, s16
	v_subrev_co_ci_u32_e32 v29, vcc_lo, 0, v14, vcc_lo
                                        ; implicit-def: $vgpr13_vgpr14
	v_or_b32_e32 v1, s9, v29
	s_delay_alu instid0(VALU_DEP_1)
	v_cmpx_ne_u64_e32 0, v[0:1]
	s_xor_b32 s24, exec_lo, s0
	s_cbranch_execz .LBB19_15
; %bb.14:                               ;   in Loop: Header=BB19_13 Depth=2
	s_add_u32 s14, s8, s2
	s_mov_b32 s3, s2
	s_addc_u32 s15, s9, s2
	s_delay_alu instid0(SALU_CYCLE_1) | instskip(NEXT) | instid1(SALU_CYCLE_1)
	s_xor_b64 s[14:15], s[14:15], s[2:3]
	v_cvt_f32_u32_e32 v1, s14
	v_cvt_f32_u32_e32 v13, s15
	s_sub_u32 s0, 0, s14
	s_subb_u32 s3, 0, s15
	s_delay_alu instid0(VALU_DEP_1) | instskip(NEXT) | instid1(VALU_DEP_1)
	v_fmac_f32_e32 v1, 0x4f800000, v13
	v_rcp_f32_e32 v1, v1
	s_waitcnt_depctr 0xfff
	v_mul_f32_e32 v1, 0x5f7ffffc, v1
	s_delay_alu instid0(VALU_DEP_1) | instskip(NEXT) | instid1(VALU_DEP_1)
	v_mul_f32_e32 v13, 0x2f800000, v1
	v_trunc_f32_e32 v13, v13
	s_delay_alu instid0(VALU_DEP_1) | instskip(SKIP_1) | instid1(VALU_DEP_2)
	v_fmac_f32_e32 v1, 0xcf800000, v13
	v_cvt_u32_f32_e32 v13, v13
	v_cvt_u32_f32_e32 v1, v1
	s_delay_alu instid0(VALU_DEP_2) | instskip(NEXT) | instid1(VALU_DEP_2)
	v_mul_lo_u32 v14, s0, v13
	v_mul_hi_u32 v30, s0, v1
	v_mul_lo_u32 v31, s3, v1
	s_delay_alu instid0(VALU_DEP_2) | instskip(SKIP_1) | instid1(VALU_DEP_2)
	v_add_nc_u32_e32 v14, v30, v14
	v_mul_lo_u32 v30, s0, v1
	v_add_nc_u32_e32 v14, v14, v31
	s_delay_alu instid0(VALU_DEP_2) | instskip(NEXT) | instid1(VALU_DEP_2)
	v_mul_hi_u32 v31, v1, v30
	v_mul_lo_u32 v32, v1, v14
	v_mul_hi_u32 v33, v1, v14
	v_mul_hi_u32 v34, v13, v30
	v_mul_lo_u32 v30, v13, v30
	v_mul_hi_u32 v35, v13, v14
	v_mul_lo_u32 v14, v13, v14
	v_add_co_u32 v31, vcc_lo, v31, v32
	v_add_co_ci_u32_e32 v32, vcc_lo, 0, v33, vcc_lo
	s_delay_alu instid0(VALU_DEP_2) | instskip(NEXT) | instid1(VALU_DEP_2)
	v_add_co_u32 v30, vcc_lo, v31, v30
	v_add_co_ci_u32_e32 v30, vcc_lo, v32, v34, vcc_lo
	v_add_co_ci_u32_e32 v31, vcc_lo, 0, v35, vcc_lo
	v_ashrrev_i32_e32 v34, 31, v29
	s_delay_alu instid0(VALU_DEP_3) | instskip(NEXT) | instid1(VALU_DEP_3)
	v_add_co_u32 v14, vcc_lo, v30, v14
	v_add_co_ci_u32_e32 v30, vcc_lo, 0, v31, vcc_lo
	s_delay_alu instid0(VALU_DEP_2) | instskip(NEXT) | instid1(VALU_DEP_2)
	v_add_co_u32 v1, vcc_lo, v1, v14
	v_add_co_ci_u32_e32 v13, vcc_lo, v13, v30, vcc_lo
	s_delay_alu instid0(VALU_DEP_2) | instskip(SKIP_1) | instid1(VALU_DEP_3)
	v_mul_hi_u32 v14, s0, v1
	v_mul_lo_u32 v31, s3, v1
	v_mul_lo_u32 v30, s0, v13
	s_delay_alu instid0(VALU_DEP_1) | instskip(SKIP_1) | instid1(VALU_DEP_2)
	v_add_nc_u32_e32 v14, v14, v30
	v_mul_lo_u32 v30, s0, v1
	v_add_nc_u32_e32 v14, v14, v31
	s_delay_alu instid0(VALU_DEP_2) | instskip(NEXT) | instid1(VALU_DEP_2)
	v_mul_hi_u32 v31, v1, v30
	v_mul_lo_u32 v32, v1, v14
	v_mul_hi_u32 v33, v1, v14
	v_mul_hi_u32 v35, v13, v30
	v_mul_lo_u32 v30, v13, v30
	v_mul_hi_u32 v36, v13, v14
	v_mul_lo_u32 v14, v13, v14
	v_add_co_u32 v31, vcc_lo, v31, v32
	v_add_co_ci_u32_e32 v32, vcc_lo, 0, v33, vcc_lo
	s_delay_alu instid0(VALU_DEP_2) | instskip(NEXT) | instid1(VALU_DEP_2)
	v_add_co_u32 v30, vcc_lo, v31, v30
	v_add_co_ci_u32_e32 v30, vcc_lo, v32, v35, vcc_lo
	v_add_co_ci_u32_e32 v31, vcc_lo, 0, v36, vcc_lo
	v_add_co_u32 v32, vcc_lo, v28, v34
	v_add_co_ci_u32_e32 v29, vcc_lo, v29, v34, vcc_lo
	s_delay_alu instid0(VALU_DEP_4) | instskip(NEXT) | instid1(VALU_DEP_4)
	v_add_co_u32 v14, vcc_lo, v30, v14
	v_add_co_ci_u32_e32 v30, vcc_lo, 0, v31, vcc_lo
	s_delay_alu instid0(VALU_DEP_4) | instskip(NEXT) | instid1(VALU_DEP_3)
	v_xor_b32_e32 v33, v32, v34
	v_add_co_u32 v1, vcc_lo, v1, v14
	s_delay_alu instid0(VALU_DEP_3) | instskip(SKIP_1) | instid1(VALU_DEP_3)
	v_add_co_ci_u32_e32 v35, vcc_lo, v13, v30, vcc_lo
	v_xor_b32_e32 v36, v29, v34
	v_mul_hi_u32 v37, v33, v1
	s_delay_alu instid0(VALU_DEP_3) | instskip(NEXT) | instid1(VALU_DEP_3)
	v_mad_u64_u32 v[13:14], null, v33, v35, 0
	v_mad_u64_u32 v[29:30], null, v36, v1, 0
	;; [unrolled: 1-line block ×3, first 2 shown]
	s_delay_alu instid0(VALU_DEP_3) | instskip(NEXT) | instid1(VALU_DEP_4)
	v_add_co_u32 v1, vcc_lo, v37, v13
	v_add_co_ci_u32_e32 v13, vcc_lo, 0, v14, vcc_lo
	s_delay_alu instid0(VALU_DEP_2) | instskip(NEXT) | instid1(VALU_DEP_2)
	v_add_co_u32 v1, vcc_lo, v1, v29
	v_add_co_ci_u32_e32 v1, vcc_lo, v13, v30, vcc_lo
	v_add_co_ci_u32_e32 v13, vcc_lo, 0, v32, vcc_lo
	s_delay_alu instid0(VALU_DEP_2) | instskip(NEXT) | instid1(VALU_DEP_2)
	v_add_co_u32 v1, vcc_lo, v1, v31
	v_add_co_ci_u32_e32 v29, vcc_lo, 0, v13, vcc_lo
	s_delay_alu instid0(VALU_DEP_2) | instskip(SKIP_1) | instid1(VALU_DEP_3)
	v_mul_lo_u32 v30, s15, v1
	v_mad_u64_u32 v[13:14], null, s14, v1, 0
	v_mul_lo_u32 v31, s14, v29
	s_delay_alu instid0(VALU_DEP_2) | instskip(NEXT) | instid1(VALU_DEP_2)
	v_sub_co_u32 v13, vcc_lo, v33, v13
	v_add3_u32 v14, v14, v31, v30
	s_delay_alu instid0(VALU_DEP_1) | instskip(NEXT) | instid1(VALU_DEP_1)
	v_sub_nc_u32_e32 v30, v36, v14
	v_subrev_co_ci_u32_e64 v30, s0, s15, v30, vcc_lo
	v_add_co_u32 v31, s0, v1, 2
	s_delay_alu instid0(VALU_DEP_1) | instskip(SKIP_3) | instid1(VALU_DEP_3)
	v_add_co_ci_u32_e64 v32, s0, 0, v29, s0
	v_sub_co_u32 v33, s0, v13, s14
	v_sub_co_ci_u32_e32 v14, vcc_lo, v36, v14, vcc_lo
	v_subrev_co_ci_u32_e64 v30, s0, 0, v30, s0
	v_cmp_le_u32_e32 vcc_lo, s14, v33
	s_delay_alu instid0(VALU_DEP_3) | instskip(SKIP_1) | instid1(VALU_DEP_4)
	v_cmp_eq_u32_e64 s0, s15, v14
	v_cndmask_b32_e64 v33, 0, -1, vcc_lo
	v_cmp_le_u32_e32 vcc_lo, s15, v30
	v_cndmask_b32_e64 v35, 0, -1, vcc_lo
	v_cmp_le_u32_e32 vcc_lo, s14, v13
	;; [unrolled: 2-line block ×3, first 2 shown]
	v_cndmask_b32_e64 v36, 0, -1, vcc_lo
	v_cmp_eq_u32_e32 vcc_lo, s15, v30
	s_delay_alu instid0(VALU_DEP_2) | instskip(SKIP_3) | instid1(VALU_DEP_3)
	v_cndmask_b32_e64 v13, v36, v13, s0
	v_cndmask_b32_e32 v30, v35, v33, vcc_lo
	v_add_co_u32 v33, vcc_lo, v1, 1
	v_add_co_ci_u32_e32 v35, vcc_lo, 0, v29, vcc_lo
	v_cmp_ne_u32_e32 vcc_lo, 0, v30
	s_delay_alu instid0(VALU_DEP_3) | instskip(NEXT) | instid1(VALU_DEP_3)
	v_cndmask_b32_e32 v30, v33, v31, vcc_lo
	v_cndmask_b32_e32 v14, v35, v32, vcc_lo
	v_cmp_ne_u32_e32 vcc_lo, 0, v13
	v_xor_b32_e32 v31, s2, v34
	s_delay_alu instid0(VALU_DEP_4) | instskip(NEXT) | instid1(VALU_DEP_4)
	v_cndmask_b32_e32 v1, v1, v30, vcc_lo
	v_cndmask_b32_e32 v13, v29, v14, vcc_lo
	s_delay_alu instid0(VALU_DEP_2) | instskip(NEXT) | instid1(VALU_DEP_2)
	v_xor_b32_e32 v1, v1, v31
	v_xor_b32_e32 v14, v13, v31
	s_delay_alu instid0(VALU_DEP_2) | instskip(NEXT) | instid1(VALU_DEP_2)
	v_sub_co_u32 v13, vcc_lo, v1, v31
	v_sub_co_ci_u32_e32 v14, vcc_lo, v14, v31, vcc_lo
.LBB19_15:                              ;   in Loop: Header=BB19_13 Depth=2
	s_and_not1_saveexec_b32 s0, s24
	s_cbranch_execz .LBB19_17
; %bb.16:                               ;   in Loop: Header=BB19_13 Depth=2
	v_cvt_f32_u32_e32 v1, s8
	s_delay_alu instid0(VALU_DEP_1) | instskip(SKIP_2) | instid1(VALU_DEP_1)
	v_rcp_iflag_f32_e32 v1, v1
	s_waitcnt_depctr 0xfff
	v_mul_f32_e32 v1, 0x4f7ffffe, v1
	v_cvt_u32_f32_e32 v1, v1
	s_delay_alu instid0(VALU_DEP_1) | instskip(NEXT) | instid1(VALU_DEP_1)
	v_mul_lo_u32 v13, s21, v1
	v_mul_hi_u32 v13, v1, v13
	s_delay_alu instid0(VALU_DEP_1) | instskip(NEXT) | instid1(VALU_DEP_1)
	v_add_nc_u32_e32 v1, v1, v13
	v_mul_hi_u32 v1, v28, v1
	s_delay_alu instid0(VALU_DEP_1) | instskip(SKIP_1) | instid1(VALU_DEP_2)
	v_mul_lo_u32 v13, v1, s8
	v_add_nc_u32_e32 v14, 1, v1
	v_sub_nc_u32_e32 v13, v28, v13
	s_delay_alu instid0(VALU_DEP_1) | instskip(SKIP_1) | instid1(VALU_DEP_2)
	v_subrev_nc_u32_e32 v29, s8, v13
	v_cmp_le_u32_e32 vcc_lo, s8, v13
	v_cndmask_b32_e32 v13, v13, v29, vcc_lo
	v_cndmask_b32_e32 v1, v1, v14, vcc_lo
	s_delay_alu instid0(VALU_DEP_2) | instskip(NEXT) | instid1(VALU_DEP_2)
	v_cmp_le_u32_e32 vcc_lo, s8, v13
	v_add_nc_u32_e32 v14, 1, v1
	s_delay_alu instid0(VALU_DEP_1)
	v_dual_cndmask_b32 v13, v1, v14 :: v_dual_mov_b32 v14, v0
.LBB19_17:                              ;   in Loop: Header=BB19_13 Depth=2
	s_or_b32 exec_lo, exec_lo, s0
	s_delay_alu instid0(VALU_DEP_1)
	v_cmp_eq_u64_e32 vcc_lo, v[13:14], v[8:9]
	s_mov_b32 s3, exec_lo
	v_cmpx_ne_u64_e64 v[13:14], v[8:9]
	s_xor_b32 s3, exec_lo, s3
; %bb.18:                               ;   in Loop: Header=BB19_13 Depth=2
	v_cmp_lt_i64_e64 s0, v[13:14], v[6:7]
                                        ; implicit-def: $vgpr28
                                        ; implicit-def: $vgpr4
	s_delay_alu instid0(VALU_DEP_1)
	v_cndmask_b32_e64 v7, v7, v14, s0
	v_cndmask_b32_e64 v6, v6, v13, s0
; %bb.19:                               ;   in Loop: Header=BB19_13 Depth=2
	s_or_saveexec_b32 s3, s3
	v_mov_b32_e32 v1, v10
	s_xor_b32 exec_lo, exec_lo, s3
	s_cbranch_execz .LBB19_12
; %bb.20:                               ;   in Loop: Header=BB19_13 Depth=2
	v_lshlrev_b64 v[13:14], 2, v[10:11]
	v_sub_nc_u32_e32 v1, v28, v12
	s_delay_alu instid0(VALU_DEP_2) | instskip(NEXT) | instid1(VALU_DEP_1)
	v_add_co_u32 v13, s0, s12, v13
	v_add_co_ci_u32_e64 v14, s0, s13, v14, s0
	global_load_b32 v11, v[13:14], off
	v_add_lshl_u32 v13, v16, v1, 2
	v_mov_b32_e32 v1, v4
	ds_store_b8 v15, v26 offset:1024
	s_waitcnt vmcnt(0)
	ds_store_b32 v13, v11
	s_branch .LBB19_12
.LBB19_21:                              ;   in Loop: Header=BB19_10 Depth=1
	s_or_b32 exec_lo, exec_lo, s23
.LBB19_22:                              ;   in Loop: Header=BB19_10 Depth=1
	s_delay_alu instid0(SALU_CYCLE_1)
	s_or_b32 exec_lo, exec_lo, s22
	ds_bpermute_b32 v4, v18, v1
	s_waitcnt lgkmcnt(0)
	buffer_gl0_inv
	ds_load_u8 v8, v15 offset:1024
	v_min_i32_e32 v1, v4, v1
	ds_bpermute_b32 v4, v19, v1
	s_waitcnt lgkmcnt(0)
	v_min_i32_e32 v1, v4, v1
	ds_bpermute_b32 v10, v20, v1
	v_and_b32_e32 v1, 1, v8
	s_delay_alu instid0(VALU_DEP_1)
	v_cmp_eq_u32_e32 vcc_lo, 1, v1
	v_mov_b32_e32 v1, 0
	s_and_saveexec_b32 s0, vcc_lo
	s_cbranch_execz .LBB19_9
; %bb.23:                               ;   in Loop: Header=BB19_10 Depth=1
	v_ashrrev_i32_e32 v4, 31, v3
	v_add_nc_u32_e32 v8, s17, v27
	s_delay_alu instid0(VALU_DEP_2) | instskip(NEXT) | instid1(VALU_DEP_2)
	v_lshlrev_b64 v[11:12], 3, v[3:4]
	v_ashrrev_i32_e32 v9, 31, v8
	s_delay_alu instid0(VALU_DEP_2) | instskip(NEXT) | instid1(VALU_DEP_3)
	v_add_co_u32 v11, vcc_lo, s4, v11
	v_add_co_ci_u32_e32 v12, vcc_lo, s5, v12, vcc_lo
	global_store_b64 v[11:12], v[8:9], off
	s_and_saveexec_b32 s3, s20
	s_cbranch_execz .LBB19_8
; %bb.24:                               ;   in Loop: Header=BB19_10 Depth=1
	v_mul_lo_u32 v1, s18, v3
	v_mul_lo_u32 v4, s19, v4
	v_mad_u64_u32 v[8:9], null, s19, v3, 0
	ds_load_b32 v11, v17
	v_add3_u32 v9, v9, v4, v1
	s_delay_alu instid0(VALU_DEP_1) | instskip(NEXT) | instid1(VALU_DEP_1)
	v_lshlrev_b64 v[8:9], 2, v[8:9]
	v_add_co_u32 v8, vcc_lo, v25, v8
	s_delay_alu instid0(VALU_DEP_2)
	v_add_co_ci_u32_e32 v9, vcc_lo, v24, v9, vcc_lo
	s_waitcnt lgkmcnt(0)
	global_store_b32 v[8:9], v11, off
	s_branch .LBB19_8
.LBB19_25:
	s_endpgm
	.section	.rodata,"a",@progbits
	.p2align	6, 0x0
	.amdhsa_kernel _ZN9rocsparseL42csr2bsr_wavefront_per_row_multipass_kernelILj256ELj16ELj4EiilEEv20rocsparse_direction_T4_S2_S2_S2_S2_21rocsparse_index_base_PKT2_PKT3_PKS2_S3_PS4_PS7_PS2_
		.amdhsa_group_segment_fixed_size 1040
		.amdhsa_private_segment_fixed_size 0
		.amdhsa_kernarg_size 112
		.amdhsa_user_sgpr_count 15
		.amdhsa_user_sgpr_dispatch_ptr 0
		.amdhsa_user_sgpr_queue_ptr 0
		.amdhsa_user_sgpr_kernarg_segment_ptr 1
		.amdhsa_user_sgpr_dispatch_id 0
		.amdhsa_user_sgpr_private_segment_size 0
		.amdhsa_wavefront_size32 1
		.amdhsa_uses_dynamic_stack 0
		.amdhsa_enable_private_segment 0
		.amdhsa_system_sgpr_workgroup_id_x 1
		.amdhsa_system_sgpr_workgroup_id_y 0
		.amdhsa_system_sgpr_workgroup_id_z 0
		.amdhsa_system_sgpr_workgroup_info 0
		.amdhsa_system_vgpr_workitem_id 0
		.amdhsa_next_free_vgpr 38
		.amdhsa_next_free_sgpr 25
		.amdhsa_reserve_vcc 1
		.amdhsa_float_round_mode_32 0
		.amdhsa_float_round_mode_16_64 0
		.amdhsa_float_denorm_mode_32 3
		.amdhsa_float_denorm_mode_16_64 3
		.amdhsa_dx10_clamp 1
		.amdhsa_ieee_mode 1
		.amdhsa_fp16_overflow 0
		.amdhsa_workgroup_processor_mode 1
		.amdhsa_memory_ordered 1
		.amdhsa_forward_progress 0
		.amdhsa_shared_vgpr_count 0
		.amdhsa_exception_fp_ieee_invalid_op 0
		.amdhsa_exception_fp_denorm_src 0
		.amdhsa_exception_fp_ieee_div_zero 0
		.amdhsa_exception_fp_ieee_overflow 0
		.amdhsa_exception_fp_ieee_underflow 0
		.amdhsa_exception_fp_ieee_inexact 0
		.amdhsa_exception_int_div_zero 0
	.end_amdhsa_kernel
	.section	.text._ZN9rocsparseL42csr2bsr_wavefront_per_row_multipass_kernelILj256ELj16ELj4EiilEEv20rocsparse_direction_T4_S2_S2_S2_S2_21rocsparse_index_base_PKT2_PKT3_PKS2_S3_PS4_PS7_PS2_,"axG",@progbits,_ZN9rocsparseL42csr2bsr_wavefront_per_row_multipass_kernelILj256ELj16ELj4EiilEEv20rocsparse_direction_T4_S2_S2_S2_S2_21rocsparse_index_base_PKT2_PKT3_PKS2_S3_PS4_PS7_PS2_,comdat
.Lfunc_end19:
	.size	_ZN9rocsparseL42csr2bsr_wavefront_per_row_multipass_kernelILj256ELj16ELj4EiilEEv20rocsparse_direction_T4_S2_S2_S2_S2_21rocsparse_index_base_PKT2_PKT3_PKS2_S3_PS4_PS7_PS2_, .Lfunc_end19-_ZN9rocsparseL42csr2bsr_wavefront_per_row_multipass_kernelILj256ELj16ELj4EiilEEv20rocsparse_direction_T4_S2_S2_S2_S2_21rocsparse_index_base_PKT2_PKT3_PKS2_S3_PS4_PS7_PS2_
                                        ; -- End function
	.section	.AMDGPU.csdata,"",@progbits
; Kernel info:
; codeLenInByte = 2540
; NumSgprs: 27
; NumVgprs: 38
; ScratchSize: 0
; MemoryBound: 0
; FloatMode: 240
; IeeeMode: 1
; LDSByteSize: 1040 bytes/workgroup (compile time only)
; SGPRBlocks: 3
; VGPRBlocks: 4
; NumSGPRsForWavesPerEU: 27
; NumVGPRsForWavesPerEU: 38
; Occupancy: 16
; WaveLimiterHint : 0
; COMPUTE_PGM_RSRC2:SCRATCH_EN: 0
; COMPUTE_PGM_RSRC2:USER_SGPR: 15
; COMPUTE_PGM_RSRC2:TRAP_HANDLER: 0
; COMPUTE_PGM_RSRC2:TGID_X_EN: 1
; COMPUTE_PGM_RSRC2:TGID_Y_EN: 0
; COMPUTE_PGM_RSRC2:TGID_Z_EN: 0
; COMPUTE_PGM_RSRC2:TIDIG_COMP_CNT: 0
	.section	.text._ZN9rocsparseL42csr2bsr_wavefront_per_row_multipass_kernelILj256ELj64ELj8EiilEEv20rocsparse_direction_T4_S2_S2_S2_S2_21rocsparse_index_base_PKT2_PKT3_PKS2_S3_PS4_PS7_PS2_,"axG",@progbits,_ZN9rocsparseL42csr2bsr_wavefront_per_row_multipass_kernelILj256ELj64ELj8EiilEEv20rocsparse_direction_T4_S2_S2_S2_S2_21rocsparse_index_base_PKT2_PKT3_PKS2_S3_PS4_PS7_PS2_,comdat
	.globl	_ZN9rocsparseL42csr2bsr_wavefront_per_row_multipass_kernelILj256ELj64ELj8EiilEEv20rocsparse_direction_T4_S2_S2_S2_S2_21rocsparse_index_base_PKT2_PKT3_PKS2_S3_PS4_PS7_PS2_ ; -- Begin function _ZN9rocsparseL42csr2bsr_wavefront_per_row_multipass_kernelILj256ELj64ELj8EiilEEv20rocsparse_direction_T4_S2_S2_S2_S2_21rocsparse_index_base_PKT2_PKT3_PKS2_S3_PS4_PS7_PS2_
	.p2align	8
	.type	_ZN9rocsparseL42csr2bsr_wavefront_per_row_multipass_kernelILj256ELj64ELj8EiilEEv20rocsparse_direction_T4_S2_S2_S2_S2_21rocsparse_index_base_PKT2_PKT3_PKS2_S3_PS4_PS7_PS2_,@function
_ZN9rocsparseL42csr2bsr_wavefront_per_row_multipass_kernelILj256ELj64ELj8EiilEEv20rocsparse_direction_T4_S2_S2_S2_S2_21rocsparse_index_base_PKT2_PKT3_PKS2_S3_PS4_PS7_PS2_: ; @_ZN9rocsparseL42csr2bsr_wavefront_per_row_multipass_kernelILj256ELj64ELj8EiilEEv20rocsparse_direction_T4_S2_S2_S2_S2_21rocsparse_index_base_PKT2_PKT3_PKS2_S3_PS4_PS7_PS2_
; %bb.0:
	s_load_b64 s[8:9], s[0:1], 0x28
	v_lshrrev_b32_e32 v15, 6, v0
	s_mov_b32 s10, s15
	s_ashr_i32 s11, s15, 31
	s_clause 0x1
	s_load_b64 s[14:15], s[0:1], 0x8
	s_load_b128 s[4:7], s[0:1], 0x18
	s_lshl_b64 s[2:3], s[10:11], 2
	v_mov_b32_e32 v2, 0
	v_or_b32_e32 v5, s2, v15
	v_bfe_u32 v1, v0, 3, 3
	s_clause 0x1
	s_load_b32 s16, s[0:1], 0x30
	s_load_b64 s[12:13], s[0:1], 0x40
	v_mov_b32_e32 v10, v2
	s_waitcnt lgkmcnt(0)
	v_mul_lo_u32 v6, v5, s9
	v_mad_u64_u32 v[3:4], null, v5, s8, v[1:2]
	s_mul_i32 s2, s3, s8
	s_delay_alu instid0(VALU_DEP_1) | instid1(SALU_CYCLE_1)
	v_add3_u32 v4, s2, v4, v6
	v_cmp_gt_i64_e64 s2, s[8:9], v[1:2]
	s_delay_alu instid0(VALU_DEP_2) | instskip(NEXT) | instid1(VALU_DEP_2)
	v_cmp_gt_i64_e32 vcc_lo, s[14:15], v[3:4]
	s_and_b32 s3, s2, vcc_lo
	s_delay_alu instid0(SALU_CYCLE_1)
	s_and_saveexec_b32 s11, s3
	s_cbranch_execz .LBB20_2
; %bb.1:
	v_lshlrev_b64 v[5:6], 2, v[3:4]
	s_delay_alu instid0(VALU_DEP_1) | instskip(NEXT) | instid1(VALU_DEP_2)
	v_add_co_u32 v5, vcc_lo, s12, v5
	v_add_co_ci_u32_e32 v6, vcc_lo, s13, v6, vcc_lo
	global_load_b32 v5, v[5:6], off
	s_waitcnt vmcnt(0)
	v_subrev_nc_u32_e32 v10, s16, v5
.LBB20_2:
	s_or_b32 exec_lo, exec_lo, s11
	s_and_saveexec_b32 s11, s3
	s_cbranch_execz .LBB20_4
; %bb.3:
	v_lshlrev_b64 v[2:3], 2, v[3:4]
	s_delay_alu instid0(VALU_DEP_1) | instskip(NEXT) | instid1(VALU_DEP_2)
	v_add_co_u32 v2, vcc_lo, s12, v2
	v_add_co_ci_u32_e32 v3, vcc_lo, s13, v3, vcc_lo
	global_load_b32 v2, v[2:3], off offset:4
	s_waitcnt vmcnt(0)
	v_subrev_nc_u32_e32 v2, s16, v2
.LBB20_4:
	s_or_b32 exec_lo, exec_lo, s11
	s_load_b32 s17, s[0:1], 0x50
	v_mov_b32_e32 v5, 0
	v_lshl_or_b32 v4, s10, 2, v15
	s_mov_b32 s3, exec_lo
	s_delay_alu instid0(VALU_DEP_2) | instskip(NEXT) | instid1(VALU_DEP_2)
	v_mov_b32_e32 v3, v5
	v_cmpx_gt_i64_e64 s[4:5], v[4:5]
	s_cbranch_execz .LBB20_6
; %bb.5:
	s_load_b64 s[4:5], s[0:1], 0x60
	v_lshlrev_b64 v[3:4], 2, v[4:5]
	s_waitcnt lgkmcnt(0)
	s_delay_alu instid0(VALU_DEP_1) | instskip(NEXT) | instid1(VALU_DEP_2)
	v_add_co_u32 v3, vcc_lo, s4, v3
	v_add_co_ci_u32_e32 v4, vcc_lo, s5, v4, vcc_lo
	global_load_b32 v3, v[3:4], off
	s_waitcnt vmcnt(0)
	v_subrev_nc_u32_e32 v3, s17, v3
.LBB20_6:
	s_or_b32 exec_lo, exec_lo, s3
	v_cmp_lt_i64_e64 s3, s[6:7], 1
	s_delay_alu instid0(VALU_DEP_1)
	s_and_b32 vcc_lo, exec_lo, s3
	s_cbranch_vccnz .LBB20_25
; %bb.7:
	v_mbcnt_lo_u32_b32 v14, -1, 0
	v_and_b32_e32 v5, 7, v0
	v_mad_u64_u32 v[11:12], null, v1, s8, 0
	s_load_b64 s[4:5], s[0:1], 0x68
	s_delay_alu instid0(VALU_DEP_3)
	v_xor_b32_e32 v13, 2, v14
	v_and_b32_e32 v4, 0x3c0, v0
	v_mad_u64_u32 v[7:8], null, v5, s8, 0
	s_clause 0x3
	s_load_b64 s[14:15], s[0:1], 0x58
	s_load_b64 s[10:11], s[0:1], 0x48
	;; [unrolled: 1-line block ×3, first 2 shown]
	s_load_b32 s0, s[0:1], 0x0
	v_xor_b32_e32 v18, 1, v14
	v_lshl_or_b32 v16, v1, 3, v4
	v_xor_b32_e32 v4, 4, v14
	s_mul_i32 s3, s8, s9
	s_mul_hi_u32 s1, s8, s8
	v_lshl_or_b32 v21, v14, 2, 28
	v_or_b32_e32 v0, v16, v5
	v_cmp_gt_i32_e32 vcc_lo, 32, v4
	v_bfrev_b32_e32 v25, 0.5
	v_mov_b32_e32 v28, 1
	s_mov_b32 s18, 0
	v_dual_mov_b32 v0, v8 :: v_dual_lshlrev_b32 v17, 2, v0
	v_cndmask_b32_e32 v6, v14, v4, vcc_lo
	v_mov_b32_e32 v4, v12
	v_cmp_gt_i32_e32 vcc_lo, 32, v13
	s_mul_i32 s19, s8, s8
	v_mad_u64_u32 v[8:9], null, v5, s9, v[0:1]
	v_dual_mov_b32 v0, 0 :: v_dual_cndmask_b32 v9, v14, v13
	v_mad_u64_u32 v[12:13], null, v1, s9, v[4:5]
	v_lshlrev_b32_e32 v1, 2, v1
	v_cmp_gt_i32_e32 vcc_lo, 32, v18
	v_lshlrev_b64 v[7:8], 2, v[7:8]
	v_lshlrev_b32_e32 v19, 2, v9
	s_waitcnt lgkmcnt(0)
	s_cmp_eq_u32 s0, 0
	v_dual_cndmask_b32 v4, v14, v18 :: v_dual_lshlrev_b32 v9, 2, v5
	v_lshlrev_b32_e32 v18, 2, v6
	v_mov_b32_e32 v6, v0
	v_lshlrev_b64 v[11:12], 2, v[11:12]
	s_delay_alu instid0(VALU_DEP_4) | instskip(SKIP_1) | instid1(VALU_DEP_4)
	v_dual_mov_b32 v29, 0 :: v_dual_lshlrev_b32 v20, 2, v4
	v_add_co_u32 v4, s0, s14, v7
	v_cmp_gt_u64_e32 vcc_lo, s[8:9], v[5:6]
	v_add_co_ci_u32_e64 v6, s0, s15, v8, s0
	v_add_co_u32 v7, s0, s14, v11
	s_delay_alu instid0(VALU_DEP_1) | instskip(SKIP_1) | instid1(VALU_DEP_1)
	v_add_co_ci_u32_e64 v8, s0, s15, v12, s0
	v_add_co_u32 v1, s0, v4, v1
	v_add_co_ci_u32_e64 v4, s0, 0, v6, s0
	s_delay_alu instid0(VALU_DEP_4) | instskip(NEXT) | instid1(VALU_DEP_1)
	v_add_co_u32 v6, s0, v7, v9
	v_add_co_ci_u32_e64 v7, s0, 0, v8, s0
	v_or_b32_e32 v8, 32, v14
	s_cselect_b32 s0, -1, 0
	v_xor_b32_e32 v9, 16, v14
	s_add_i32 s14, s1, s3
	v_xor_b32_e32 v11, 8, v14
	v_cmp_gt_i32_e64 s1, 32, v8
	v_cndmask_b32_e64 v26, v4, v7, s0
	v_cndmask_b32_e64 v27, v1, v6, s0
	s_and_b32 s20, s2, vcc_lo
	s_ashr_i32 s2, s9, 31
	v_cndmask_b32_e64 v8, v14, v8, s1
	v_cmp_gt_i32_e64 s1, 32, v9
	s_sub_i32 s21, 0, s8
	s_delay_alu instid0(VALU_DEP_2) | instskip(NEXT) | instid1(VALU_DEP_2)
	v_lshlrev_b32_e32 v22, 2, v8
	v_cndmask_b32_e64 v9, v14, v9, s1
	v_cmp_gt_i32_e64 s1, 32, v11
	s_delay_alu instid0(VALU_DEP_2) | instskip(NEXT) | instid1(VALU_DEP_2)
	v_lshlrev_b32_e32 v23, 2, v9
	v_cndmask_b32_e64 v11, v14, v11, s1
	v_mov_b32_e32 v8, 0
	v_mov_b32_e32 v9, 0
	s_add_i32 s1, s14, s3
	s_delay_alu instid0(VALU_DEP_3)
	v_lshlrev_b32_e32 v24, 2, v11
	s_branch .LBB20_10
.LBB20_8:                               ;   in Loop: Header=BB20_10 Depth=1
	s_or_b32 exec_lo, exec_lo, s3
	v_mov_b32_e32 v1, 1
.LBB20_9:                               ;   in Loop: Header=BB20_10 Depth=1
	s_or_b32 exec_lo, exec_lo, s0
	ds_bpermute_b32 v8, v22, v6
	ds_bpermute_b32 v9, v22, v7
	s_waitcnt lgkmcnt(0)
	s_waitcnt_vscnt null, 0x0
	buffer_gl0_inv
	buffer_gl0_inv
	v_add_nc_u32_e32 v3, v1, v3
	v_cmp_lt_i64_e32 vcc_lo, v[8:9], v[6:7]
	v_dual_cndmask_b32 v7, v7, v9 :: v_dual_cndmask_b32 v6, v6, v8
	ds_bpermute_b32 v9, v23, v7
	ds_bpermute_b32 v8, v23, v6
	s_waitcnt lgkmcnt(0)
	v_cmp_lt_i64_e32 vcc_lo, v[8:9], v[6:7]
	v_dual_cndmask_b32 v7, v7, v9 :: v_dual_cndmask_b32 v6, v6, v8
	ds_bpermute_b32 v9, v24, v7
	ds_bpermute_b32 v8, v24, v6
	s_waitcnt lgkmcnt(0)
	;; [unrolled: 5-line block ×5, first 2 shown]
	v_cmp_lt_i64_e32 vcc_lo, v[8:9], v[6:7]
	v_cndmask_b32_e32 v4, v6, v8, vcc_lo
	ds_bpermute_b32 v8, v25, v4
	s_waitcnt lgkmcnt(0)
	v_ashrrev_i32_e32 v9, 31, v8
	v_mov_b32_e32 v29, v8
	s_delay_alu instid0(VALU_DEP_2) | instskip(SKIP_1) | instid1(SALU_CYCLE_1)
	v_cmp_le_i64_e32 vcc_lo, s[6:7], v[8:9]
	s_or_b32 s18, vcc_lo, s18
	s_and_not1_b32 exec_lo, exec_lo, s18
	s_cbranch_execz .LBB20_25
.LBB20_10:                              ; =>This Loop Header: Depth=1
                                        ;     Child Loop BB20_13 Depth 2
	v_dual_mov_b32 v6, s6 :: v_dual_mov_b32 v1, v2
	v_dual_mov_b32 v7, s7 :: v_dual_add_nc_u32 v10, v10, v5
	s_mov_b32 s22, exec_lo
	ds_store_b8 v15, v0 offset:1024
	ds_store_b32 v17, v0
	s_waitcnt lgkmcnt(0)
	buffer_gl0_inv
	v_cmpx_lt_i32_e64 v10, v2
	s_cbranch_execz .LBB20_22
; %bb.11:                               ;   in Loop: Header=BB20_10 Depth=1
	v_mad_u64_u32 v[12:13], null, v8, s8, 0
	v_dual_mov_b32 v6, s6 :: v_dual_mov_b32 v7, s7
	v_mov_b32_e32 v4, v2
	s_mov_b32 s23, 0
	s_branch .LBB20_13
.LBB20_12:                              ;   in Loop: Header=BB20_13 Depth=2
	s_or_b32 exec_lo, exec_lo, s3
	v_add_nc_u32_e32 v10, 8, v10
	s_xor_b32 s3, vcc_lo, -1
	v_mov_b32_e32 v4, v1
	s_delay_alu instid0(VALU_DEP_2) | instskip(NEXT) | instid1(VALU_DEP_1)
	v_cmp_ge_i32_e64 s0, v10, v2
	s_or_b32 s0, s3, s0
	s_delay_alu instid0(SALU_CYCLE_1) | instskip(NEXT) | instid1(SALU_CYCLE_1)
	s_and_b32 s0, exec_lo, s0
	s_or_b32 s23, s0, s23
	s_delay_alu instid0(SALU_CYCLE_1)
	s_and_not1_b32 exec_lo, exec_lo, s23
	s_cbranch_execz .LBB20_21
.LBB20_13:                              ;   Parent Loop BB20_10 Depth=1
                                        ; =>  This Inner Loop Header: Depth=2
	v_ashrrev_i32_e32 v11, 31, v10
	s_mov_b32 s0, exec_lo
	s_delay_alu instid0(VALU_DEP_1) | instskip(NEXT) | instid1(VALU_DEP_1)
	v_lshlrev_b64 v[13:14], 3, v[10:11]
	v_add_co_u32 v13, vcc_lo, s10, v13
	s_delay_alu instid0(VALU_DEP_2) | instskip(SKIP_4) | instid1(VALU_DEP_1)
	v_add_co_ci_u32_e32 v14, vcc_lo, s11, v14, vcc_lo
	global_load_b64 v[13:14], v[13:14], off
	s_waitcnt vmcnt(0)
	v_sub_co_u32 v30, vcc_lo, v13, s16
	v_subrev_co_ci_u32_e32 v31, vcc_lo, 0, v14, vcc_lo
                                        ; implicit-def: $vgpr13_vgpr14
	v_or_b32_e32 v1, s9, v31
	s_delay_alu instid0(VALU_DEP_1)
	v_cmpx_ne_u64_e32 0, v[0:1]
	s_xor_b32 s24, exec_lo, s0
	s_cbranch_execz .LBB20_15
; %bb.14:                               ;   in Loop: Header=BB20_13 Depth=2
	s_add_u32 s14, s8, s2
	s_mov_b32 s3, s2
	s_addc_u32 s15, s9, s2
	s_delay_alu instid0(SALU_CYCLE_1) | instskip(NEXT) | instid1(SALU_CYCLE_1)
	s_xor_b64 s[14:15], s[14:15], s[2:3]
	v_cvt_f32_u32_e32 v1, s14
	v_cvt_f32_u32_e32 v13, s15
	s_sub_u32 s0, 0, s14
	s_subb_u32 s3, 0, s15
	s_delay_alu instid0(VALU_DEP_1) | instskip(NEXT) | instid1(VALU_DEP_1)
	v_fmac_f32_e32 v1, 0x4f800000, v13
	v_rcp_f32_e32 v1, v1
	s_waitcnt_depctr 0xfff
	v_mul_f32_e32 v1, 0x5f7ffffc, v1
	s_delay_alu instid0(VALU_DEP_1) | instskip(NEXT) | instid1(VALU_DEP_1)
	v_mul_f32_e32 v13, 0x2f800000, v1
	v_trunc_f32_e32 v13, v13
	s_delay_alu instid0(VALU_DEP_1) | instskip(SKIP_1) | instid1(VALU_DEP_2)
	v_fmac_f32_e32 v1, 0xcf800000, v13
	v_cvt_u32_f32_e32 v13, v13
	v_cvt_u32_f32_e32 v1, v1
	s_delay_alu instid0(VALU_DEP_2) | instskip(NEXT) | instid1(VALU_DEP_2)
	v_mul_lo_u32 v14, s0, v13
	v_mul_hi_u32 v32, s0, v1
	v_mul_lo_u32 v33, s3, v1
	s_delay_alu instid0(VALU_DEP_2) | instskip(SKIP_1) | instid1(VALU_DEP_2)
	v_add_nc_u32_e32 v14, v32, v14
	v_mul_lo_u32 v32, s0, v1
	v_add_nc_u32_e32 v14, v14, v33
	s_delay_alu instid0(VALU_DEP_2) | instskip(NEXT) | instid1(VALU_DEP_2)
	v_mul_hi_u32 v33, v1, v32
	v_mul_lo_u32 v34, v1, v14
	v_mul_hi_u32 v35, v1, v14
	v_mul_hi_u32 v36, v13, v32
	v_mul_lo_u32 v32, v13, v32
	v_mul_hi_u32 v37, v13, v14
	v_mul_lo_u32 v14, v13, v14
	v_add_co_u32 v33, vcc_lo, v33, v34
	v_add_co_ci_u32_e32 v34, vcc_lo, 0, v35, vcc_lo
	s_delay_alu instid0(VALU_DEP_2) | instskip(NEXT) | instid1(VALU_DEP_2)
	v_add_co_u32 v32, vcc_lo, v33, v32
	v_add_co_ci_u32_e32 v32, vcc_lo, v34, v36, vcc_lo
	v_add_co_ci_u32_e32 v33, vcc_lo, 0, v37, vcc_lo
	v_ashrrev_i32_e32 v36, 31, v31
	s_delay_alu instid0(VALU_DEP_3) | instskip(NEXT) | instid1(VALU_DEP_3)
	v_add_co_u32 v14, vcc_lo, v32, v14
	v_add_co_ci_u32_e32 v32, vcc_lo, 0, v33, vcc_lo
	s_delay_alu instid0(VALU_DEP_2) | instskip(NEXT) | instid1(VALU_DEP_2)
	v_add_co_u32 v1, vcc_lo, v1, v14
	v_add_co_ci_u32_e32 v13, vcc_lo, v13, v32, vcc_lo
	s_delay_alu instid0(VALU_DEP_2) | instskip(SKIP_1) | instid1(VALU_DEP_3)
	v_mul_hi_u32 v14, s0, v1
	v_mul_lo_u32 v33, s3, v1
	v_mul_lo_u32 v32, s0, v13
	s_delay_alu instid0(VALU_DEP_1) | instskip(SKIP_1) | instid1(VALU_DEP_2)
	v_add_nc_u32_e32 v14, v14, v32
	v_mul_lo_u32 v32, s0, v1
	v_add_nc_u32_e32 v14, v14, v33
	s_delay_alu instid0(VALU_DEP_2) | instskip(NEXT) | instid1(VALU_DEP_2)
	v_mul_hi_u32 v33, v1, v32
	v_mul_lo_u32 v34, v1, v14
	v_mul_hi_u32 v35, v1, v14
	v_mul_hi_u32 v37, v13, v32
	v_mul_lo_u32 v32, v13, v32
	v_mul_hi_u32 v38, v13, v14
	v_mul_lo_u32 v14, v13, v14
	v_add_co_u32 v33, vcc_lo, v33, v34
	v_add_co_ci_u32_e32 v34, vcc_lo, 0, v35, vcc_lo
	s_delay_alu instid0(VALU_DEP_2) | instskip(NEXT) | instid1(VALU_DEP_2)
	v_add_co_u32 v32, vcc_lo, v33, v32
	v_add_co_ci_u32_e32 v32, vcc_lo, v34, v37, vcc_lo
	v_add_co_ci_u32_e32 v33, vcc_lo, 0, v38, vcc_lo
	v_add_co_u32 v34, vcc_lo, v30, v36
	v_add_co_ci_u32_e32 v31, vcc_lo, v31, v36, vcc_lo
	s_delay_alu instid0(VALU_DEP_4) | instskip(NEXT) | instid1(VALU_DEP_4)
	v_add_co_u32 v14, vcc_lo, v32, v14
	v_add_co_ci_u32_e32 v32, vcc_lo, 0, v33, vcc_lo
	s_delay_alu instid0(VALU_DEP_4) | instskip(NEXT) | instid1(VALU_DEP_3)
	v_xor_b32_e32 v35, v34, v36
	v_add_co_u32 v1, vcc_lo, v1, v14
	s_delay_alu instid0(VALU_DEP_3) | instskip(SKIP_1) | instid1(VALU_DEP_3)
	v_add_co_ci_u32_e32 v37, vcc_lo, v13, v32, vcc_lo
	v_xor_b32_e32 v38, v31, v36
	v_mul_hi_u32 v39, v35, v1
	s_delay_alu instid0(VALU_DEP_3) | instskip(NEXT) | instid1(VALU_DEP_3)
	v_mad_u64_u32 v[13:14], null, v35, v37, 0
	v_mad_u64_u32 v[31:32], null, v38, v1, 0
	;; [unrolled: 1-line block ×3, first 2 shown]
	s_delay_alu instid0(VALU_DEP_3) | instskip(NEXT) | instid1(VALU_DEP_4)
	v_add_co_u32 v1, vcc_lo, v39, v13
	v_add_co_ci_u32_e32 v13, vcc_lo, 0, v14, vcc_lo
	s_delay_alu instid0(VALU_DEP_2) | instskip(NEXT) | instid1(VALU_DEP_2)
	v_add_co_u32 v1, vcc_lo, v1, v31
	v_add_co_ci_u32_e32 v1, vcc_lo, v13, v32, vcc_lo
	v_add_co_ci_u32_e32 v13, vcc_lo, 0, v34, vcc_lo
	s_delay_alu instid0(VALU_DEP_2) | instskip(NEXT) | instid1(VALU_DEP_2)
	v_add_co_u32 v1, vcc_lo, v1, v33
	v_add_co_ci_u32_e32 v31, vcc_lo, 0, v13, vcc_lo
	s_delay_alu instid0(VALU_DEP_2) | instskip(SKIP_1) | instid1(VALU_DEP_3)
	v_mul_lo_u32 v32, s15, v1
	v_mad_u64_u32 v[13:14], null, s14, v1, 0
	v_mul_lo_u32 v33, s14, v31
	s_delay_alu instid0(VALU_DEP_2) | instskip(NEXT) | instid1(VALU_DEP_2)
	v_sub_co_u32 v13, vcc_lo, v35, v13
	v_add3_u32 v14, v14, v33, v32
	s_delay_alu instid0(VALU_DEP_1) | instskip(NEXT) | instid1(VALU_DEP_1)
	v_sub_nc_u32_e32 v32, v38, v14
	v_subrev_co_ci_u32_e64 v32, s0, s15, v32, vcc_lo
	v_add_co_u32 v33, s0, v1, 2
	s_delay_alu instid0(VALU_DEP_1) | instskip(SKIP_3) | instid1(VALU_DEP_3)
	v_add_co_ci_u32_e64 v34, s0, 0, v31, s0
	v_sub_co_u32 v35, s0, v13, s14
	v_sub_co_ci_u32_e32 v14, vcc_lo, v38, v14, vcc_lo
	v_subrev_co_ci_u32_e64 v32, s0, 0, v32, s0
	v_cmp_le_u32_e32 vcc_lo, s14, v35
	s_delay_alu instid0(VALU_DEP_3) | instskip(SKIP_1) | instid1(VALU_DEP_4)
	v_cmp_eq_u32_e64 s0, s15, v14
	v_cndmask_b32_e64 v35, 0, -1, vcc_lo
	v_cmp_le_u32_e32 vcc_lo, s15, v32
	v_cndmask_b32_e64 v37, 0, -1, vcc_lo
	v_cmp_le_u32_e32 vcc_lo, s14, v13
	;; [unrolled: 2-line block ×3, first 2 shown]
	v_cndmask_b32_e64 v38, 0, -1, vcc_lo
	v_cmp_eq_u32_e32 vcc_lo, s15, v32
	s_delay_alu instid0(VALU_DEP_2) | instskip(SKIP_3) | instid1(VALU_DEP_3)
	v_cndmask_b32_e64 v13, v38, v13, s0
	v_cndmask_b32_e32 v32, v37, v35, vcc_lo
	v_add_co_u32 v35, vcc_lo, v1, 1
	v_add_co_ci_u32_e32 v37, vcc_lo, 0, v31, vcc_lo
	v_cmp_ne_u32_e32 vcc_lo, 0, v32
	s_delay_alu instid0(VALU_DEP_2) | instskip(NEXT) | instid1(VALU_DEP_4)
	v_cndmask_b32_e32 v14, v37, v34, vcc_lo
	v_cndmask_b32_e32 v32, v35, v33, vcc_lo
	v_cmp_ne_u32_e32 vcc_lo, 0, v13
	v_xor_b32_e32 v33, s2, v36
	s_delay_alu instid0(VALU_DEP_3) | instskip(SKIP_1) | instid1(VALU_DEP_2)
	v_cndmask_b32_e32 v1, v1, v32, vcc_lo
	v_cndmask_b32_e32 v13, v31, v14, vcc_lo
	v_xor_b32_e32 v1, v1, v33
	s_delay_alu instid0(VALU_DEP_2) | instskip(NEXT) | instid1(VALU_DEP_2)
	v_xor_b32_e32 v14, v13, v33
	v_sub_co_u32 v13, vcc_lo, v1, v33
	s_delay_alu instid0(VALU_DEP_2)
	v_sub_co_ci_u32_e32 v14, vcc_lo, v14, v33, vcc_lo
.LBB20_15:                              ;   in Loop: Header=BB20_13 Depth=2
	s_and_not1_saveexec_b32 s0, s24
	s_cbranch_execz .LBB20_17
; %bb.16:                               ;   in Loop: Header=BB20_13 Depth=2
	v_cvt_f32_u32_e32 v1, s8
	s_delay_alu instid0(VALU_DEP_1) | instskip(SKIP_2) | instid1(VALU_DEP_1)
	v_rcp_iflag_f32_e32 v1, v1
	s_waitcnt_depctr 0xfff
	v_mul_f32_e32 v1, 0x4f7ffffe, v1
	v_cvt_u32_f32_e32 v1, v1
	s_delay_alu instid0(VALU_DEP_1) | instskip(NEXT) | instid1(VALU_DEP_1)
	v_mul_lo_u32 v13, s21, v1
	v_mul_hi_u32 v13, v1, v13
	s_delay_alu instid0(VALU_DEP_1) | instskip(NEXT) | instid1(VALU_DEP_1)
	v_add_nc_u32_e32 v1, v1, v13
	v_mul_hi_u32 v1, v30, v1
	s_delay_alu instid0(VALU_DEP_1) | instskip(NEXT) | instid1(VALU_DEP_1)
	v_mul_lo_u32 v13, v1, s8
	v_sub_nc_u32_e32 v13, v30, v13
	s_delay_alu instid0(VALU_DEP_1) | instskip(SKIP_1) | instid1(VALU_DEP_2)
	v_subrev_nc_u32_e32 v31, s8, v13
	v_cmp_le_u32_e32 vcc_lo, s8, v13
	v_dual_cndmask_b32 v13, v13, v31 :: v_dual_add_nc_u32 v14, 1, v1
	s_delay_alu instid0(VALU_DEP_1) | instskip(NEXT) | instid1(VALU_DEP_2)
	v_cndmask_b32_e32 v1, v1, v14, vcc_lo
	v_cmp_le_u32_e32 vcc_lo, s8, v13
	s_delay_alu instid0(VALU_DEP_2) | instskip(NEXT) | instid1(VALU_DEP_1)
	v_add_nc_u32_e32 v14, 1, v1
	v_dual_cndmask_b32 v13, v1, v14 :: v_dual_mov_b32 v14, v0
.LBB20_17:                              ;   in Loop: Header=BB20_13 Depth=2
	s_or_b32 exec_lo, exec_lo, s0
	s_delay_alu instid0(VALU_DEP_1)
	v_cmp_eq_u64_e32 vcc_lo, v[13:14], v[8:9]
	s_mov_b32 s3, exec_lo
	v_cmpx_ne_u64_e64 v[13:14], v[8:9]
	s_xor_b32 s3, exec_lo, s3
; %bb.18:                               ;   in Loop: Header=BB20_13 Depth=2
	v_cmp_lt_i64_e64 s0, v[13:14], v[6:7]
                                        ; implicit-def: $vgpr30
                                        ; implicit-def: $vgpr4
	s_delay_alu instid0(VALU_DEP_1)
	v_cndmask_b32_e64 v7, v7, v14, s0
	v_cndmask_b32_e64 v6, v6, v13, s0
; %bb.19:                               ;   in Loop: Header=BB20_13 Depth=2
	s_or_saveexec_b32 s3, s3
	v_mov_b32_e32 v1, v10
	s_xor_b32 exec_lo, exec_lo, s3
	s_cbranch_execz .LBB20_12
; %bb.20:                               ;   in Loop: Header=BB20_13 Depth=2
	v_lshlrev_b64 v[13:14], 2, v[10:11]
	v_sub_nc_u32_e32 v1, v30, v12
	s_delay_alu instid0(VALU_DEP_2) | instskip(NEXT) | instid1(VALU_DEP_1)
	v_add_co_u32 v13, s0, s12, v13
	v_add_co_ci_u32_e64 v14, s0, s13, v14, s0
	global_load_b32 v11, v[13:14], off
	v_add_lshl_u32 v13, v16, v1, 2
	v_mov_b32_e32 v1, v4
	ds_store_b8 v15, v28 offset:1024
	s_waitcnt vmcnt(0)
	ds_store_b32 v13, v11
	s_branch .LBB20_12
.LBB20_21:                              ;   in Loop: Header=BB20_10 Depth=1
	s_or_b32 exec_lo, exec_lo, s23
.LBB20_22:                              ;   in Loop: Header=BB20_10 Depth=1
	s_delay_alu instid0(SALU_CYCLE_1)
	s_or_b32 exec_lo, exec_lo, s22
	ds_bpermute_b32 v4, v18, v1
	s_waitcnt lgkmcnt(0)
	buffer_gl0_inv
	ds_load_u8 v8, v15 offset:1024
	v_min_i32_e32 v1, v4, v1
	ds_bpermute_b32 v4, v19, v1
	s_waitcnt lgkmcnt(0)
	v_min_i32_e32 v1, v4, v1
	ds_bpermute_b32 v4, v20, v1
	s_waitcnt lgkmcnt(0)
	v_min_i32_e32 v1, v4, v1
	ds_bpermute_b32 v10, v21, v1
	v_and_b32_e32 v1, 1, v8
	s_delay_alu instid0(VALU_DEP_1)
	v_cmp_eq_u32_e32 vcc_lo, 1, v1
	v_mov_b32_e32 v1, 0
	s_and_saveexec_b32 s0, vcc_lo
	s_cbranch_execz .LBB20_9
; %bb.23:                               ;   in Loop: Header=BB20_10 Depth=1
	v_ashrrev_i32_e32 v4, 31, v3
	v_add_nc_u32_e32 v8, s17, v29
	s_delay_alu instid0(VALU_DEP_2) | instskip(NEXT) | instid1(VALU_DEP_2)
	v_lshlrev_b64 v[11:12], 3, v[3:4]
	v_ashrrev_i32_e32 v9, 31, v8
	s_delay_alu instid0(VALU_DEP_2) | instskip(NEXT) | instid1(VALU_DEP_3)
	v_add_co_u32 v11, vcc_lo, s4, v11
	v_add_co_ci_u32_e32 v12, vcc_lo, s5, v12, vcc_lo
	global_store_b64 v[11:12], v[8:9], off
	s_and_saveexec_b32 s3, s20
	s_cbranch_execz .LBB20_8
; %bb.24:                               ;   in Loop: Header=BB20_10 Depth=1
	v_mul_lo_u32 v1, s1, v3
	v_mul_lo_u32 v4, s19, v4
	v_mad_u64_u32 v[8:9], null, s19, v3, 0
	ds_load_b32 v11, v17
	v_add3_u32 v9, v9, v4, v1
	s_delay_alu instid0(VALU_DEP_1) | instskip(NEXT) | instid1(VALU_DEP_1)
	v_lshlrev_b64 v[8:9], 2, v[8:9]
	v_add_co_u32 v8, vcc_lo, v27, v8
	s_delay_alu instid0(VALU_DEP_2)
	v_add_co_ci_u32_e32 v9, vcc_lo, v26, v9, vcc_lo
	s_waitcnt lgkmcnt(0)
	global_store_b32 v[8:9], v11, off
	s_branch .LBB20_8
.LBB20_25:
	s_endpgm
	.section	.rodata,"a",@progbits
	.p2align	6, 0x0
	.amdhsa_kernel _ZN9rocsparseL42csr2bsr_wavefront_per_row_multipass_kernelILj256ELj64ELj8EiilEEv20rocsparse_direction_T4_S2_S2_S2_S2_21rocsparse_index_base_PKT2_PKT3_PKS2_S3_PS4_PS7_PS2_
		.amdhsa_group_segment_fixed_size 1028
		.amdhsa_private_segment_fixed_size 0
		.amdhsa_kernarg_size 112
		.amdhsa_user_sgpr_count 15
		.amdhsa_user_sgpr_dispatch_ptr 0
		.amdhsa_user_sgpr_queue_ptr 0
		.amdhsa_user_sgpr_kernarg_segment_ptr 1
		.amdhsa_user_sgpr_dispatch_id 0
		.amdhsa_user_sgpr_private_segment_size 0
		.amdhsa_wavefront_size32 1
		.amdhsa_uses_dynamic_stack 0
		.amdhsa_enable_private_segment 0
		.amdhsa_system_sgpr_workgroup_id_x 1
		.amdhsa_system_sgpr_workgroup_id_y 0
		.amdhsa_system_sgpr_workgroup_id_z 0
		.amdhsa_system_sgpr_workgroup_info 0
		.amdhsa_system_vgpr_workitem_id 0
		.amdhsa_next_free_vgpr 40
		.amdhsa_next_free_sgpr 25
		.amdhsa_reserve_vcc 1
		.amdhsa_float_round_mode_32 0
		.amdhsa_float_round_mode_16_64 0
		.amdhsa_float_denorm_mode_32 3
		.amdhsa_float_denorm_mode_16_64 3
		.amdhsa_dx10_clamp 1
		.amdhsa_ieee_mode 1
		.amdhsa_fp16_overflow 0
		.amdhsa_workgroup_processor_mode 1
		.amdhsa_memory_ordered 1
		.amdhsa_forward_progress 0
		.amdhsa_shared_vgpr_count 0
		.amdhsa_exception_fp_ieee_invalid_op 0
		.amdhsa_exception_fp_denorm_src 0
		.amdhsa_exception_fp_ieee_div_zero 0
		.amdhsa_exception_fp_ieee_overflow 0
		.amdhsa_exception_fp_ieee_underflow 0
		.amdhsa_exception_fp_ieee_inexact 0
		.amdhsa_exception_int_div_zero 0
	.end_amdhsa_kernel
	.section	.text._ZN9rocsparseL42csr2bsr_wavefront_per_row_multipass_kernelILj256ELj64ELj8EiilEEv20rocsparse_direction_T4_S2_S2_S2_S2_21rocsparse_index_base_PKT2_PKT3_PKS2_S3_PS4_PS7_PS2_,"axG",@progbits,_ZN9rocsparseL42csr2bsr_wavefront_per_row_multipass_kernelILj256ELj64ELj8EiilEEv20rocsparse_direction_T4_S2_S2_S2_S2_21rocsparse_index_base_PKT2_PKT3_PKS2_S3_PS4_PS7_PS2_,comdat
.Lfunc_end20:
	.size	_ZN9rocsparseL42csr2bsr_wavefront_per_row_multipass_kernelILj256ELj64ELj8EiilEEv20rocsparse_direction_T4_S2_S2_S2_S2_21rocsparse_index_base_PKT2_PKT3_PKS2_S3_PS4_PS7_PS2_, .Lfunc_end20-_ZN9rocsparseL42csr2bsr_wavefront_per_row_multipass_kernelILj256ELj64ELj8EiilEEv20rocsparse_direction_T4_S2_S2_S2_S2_21rocsparse_index_base_PKT2_PKT3_PKS2_S3_PS4_PS7_PS2_
                                        ; -- End function
	.section	.AMDGPU.csdata,"",@progbits
; Kernel info:
; codeLenInByte = 2676
; NumSgprs: 27
; NumVgprs: 40
; ScratchSize: 0
; MemoryBound: 0
; FloatMode: 240
; IeeeMode: 1
; LDSByteSize: 1028 bytes/workgroup (compile time only)
; SGPRBlocks: 3
; VGPRBlocks: 4
; NumSGPRsForWavesPerEU: 27
; NumVGPRsForWavesPerEU: 40
; Occupancy: 16
; WaveLimiterHint : 0
; COMPUTE_PGM_RSRC2:SCRATCH_EN: 0
; COMPUTE_PGM_RSRC2:USER_SGPR: 15
; COMPUTE_PGM_RSRC2:TRAP_HANDLER: 0
; COMPUTE_PGM_RSRC2:TGID_X_EN: 1
; COMPUTE_PGM_RSRC2:TGID_Y_EN: 0
; COMPUTE_PGM_RSRC2:TGID_Z_EN: 0
; COMPUTE_PGM_RSRC2:TIDIG_COMP_CNT: 0
	.section	.text._ZN9rocsparseL42csr2bsr_wavefront_per_row_multipass_kernelILj256ELj32ELj8EiilEEv20rocsparse_direction_T4_S2_S2_S2_S2_21rocsparse_index_base_PKT2_PKT3_PKS2_S3_PS4_PS7_PS2_,"axG",@progbits,_ZN9rocsparseL42csr2bsr_wavefront_per_row_multipass_kernelILj256ELj32ELj8EiilEEv20rocsparse_direction_T4_S2_S2_S2_S2_21rocsparse_index_base_PKT2_PKT3_PKS2_S3_PS4_PS7_PS2_,comdat
	.globl	_ZN9rocsparseL42csr2bsr_wavefront_per_row_multipass_kernelILj256ELj32ELj8EiilEEv20rocsparse_direction_T4_S2_S2_S2_S2_21rocsparse_index_base_PKT2_PKT3_PKS2_S3_PS4_PS7_PS2_ ; -- Begin function _ZN9rocsparseL42csr2bsr_wavefront_per_row_multipass_kernelILj256ELj32ELj8EiilEEv20rocsparse_direction_T4_S2_S2_S2_S2_21rocsparse_index_base_PKT2_PKT3_PKS2_S3_PS4_PS7_PS2_
	.p2align	8
	.type	_ZN9rocsparseL42csr2bsr_wavefront_per_row_multipass_kernelILj256ELj32ELj8EiilEEv20rocsparse_direction_T4_S2_S2_S2_S2_21rocsparse_index_base_PKT2_PKT3_PKS2_S3_PS4_PS7_PS2_,@function
_ZN9rocsparseL42csr2bsr_wavefront_per_row_multipass_kernelILj256ELj32ELj8EiilEEv20rocsparse_direction_T4_S2_S2_S2_S2_21rocsparse_index_base_PKT2_PKT3_PKS2_S3_PS4_PS7_PS2_: ; @_ZN9rocsparseL42csr2bsr_wavefront_per_row_multipass_kernelILj256ELj32ELj8EiilEEv20rocsparse_direction_T4_S2_S2_S2_S2_21rocsparse_index_base_PKT2_PKT3_PKS2_S3_PS4_PS7_PS2_
; %bb.0:
	s_load_b64 s[8:9], s[0:1], 0x28
	v_lshrrev_b32_e32 v20, 5, v0
	s_mov_b32 s10, s15
	s_ashr_i32 s11, s15, 31
	s_clause 0x1
	s_load_b64 s[14:15], s[0:1], 0x8
	s_load_b128 s[4:7], s[0:1], 0x18
	s_lshl_b64 s[2:3], s[10:11], 3
	v_mov_b32_e32 v2, 0
	v_or_b32_e32 v5, s2, v20
	v_bfe_u32 v1, v0, 2, 3
	s_clause 0x1
	s_load_b32 s16, s[0:1], 0x30
	s_load_b64 s[12:13], s[0:1], 0x40
	s_waitcnt lgkmcnt(0)
	v_mul_lo_u32 v6, v5, s9
	v_mad_u64_u32 v[3:4], null, v5, s8, v[1:2]
	s_mul_i32 s2, s3, s8
	s_delay_alu instid0(VALU_DEP_1) | instid1(SALU_CYCLE_1)
	v_add3_u32 v4, s2, v4, v6
	v_cmp_gt_i64_e64 s2, s[8:9], v[1:2]
	v_mov_b32_e32 v6, v2
	s_delay_alu instid0(VALU_DEP_3) | instskip(NEXT) | instid1(VALU_DEP_3)
	v_cmp_gt_i64_e32 vcc_lo, s[14:15], v[3:4]
	s_and_b32 s3, s2, vcc_lo
	s_delay_alu instid0(SALU_CYCLE_1)
	s_and_saveexec_b32 s11, s3
	s_cbranch_execz .LBB21_2
; %bb.1:
	v_lshlrev_b64 v[5:6], 2, v[3:4]
	s_delay_alu instid0(VALU_DEP_1) | instskip(NEXT) | instid1(VALU_DEP_2)
	v_add_co_u32 v5, vcc_lo, s12, v5
	v_add_co_ci_u32_e32 v6, vcc_lo, s13, v6, vcc_lo
	global_load_b32 v5, v[5:6], off
	s_waitcnt vmcnt(0)
	v_subrev_nc_u32_e32 v6, s16, v5
.LBB21_2:
	s_or_b32 exec_lo, exec_lo, s11
	s_and_saveexec_b32 s11, s3
	s_cbranch_execz .LBB21_4
; %bb.3:
	v_lshlrev_b64 v[2:3], 2, v[3:4]
	s_delay_alu instid0(VALU_DEP_1) | instskip(NEXT) | instid1(VALU_DEP_2)
	v_add_co_u32 v2, vcc_lo, s12, v2
	v_add_co_ci_u32_e32 v3, vcc_lo, s13, v3, vcc_lo
	global_load_b32 v2, v[2:3], off offset:4
	s_waitcnt vmcnt(0)
	v_subrev_nc_u32_e32 v2, s16, v2
.LBB21_4:
	s_or_b32 exec_lo, exec_lo, s11
	s_load_b32 s17, s[0:1], 0x50
	v_mov_b32_e32 v5, 0
	v_lshl_or_b32 v4, s10, 3, v20
	s_mov_b32 s3, exec_lo
	s_delay_alu instid0(VALU_DEP_2) | instskip(NEXT) | instid1(VALU_DEP_2)
	v_mov_b32_e32 v3, v5
	v_cmpx_gt_i64_e64 s[4:5], v[4:5]
	s_cbranch_execz .LBB21_6
; %bb.5:
	s_load_b64 s[4:5], s[0:1], 0x60
	v_lshlrev_b64 v[3:4], 2, v[4:5]
	s_waitcnt lgkmcnt(0)
	s_delay_alu instid0(VALU_DEP_1) | instskip(NEXT) | instid1(VALU_DEP_2)
	v_add_co_u32 v3, vcc_lo, s4, v3
	v_add_co_ci_u32_e32 v4, vcc_lo, s5, v4, vcc_lo
	global_load_b32 v3, v[3:4], off
	s_waitcnt vmcnt(0)
	v_subrev_nc_u32_e32 v3, s17, v3
.LBB21_6:
	s_or_b32 exec_lo, exec_lo, s3
	v_cmp_lt_i64_e64 s3, s[6:7], 1
	s_delay_alu instid0(VALU_DEP_1)
	s_and_b32 vcc_lo, exec_lo, s3
	s_cbranch_vccnz .LBB21_34
; %bb.7:
	v_mbcnt_lo_u32_b32 v13, -1, 0
	v_mad_u64_u32 v[7:8], null, v1, s8, 0
	s_mul_i32 s3, s8, s9
	s_mul_hi_u32 s4, s8, s8
	s_delay_alu instid0(VALU_DEP_2)
	v_xor_b32_e32 v9, 2, v13
	v_xor_b32_e32 v11, 1, v13
	s_add_i32 s10, s4, s3
	s_clause 0x1
	s_load_b64 s[4:5], s[0:1], 0x68
	s_load_b64 s[14:15], s[0:1], 0x58
	v_cmp_gt_i32_e32 vcc_lo, 32, v9
	v_dual_mov_b32 v5, 0 :: v_dual_lshlrev_b32 v10, 2, v1
	s_add_i32 s18, s10, s3
	s_clause 0x2
	s_load_b64 s[10:11], s[0:1], 0x48
	s_load_b64 s[12:13], s[0:1], 0x38
	s_load_b32 s0, s[0:1], 0x0
	v_cndmask_b32_e32 v14, v13, v9, vcc_lo
	v_cmp_gt_i32_e32 vcc_lo, 32, v11
	v_lshlrev_b32_e32 v12, 6, v20
	v_lshl_or_b32 v26, v13, 2, 12
	v_mov_b32_e32 v34, 0
	s_mul_i32 s19, s8, s8
	v_dual_cndmask_b32 v11, v13, v11 :: v_dual_mov_b32 v4, v8
	v_lshl_or_b32 v23, v1, 3, v12
	s_mov_b32 s20, 0
	v_mov_b32_e32 v33, 1
	s_delay_alu instid0(VALU_DEP_3)
	v_lshlrev_b32_e32 v25, 2, v11
	v_mad_u64_u32 v[8:9], null, v1, s9, v[4:5]
	v_xor_b32_e32 v1, 16, v13
	v_xor_b32_e32 v4, 8, v13
	s_waitcnt lgkmcnt(0)
	v_add_co_u32 v21, s1, s14, v10
	v_xor_b32_e32 v10, 4, v13
	v_cmp_gt_i32_e32 vcc_lo, 32, v1
	v_and_b32_e32 v0, 3, v0
	v_lshlrev_b64 v[7:8], 2, v[7:8]
	s_cmp_lg_u32 s0, 0
	v_add_co_ci_u32_e64 v22, null, s15, 0, s1
	v_cndmask_b32_e32 v1, v13, v1, vcc_lo
	v_cmp_gt_i32_e32 vcc_lo, 32, v4
	v_or_b32_e32 v9, 4, v0
	v_mad_u64_u32 v[11:12], null, v0, s8, 0
	s_delay_alu instid0(VALU_DEP_4) | instskip(SKIP_1) | instid1(VALU_DEP_4)
	v_dual_cndmask_b32 v4, v13, v4 :: v_dual_lshlrev_b32 v29, 2, v1
	v_add_co_u32 v27, vcc_lo, s14, v7
	v_mad_u64_u32 v[15:16], null, v9, s8, 0
	v_add_co_ci_u32_e32 v28, vcc_lo, s15, v8, vcc_lo
	v_cmp_gt_i32_e32 vcc_lo, 32, v10
	v_dual_mov_b32 v1, v5 :: v_dual_lshlrev_b32 v30, 2, v4
	s_cselect_b32 s1, -1, 0
	s_delay_alu instid0(VALU_DEP_4)
	v_dual_mov_b32 v7, v16 :: v_dual_cndmask_b32 v8, v13, v10
	v_mov_b32_e32 v4, v12
	v_lshlrev_b32_e32 v24, 2, v14
	v_mov_b32_e32 v10, v5
	v_cmp_gt_u64_e32 vcc_lo, s[8:9], v[0:1]
	v_lshlrev_b32_e32 v31, 2, v8
	v_mad_u64_u32 v[12:13], null, v0, s9, v[4:5]
	v_mad_u64_u32 v[13:14], null, v9, s9, v[7:8]
	v_or_b32_e32 v4, v23, v0
	v_cmp_gt_u64_e64 s0, s[8:9], v[9:10]
	v_mov_b32_e32 v1, 0x7c
	s_and_b32 s21, s2, vcc_lo
	v_lshlrev_b64 v[7:8], 2, v[11:12]
	v_lshlrev_b32_e32 v32, 2, v4
	v_dual_mov_b32 v16, v13 :: v_dual_mov_b32 v13, 0
	v_mov_b32_e32 v14, 0
	s_and_b32 s22, s2, s0
	s_ashr_i32 s2, s9, 31
	s_delay_alu instid0(VALU_DEP_2)
	v_lshlrev_b64 v[9:10], 2, v[15:16]
	s_sub_i32 s23, 0, s8
	s_branch .LBB21_11
.LBB21_8:                               ;   in Loop: Header=BB21_11 Depth=1
	v_mov_b32_e32 v15, s14
.LBB21_9:                               ;   in Loop: Header=BB21_11 Depth=1
	s_or_b32 exec_lo, exec_lo, s3
.LBB21_10:                              ;   in Loop: Header=BB21_11 Depth=1
	s_delay_alu instid0(SALU_CYCLE_1)
	s_or_b32 exec_lo, exec_lo, s0
	ds_bpermute_b32 v13, v29, v11
	ds_bpermute_b32 v14, v29, v12
	s_waitcnt lgkmcnt(0)
	s_waitcnt_vscnt null, 0x0
	buffer_gl0_inv
	buffer_gl0_inv
	v_cmp_lt_i64_e32 vcc_lo, v[13:14], v[11:12]
	v_dual_cndmask_b32 v12, v12, v14 :: v_dual_cndmask_b32 v11, v11, v13
	ds_bpermute_b32 v14, v30, v12
	ds_bpermute_b32 v13, v30, v11
	s_waitcnt lgkmcnt(0)
	v_cmp_lt_i64_e32 vcc_lo, v[13:14], v[11:12]
	v_dual_cndmask_b32 v12, v12, v14 :: v_dual_cndmask_b32 v11, v11, v13
	ds_bpermute_b32 v14, v31, v12
	ds_bpermute_b32 v13, v31, v11
	s_waitcnt lgkmcnt(0)
	;; [unrolled: 5-line block ×4, first 2 shown]
	v_cmp_lt_i64_e32 vcc_lo, v[13:14], v[11:12]
	v_cndmask_b32_e32 v4, v11, v13, vcc_lo
	ds_bpermute_b32 v13, v1, v4
	s_waitcnt lgkmcnt(0)
	v_dual_mov_b32 v34, v13 :: v_dual_add_nc_u32 v3, v15, v3
	v_ashrrev_i32_e32 v14, 31, v13
	s_delay_alu instid0(VALU_DEP_1) | instskip(SKIP_1) | instid1(SALU_CYCLE_1)
	v_cmp_le_i64_e32 vcc_lo, s[6:7], v[13:14]
	s_or_b32 s20, vcc_lo, s20
	s_and_not1_b32 exec_lo, exec_lo, s20
	s_cbranch_execz .LBB21_34
.LBB21_11:                              ; =>This Loop Header: Depth=1
                                        ;     Child Loop BB21_14 Depth 2
	v_dual_mov_b32 v12, s7 :: v_dual_add_nc_u32 v15, v6, v0
	v_dual_mov_b32 v11, s6 :: v_dual_mov_b32 v6, v2
	s_mov_b32 s24, exec_lo
	ds_store_b8 v20, v5 offset:2048
	ds_store_2addr_b32 v32, v5, v5 offset1:4
	s_waitcnt lgkmcnt(0)
	buffer_gl0_inv
	v_cmpx_lt_i32_e64 v15, v2
	s_cbranch_execz .LBB21_23
; %bb.12:                               ;   in Loop: Header=BB21_11 Depth=1
	v_mad_u64_u32 v[17:18], null, v13, s8, 0
	v_dual_mov_b32 v12, s7 :: v_dual_mov_b32 v11, s6
	v_mov_b32_e32 v4, v2
	s_mov_b32 s25, 0
	s_branch .LBB21_14
.LBB21_13:                              ;   in Loop: Header=BB21_14 Depth=2
	s_or_b32 exec_lo, exec_lo, s3
	s_delay_alu instid0(VALU_DEP_1) | instskip(SKIP_1) | instid1(VALU_DEP_1)
	v_dual_mov_b32 v4, v6 :: v_dual_add_nc_u32 v15, 4, v15
	s_xor_b32 s3, vcc_lo, -1
	v_cmp_ge_i32_e64 s0, v15, v2
	s_delay_alu instid0(VALU_DEP_1) | instskip(NEXT) | instid1(SALU_CYCLE_1)
	s_or_b32 s0, s3, s0
	s_and_b32 s0, exec_lo, s0
	s_delay_alu instid0(SALU_CYCLE_1) | instskip(NEXT) | instid1(SALU_CYCLE_1)
	s_or_b32 s25, s0, s25
	s_and_not1_b32 exec_lo, exec_lo, s25
	s_cbranch_execz .LBB21_22
.LBB21_14:                              ;   Parent Loop BB21_11 Depth=1
                                        ; =>  This Inner Loop Header: Depth=2
	v_ashrrev_i32_e32 v16, 31, v15
	s_mov_b32 s0, exec_lo
	s_delay_alu instid0(VALU_DEP_1) | instskip(NEXT) | instid1(VALU_DEP_1)
	v_lshlrev_b64 v[18:19], 3, v[15:16]
	v_add_co_u32 v18, vcc_lo, s10, v18
	s_delay_alu instid0(VALU_DEP_2) | instskip(SKIP_4) | instid1(VALU_DEP_1)
	v_add_co_ci_u32_e32 v19, vcc_lo, s11, v19, vcc_lo
	global_load_b64 v[18:19], v[18:19], off
	s_waitcnt vmcnt(0)
	v_sub_co_u32 v35, vcc_lo, v18, s16
	v_subrev_co_ci_u32_e32 v36, vcc_lo, 0, v19, vcc_lo
                                        ; implicit-def: $vgpr18_vgpr19
	v_or_b32_e32 v6, s9, v36
	s_delay_alu instid0(VALU_DEP_1)
	v_cmpx_ne_u64_e32 0, v[5:6]
	s_xor_b32 s26, exec_lo, s0
	s_cbranch_execz .LBB21_16
; %bb.15:                               ;   in Loop: Header=BB21_14 Depth=2
	s_add_u32 s14, s8, s2
	s_mov_b32 s3, s2
	s_addc_u32 s15, s9, s2
	s_delay_alu instid0(SALU_CYCLE_1) | instskip(NEXT) | instid1(SALU_CYCLE_1)
	s_xor_b64 s[14:15], s[14:15], s[2:3]
	v_cvt_f32_u32_e32 v6, s14
	v_cvt_f32_u32_e32 v18, s15
	s_sub_u32 s0, 0, s14
	s_subb_u32 s3, 0, s15
	s_delay_alu instid0(VALU_DEP_1) | instskip(NEXT) | instid1(VALU_DEP_1)
	v_fmac_f32_e32 v6, 0x4f800000, v18
	v_rcp_f32_e32 v6, v6
	s_waitcnt_depctr 0xfff
	v_mul_f32_e32 v6, 0x5f7ffffc, v6
	s_delay_alu instid0(VALU_DEP_1) | instskip(NEXT) | instid1(VALU_DEP_1)
	v_mul_f32_e32 v18, 0x2f800000, v6
	v_trunc_f32_e32 v18, v18
	s_delay_alu instid0(VALU_DEP_1) | instskip(SKIP_1) | instid1(VALU_DEP_2)
	v_fmac_f32_e32 v6, 0xcf800000, v18
	v_cvt_u32_f32_e32 v18, v18
	v_cvt_u32_f32_e32 v6, v6
	s_delay_alu instid0(VALU_DEP_2) | instskip(NEXT) | instid1(VALU_DEP_2)
	v_mul_lo_u32 v19, s0, v18
	v_mul_hi_u32 v37, s0, v6
	v_mul_lo_u32 v38, s3, v6
	s_delay_alu instid0(VALU_DEP_2) | instskip(SKIP_1) | instid1(VALU_DEP_2)
	v_add_nc_u32_e32 v19, v37, v19
	v_mul_lo_u32 v37, s0, v6
	v_add_nc_u32_e32 v19, v19, v38
	s_delay_alu instid0(VALU_DEP_2) | instskip(NEXT) | instid1(VALU_DEP_2)
	v_mul_hi_u32 v38, v6, v37
	v_mul_lo_u32 v39, v6, v19
	v_mul_hi_u32 v40, v6, v19
	v_mul_hi_u32 v41, v18, v37
	v_mul_lo_u32 v37, v18, v37
	v_mul_hi_u32 v42, v18, v19
	v_mul_lo_u32 v19, v18, v19
	v_add_co_u32 v38, vcc_lo, v38, v39
	v_add_co_ci_u32_e32 v39, vcc_lo, 0, v40, vcc_lo
	s_delay_alu instid0(VALU_DEP_2) | instskip(NEXT) | instid1(VALU_DEP_2)
	v_add_co_u32 v37, vcc_lo, v38, v37
	v_add_co_ci_u32_e32 v37, vcc_lo, v39, v41, vcc_lo
	v_add_co_ci_u32_e32 v38, vcc_lo, 0, v42, vcc_lo
	v_ashrrev_i32_e32 v41, 31, v36
	s_delay_alu instid0(VALU_DEP_3) | instskip(NEXT) | instid1(VALU_DEP_3)
	v_add_co_u32 v19, vcc_lo, v37, v19
	v_add_co_ci_u32_e32 v37, vcc_lo, 0, v38, vcc_lo
	s_delay_alu instid0(VALU_DEP_2) | instskip(NEXT) | instid1(VALU_DEP_2)
	v_add_co_u32 v6, vcc_lo, v6, v19
	v_add_co_ci_u32_e32 v18, vcc_lo, v18, v37, vcc_lo
	s_delay_alu instid0(VALU_DEP_2) | instskip(SKIP_1) | instid1(VALU_DEP_3)
	v_mul_hi_u32 v19, s0, v6
	v_mul_lo_u32 v38, s3, v6
	v_mul_lo_u32 v37, s0, v18
	s_delay_alu instid0(VALU_DEP_1) | instskip(SKIP_1) | instid1(VALU_DEP_2)
	v_add_nc_u32_e32 v19, v19, v37
	v_mul_lo_u32 v37, s0, v6
	v_add_nc_u32_e32 v19, v19, v38
	s_delay_alu instid0(VALU_DEP_2) | instskip(NEXT) | instid1(VALU_DEP_2)
	v_mul_hi_u32 v38, v6, v37
	v_mul_lo_u32 v39, v6, v19
	v_mul_hi_u32 v40, v6, v19
	v_mul_hi_u32 v42, v18, v37
	v_mul_lo_u32 v37, v18, v37
	v_mul_hi_u32 v43, v18, v19
	v_mul_lo_u32 v19, v18, v19
	v_add_co_u32 v38, vcc_lo, v38, v39
	v_add_co_ci_u32_e32 v39, vcc_lo, 0, v40, vcc_lo
	s_delay_alu instid0(VALU_DEP_2) | instskip(NEXT) | instid1(VALU_DEP_2)
	v_add_co_u32 v37, vcc_lo, v38, v37
	v_add_co_ci_u32_e32 v37, vcc_lo, v39, v42, vcc_lo
	v_add_co_ci_u32_e32 v38, vcc_lo, 0, v43, vcc_lo
	v_add_co_u32 v39, vcc_lo, v35, v41
	v_add_co_ci_u32_e32 v36, vcc_lo, v36, v41, vcc_lo
	s_delay_alu instid0(VALU_DEP_4) | instskip(NEXT) | instid1(VALU_DEP_4)
	v_add_co_u32 v19, vcc_lo, v37, v19
	v_add_co_ci_u32_e32 v37, vcc_lo, 0, v38, vcc_lo
	s_delay_alu instid0(VALU_DEP_4) | instskip(NEXT) | instid1(VALU_DEP_3)
	v_xor_b32_e32 v40, v39, v41
	v_add_co_u32 v6, vcc_lo, v6, v19
	s_delay_alu instid0(VALU_DEP_3) | instskip(SKIP_1) | instid1(VALU_DEP_3)
	v_add_co_ci_u32_e32 v42, vcc_lo, v18, v37, vcc_lo
	v_xor_b32_e32 v43, v36, v41
	v_mul_hi_u32 v44, v40, v6
	s_delay_alu instid0(VALU_DEP_3) | instskip(NEXT) | instid1(VALU_DEP_3)
	v_mad_u64_u32 v[18:19], null, v40, v42, 0
	v_mad_u64_u32 v[36:37], null, v43, v6, 0
	;; [unrolled: 1-line block ×3, first 2 shown]
	s_delay_alu instid0(VALU_DEP_3) | instskip(NEXT) | instid1(VALU_DEP_4)
	v_add_co_u32 v6, vcc_lo, v44, v18
	v_add_co_ci_u32_e32 v18, vcc_lo, 0, v19, vcc_lo
	s_delay_alu instid0(VALU_DEP_2) | instskip(NEXT) | instid1(VALU_DEP_2)
	v_add_co_u32 v6, vcc_lo, v6, v36
	v_add_co_ci_u32_e32 v6, vcc_lo, v18, v37, vcc_lo
	v_add_co_ci_u32_e32 v18, vcc_lo, 0, v39, vcc_lo
	s_delay_alu instid0(VALU_DEP_2) | instskip(NEXT) | instid1(VALU_DEP_2)
	v_add_co_u32 v6, vcc_lo, v6, v38
	v_add_co_ci_u32_e32 v36, vcc_lo, 0, v18, vcc_lo
	s_delay_alu instid0(VALU_DEP_2) | instskip(SKIP_1) | instid1(VALU_DEP_3)
	v_mul_lo_u32 v37, s15, v6
	v_mad_u64_u32 v[18:19], null, s14, v6, 0
	v_mul_lo_u32 v38, s14, v36
	s_delay_alu instid0(VALU_DEP_2) | instskip(NEXT) | instid1(VALU_DEP_2)
	v_sub_co_u32 v18, vcc_lo, v40, v18
	v_add3_u32 v19, v19, v38, v37
	s_delay_alu instid0(VALU_DEP_1) | instskip(NEXT) | instid1(VALU_DEP_1)
	v_sub_nc_u32_e32 v37, v43, v19
	v_subrev_co_ci_u32_e64 v37, s0, s15, v37, vcc_lo
	v_add_co_u32 v38, s0, v6, 2
	s_delay_alu instid0(VALU_DEP_1) | instskip(SKIP_3) | instid1(VALU_DEP_3)
	v_add_co_ci_u32_e64 v39, s0, 0, v36, s0
	v_sub_co_u32 v40, s0, v18, s14
	v_sub_co_ci_u32_e32 v19, vcc_lo, v43, v19, vcc_lo
	v_subrev_co_ci_u32_e64 v37, s0, 0, v37, s0
	v_cmp_le_u32_e32 vcc_lo, s14, v40
	s_delay_alu instid0(VALU_DEP_3) | instskip(SKIP_1) | instid1(VALU_DEP_4)
	v_cmp_eq_u32_e64 s0, s15, v19
	v_cndmask_b32_e64 v40, 0, -1, vcc_lo
	v_cmp_le_u32_e32 vcc_lo, s15, v37
	v_cndmask_b32_e64 v42, 0, -1, vcc_lo
	v_cmp_le_u32_e32 vcc_lo, s14, v18
	;; [unrolled: 2-line block ×3, first 2 shown]
	v_cndmask_b32_e64 v43, 0, -1, vcc_lo
	v_cmp_eq_u32_e32 vcc_lo, s15, v37
	s_delay_alu instid0(VALU_DEP_2) | instskip(SKIP_3) | instid1(VALU_DEP_3)
	v_cndmask_b32_e64 v18, v43, v18, s0
	v_cndmask_b32_e32 v37, v42, v40, vcc_lo
	v_add_co_u32 v40, vcc_lo, v6, 1
	v_add_co_ci_u32_e32 v42, vcc_lo, 0, v36, vcc_lo
	v_cmp_ne_u32_e32 vcc_lo, 0, v37
	s_delay_alu instid0(VALU_DEP_2) | instskip(NEXT) | instid1(VALU_DEP_4)
	v_cndmask_b32_e32 v19, v42, v39, vcc_lo
	v_cndmask_b32_e32 v37, v40, v38, vcc_lo
	v_cmp_ne_u32_e32 vcc_lo, 0, v18
	v_xor_b32_e32 v38, s2, v41
	s_delay_alu instid0(VALU_DEP_3) | instskip(SKIP_1) | instid1(VALU_DEP_2)
	v_cndmask_b32_e32 v6, v6, v37, vcc_lo
	v_cndmask_b32_e32 v18, v36, v19, vcc_lo
	v_xor_b32_e32 v6, v6, v38
	s_delay_alu instid0(VALU_DEP_2) | instskip(NEXT) | instid1(VALU_DEP_2)
	v_xor_b32_e32 v19, v18, v38
	v_sub_co_u32 v18, vcc_lo, v6, v38
	s_delay_alu instid0(VALU_DEP_2)
	v_sub_co_ci_u32_e32 v19, vcc_lo, v19, v38, vcc_lo
.LBB21_16:                              ;   in Loop: Header=BB21_14 Depth=2
	s_and_not1_saveexec_b32 s0, s26
	s_cbranch_execz .LBB21_18
; %bb.17:                               ;   in Loop: Header=BB21_14 Depth=2
	v_cvt_f32_u32_e32 v6, s8
	s_delay_alu instid0(VALU_DEP_1) | instskip(SKIP_2) | instid1(VALU_DEP_1)
	v_rcp_iflag_f32_e32 v6, v6
	s_waitcnt_depctr 0xfff
	v_mul_f32_e32 v6, 0x4f7ffffe, v6
	v_cvt_u32_f32_e32 v6, v6
	s_delay_alu instid0(VALU_DEP_1) | instskip(NEXT) | instid1(VALU_DEP_1)
	v_mul_lo_u32 v18, s23, v6
	v_mul_hi_u32 v18, v6, v18
	s_delay_alu instid0(VALU_DEP_1) | instskip(NEXT) | instid1(VALU_DEP_1)
	v_add_nc_u32_e32 v6, v6, v18
	v_mul_hi_u32 v6, v35, v6
	s_delay_alu instid0(VALU_DEP_1) | instskip(NEXT) | instid1(VALU_DEP_1)
	v_mul_lo_u32 v18, v6, s8
	v_sub_nc_u32_e32 v18, v35, v18
	s_delay_alu instid0(VALU_DEP_1) | instskip(SKIP_1) | instid1(VALU_DEP_2)
	v_subrev_nc_u32_e32 v36, s8, v18
	v_cmp_le_u32_e32 vcc_lo, s8, v18
	v_dual_cndmask_b32 v18, v18, v36 :: v_dual_add_nc_u32 v19, 1, v6
	s_delay_alu instid0(VALU_DEP_1) | instskip(NEXT) | instid1(VALU_DEP_2)
	v_cndmask_b32_e32 v6, v6, v19, vcc_lo
	v_cmp_le_u32_e32 vcc_lo, s8, v18
	s_delay_alu instid0(VALU_DEP_2) | instskip(NEXT) | instid1(VALU_DEP_1)
	v_add_nc_u32_e32 v19, 1, v6
	v_dual_cndmask_b32 v18, v6, v19 :: v_dual_mov_b32 v19, v5
.LBB21_18:                              ;   in Loop: Header=BB21_14 Depth=2
	s_or_b32 exec_lo, exec_lo, s0
	s_delay_alu instid0(VALU_DEP_1)
	v_cmp_eq_u64_e32 vcc_lo, v[18:19], v[13:14]
	s_mov_b32 s3, exec_lo
	v_cmpx_ne_u64_e64 v[18:19], v[13:14]
	s_xor_b32 s3, exec_lo, s3
; %bb.19:                               ;   in Loop: Header=BB21_14 Depth=2
	v_cmp_lt_i64_e64 s0, v[18:19], v[11:12]
                                        ; implicit-def: $vgpr35
                                        ; implicit-def: $vgpr4
	s_delay_alu instid0(VALU_DEP_1)
	v_cndmask_b32_e64 v12, v12, v19, s0
	v_cndmask_b32_e64 v11, v11, v18, s0
; %bb.20:                               ;   in Loop: Header=BB21_14 Depth=2
	s_or_saveexec_b32 s3, s3
	v_mov_b32_e32 v6, v15
	s_xor_b32 exec_lo, exec_lo, s3
	s_cbranch_execz .LBB21_13
; %bb.21:                               ;   in Loop: Header=BB21_14 Depth=2
	v_lshlrev_b64 v[18:19], 2, v[15:16]
	v_sub_nc_u32_e32 v6, v35, v17
	s_delay_alu instid0(VALU_DEP_2) | instskip(NEXT) | instid1(VALU_DEP_1)
	v_add_co_u32 v18, s0, s12, v18
	v_add_co_ci_u32_e64 v19, s0, s13, v19, s0
	global_load_b32 v16, v[18:19], off
	v_add_lshl_u32 v18, v23, v6, 2
	v_mov_b32_e32 v6, v4
	ds_store_b8 v20, v33 offset:2048
	s_waitcnt vmcnt(0)
	ds_store_b32 v18, v16
	s_branch .LBB21_13
.LBB21_22:                              ;   in Loop: Header=BB21_11 Depth=1
	s_or_b32 exec_lo, exec_lo, s25
.LBB21_23:                              ;   in Loop: Header=BB21_11 Depth=1
	s_delay_alu instid0(SALU_CYCLE_1)
	s_or_b32 exec_lo, exec_lo, s24
	ds_bpermute_b32 v4, v24, v6
	s_waitcnt lgkmcnt(0)
	buffer_gl0_inv
	ds_load_u8 v13, v20 offset:2048
	s_mov_b32 s0, exec_lo
	v_mov_b32_e32 v15, 0
	v_min_i32_e32 v4, v4, v6
	ds_bpermute_b32 v6, v25, v4
	s_waitcnt lgkmcnt(0)
	v_min_i32_e32 v4, v6, v4
	ds_bpermute_b32 v6, v26, v4
	v_and_b32_e32 v4, 1, v13
	s_delay_alu instid0(VALU_DEP_1)
	v_cmpx_eq_u32_e32 1, v4
	s_cbranch_execz .LBB21_10
; %bb.24:                               ;   in Loop: Header=BB21_11 Depth=1
	v_ashrrev_i32_e32 v4, 31, v3
	v_mul_lo_u32 v15, s18, v3
	v_mad_u64_u32 v[13:14], null, s19, v3, 0
	v_add_nc_u32_e32 v17, s17, v34
	s_delay_alu instid0(VALU_DEP_4) | instskip(NEXT) | instid1(VALU_DEP_2)
	v_mul_lo_u32 v16, s19, v4
	v_ashrrev_i32_e32 v18, 31, v17
	s_delay_alu instid0(VALU_DEP_2) | instskip(SKIP_1) | instid1(VALU_DEP_2)
	v_add3_u32 v14, v14, v16, v15
	v_lshlrev_b64 v[15:16], 3, v[3:4]
	v_lshlrev_b64 v[34:35], 2, v[13:14]
	s_delay_alu instid0(VALU_DEP_2) | instskip(NEXT) | instid1(VALU_DEP_3)
	v_add_co_u32 v36, vcc_lo, s4, v15
	v_add_co_ci_u32_e32 v37, vcc_lo, s5, v16, vcc_lo
	s_delay_alu instid0(VALU_DEP_3) | instskip(NEXT) | instid1(VALU_DEP_4)
	v_add_co_u32 v14, vcc_lo, v21, v34
	v_add_co_ci_u32_e32 v16, vcc_lo, v22, v35, vcc_lo
	v_add_co_u32 v4, vcc_lo, v27, v34
	v_add_co_ci_u32_e32 v13, vcc_lo, v28, v35, vcc_lo
	global_store_b64 v[36:37], v[17:18], off
	s_and_saveexec_b32 s3, s21
	s_cbranch_execz .LBB21_28
; %bb.25:                               ;   in Loop: Header=BB21_11 Depth=1
	s_and_b32 vcc_lo, exec_lo, s1
	s_cbranch_vccz .LBB21_31
; %bb.26:                               ;   in Loop: Header=BB21_11 Depth=1
	ds_load_b32 v15, v32
	v_add_co_u32 v17, vcc_lo, v14, v7
	v_add_co_ci_u32_e32 v18, vcc_lo, v16, v8, vcc_lo
	s_waitcnt lgkmcnt(0)
	global_store_b32 v[17:18], v15, off
	s_cbranch_execnz .LBB21_28
.LBB21_27:                              ;   in Loop: Header=BB21_11 Depth=1
	ds_load_b32 v15, v32
	v_lshlrev_b32_e32 v17, 2, v0
	s_delay_alu instid0(VALU_DEP_1)
	v_add_co_u32 v17, vcc_lo, v4, v17
	v_add_co_ci_u32_e32 v18, vcc_lo, 0, v13, vcc_lo
	s_waitcnt lgkmcnt(0)
	global_store_b32 v[17:18], v15, off
.LBB21_28:                              ;   in Loop: Header=BB21_11 Depth=1
	s_or_b32 exec_lo, exec_lo, s3
	v_mov_b32_e32 v15, 1
	s_and_saveexec_b32 s3, s22
	s_cbranch_execz .LBB21_9
; %bb.29:                               ;   in Loop: Header=BB21_11 Depth=1
	s_and_not1_b32 vcc_lo, exec_lo, s1
	s_cbranch_vccnz .LBB21_32
; %bb.30:                               ;   in Loop: Header=BB21_11 Depth=1
	ds_load_b32 v17, v32 offset:16
	v_add_co_u32 v14, vcc_lo, v14, v9
	v_add_co_ci_u32_e32 v15, vcc_lo, v16, v10, vcc_lo
	s_mov_b32 s14, 1
	s_waitcnt lgkmcnt(0)
	global_store_b32 v[14:15], v17, off
	s_cbranch_execnz .LBB21_8
	s_branch .LBB21_33
.LBB21_31:                              ;   in Loop: Header=BB21_11 Depth=1
	s_branch .LBB21_27
.LBB21_32:                              ;   in Loop: Header=BB21_11 Depth=1
                                        ; implicit-def: $sgpr14
.LBB21_33:                              ;   in Loop: Header=BB21_11 Depth=1
	ds_load_b32 v16, v32 offset:16
	v_lshlrev_b32_e32 v14, 2, v0
	s_mov_b32 s14, 1
	s_delay_alu instid0(VALU_DEP_1)
	v_add_co_u32 v14, vcc_lo, v4, v14
	v_add_co_ci_u32_e32 v15, vcc_lo, 0, v13, vcc_lo
	s_waitcnt lgkmcnt(0)
	global_store_b32 v[14:15], v16, off offset:16
	s_branch .LBB21_8
.LBB21_34:
	s_endpgm
	.section	.rodata,"a",@progbits
	.p2align	6, 0x0
	.amdhsa_kernel _ZN9rocsparseL42csr2bsr_wavefront_per_row_multipass_kernelILj256ELj32ELj8EiilEEv20rocsparse_direction_T4_S2_S2_S2_S2_21rocsparse_index_base_PKT2_PKT3_PKS2_S3_PS4_PS7_PS2_
		.amdhsa_group_segment_fixed_size 2056
		.amdhsa_private_segment_fixed_size 0
		.amdhsa_kernarg_size 112
		.amdhsa_user_sgpr_count 15
		.amdhsa_user_sgpr_dispatch_ptr 0
		.amdhsa_user_sgpr_queue_ptr 0
		.amdhsa_user_sgpr_kernarg_segment_ptr 1
		.amdhsa_user_sgpr_dispatch_id 0
		.amdhsa_user_sgpr_private_segment_size 0
		.amdhsa_wavefront_size32 1
		.amdhsa_uses_dynamic_stack 0
		.amdhsa_enable_private_segment 0
		.amdhsa_system_sgpr_workgroup_id_x 1
		.amdhsa_system_sgpr_workgroup_id_y 0
		.amdhsa_system_sgpr_workgroup_id_z 0
		.amdhsa_system_sgpr_workgroup_info 0
		.amdhsa_system_vgpr_workitem_id 0
		.amdhsa_next_free_vgpr 45
		.amdhsa_next_free_sgpr 27
		.amdhsa_reserve_vcc 1
		.amdhsa_float_round_mode_32 0
		.amdhsa_float_round_mode_16_64 0
		.amdhsa_float_denorm_mode_32 3
		.amdhsa_float_denorm_mode_16_64 3
		.amdhsa_dx10_clamp 1
		.amdhsa_ieee_mode 1
		.amdhsa_fp16_overflow 0
		.amdhsa_workgroup_processor_mode 1
		.amdhsa_memory_ordered 1
		.amdhsa_forward_progress 0
		.amdhsa_shared_vgpr_count 0
		.amdhsa_exception_fp_ieee_invalid_op 0
		.amdhsa_exception_fp_denorm_src 0
		.amdhsa_exception_fp_ieee_div_zero 0
		.amdhsa_exception_fp_ieee_overflow 0
		.amdhsa_exception_fp_ieee_underflow 0
		.amdhsa_exception_fp_ieee_inexact 0
		.amdhsa_exception_int_div_zero 0
	.end_amdhsa_kernel
	.section	.text._ZN9rocsparseL42csr2bsr_wavefront_per_row_multipass_kernelILj256ELj32ELj8EiilEEv20rocsparse_direction_T4_S2_S2_S2_S2_21rocsparse_index_base_PKT2_PKT3_PKS2_S3_PS4_PS7_PS2_,"axG",@progbits,_ZN9rocsparseL42csr2bsr_wavefront_per_row_multipass_kernelILj256ELj32ELj8EiilEEv20rocsparse_direction_T4_S2_S2_S2_S2_21rocsparse_index_base_PKT2_PKT3_PKS2_S3_PS4_PS7_PS2_,comdat
.Lfunc_end21:
	.size	_ZN9rocsparseL42csr2bsr_wavefront_per_row_multipass_kernelILj256ELj32ELj8EiilEEv20rocsparse_direction_T4_S2_S2_S2_S2_21rocsparse_index_base_PKT2_PKT3_PKS2_S3_PS4_PS7_PS2_, .Lfunc_end21-_ZN9rocsparseL42csr2bsr_wavefront_per_row_multipass_kernelILj256ELj32ELj8EiilEEv20rocsparse_direction_T4_S2_S2_S2_S2_21rocsparse_index_base_PKT2_PKT3_PKS2_S3_PS4_PS7_PS2_
                                        ; -- End function
	.section	.AMDGPU.csdata,"",@progbits
; Kernel info:
; codeLenInByte = 2776
; NumSgprs: 29
; NumVgprs: 45
; ScratchSize: 0
; MemoryBound: 0
; FloatMode: 240
; IeeeMode: 1
; LDSByteSize: 2056 bytes/workgroup (compile time only)
; SGPRBlocks: 3
; VGPRBlocks: 5
; NumSGPRsForWavesPerEU: 29
; NumVGPRsForWavesPerEU: 45
; Occupancy: 16
; WaveLimiterHint : 0
; COMPUTE_PGM_RSRC2:SCRATCH_EN: 0
; COMPUTE_PGM_RSRC2:USER_SGPR: 15
; COMPUTE_PGM_RSRC2:TRAP_HANDLER: 0
; COMPUTE_PGM_RSRC2:TGID_X_EN: 1
; COMPUTE_PGM_RSRC2:TGID_Y_EN: 0
; COMPUTE_PGM_RSRC2:TGID_Z_EN: 0
; COMPUTE_PGM_RSRC2:TIDIG_COMP_CNT: 0
	.section	.text._ZN9rocsparseL42csr2bsr_wavefront_per_row_multipass_kernelILj256ELj64ELj16EiilEEv20rocsparse_direction_T4_S2_S2_S2_S2_21rocsparse_index_base_PKT2_PKT3_PKS2_S3_PS4_PS7_PS2_,"axG",@progbits,_ZN9rocsparseL42csr2bsr_wavefront_per_row_multipass_kernelILj256ELj64ELj16EiilEEv20rocsparse_direction_T4_S2_S2_S2_S2_21rocsparse_index_base_PKT2_PKT3_PKS2_S3_PS4_PS7_PS2_,comdat
	.globl	_ZN9rocsparseL42csr2bsr_wavefront_per_row_multipass_kernelILj256ELj64ELj16EiilEEv20rocsparse_direction_T4_S2_S2_S2_S2_21rocsparse_index_base_PKT2_PKT3_PKS2_S3_PS4_PS7_PS2_ ; -- Begin function _ZN9rocsparseL42csr2bsr_wavefront_per_row_multipass_kernelILj256ELj64ELj16EiilEEv20rocsparse_direction_T4_S2_S2_S2_S2_21rocsparse_index_base_PKT2_PKT3_PKS2_S3_PS4_PS7_PS2_
	.p2align	8
	.type	_ZN9rocsparseL42csr2bsr_wavefront_per_row_multipass_kernelILj256ELj64ELj16EiilEEv20rocsparse_direction_T4_S2_S2_S2_S2_21rocsparse_index_base_PKT2_PKT3_PKS2_S3_PS4_PS7_PS2_,@function
_ZN9rocsparseL42csr2bsr_wavefront_per_row_multipass_kernelILj256ELj64ELj16EiilEEv20rocsparse_direction_T4_S2_S2_S2_S2_21rocsparse_index_base_PKT2_PKT3_PKS2_S3_PS4_PS7_PS2_: ; @_ZN9rocsparseL42csr2bsr_wavefront_per_row_multipass_kernelILj256ELj64ELj16EiilEEv20rocsparse_direction_T4_S2_S2_S2_S2_21rocsparse_index_base_PKT2_PKT3_PKS2_S3_PS4_PS7_PS2_
; %bb.0:
	s_load_b64 s[8:9], s[0:1], 0x28
	v_lshrrev_b32_e32 v24, 6, v0
	s_mov_b32 s10, s15
	s_ashr_i32 s11, s15, 31
	s_clause 0x1
	s_load_b64 s[14:15], s[0:1], 0x8
	s_load_b128 s[4:7], s[0:1], 0x18
	s_lshl_b64 s[2:3], s[10:11], 2
	v_mov_b32_e32 v2, 0
	v_or_b32_e32 v5, s2, v24
	v_bfe_u32 v1, v0, 2, 4
	s_clause 0x1
	s_load_b32 s16, s[0:1], 0x30
	s_load_b64 s[12:13], s[0:1], 0x40
	s_waitcnt lgkmcnt(0)
	v_mul_lo_u32 v6, v5, s9
	v_mad_u64_u32 v[3:4], null, v5, s8, v[1:2]
	s_mul_i32 s2, s3, s8
	s_delay_alu instid0(VALU_DEP_1) | instid1(SALU_CYCLE_1)
	v_add3_u32 v4, s2, v4, v6
	v_cmp_gt_i64_e64 s2, s[8:9], v[1:2]
	v_mov_b32_e32 v6, v2
	s_delay_alu instid0(VALU_DEP_3) | instskip(NEXT) | instid1(VALU_DEP_3)
	v_cmp_gt_i64_e32 vcc_lo, s[14:15], v[3:4]
	s_and_b32 s3, s2, vcc_lo
	s_delay_alu instid0(SALU_CYCLE_1)
	s_and_saveexec_b32 s11, s3
	s_cbranch_execz .LBB22_2
; %bb.1:
	v_lshlrev_b64 v[5:6], 2, v[3:4]
	s_delay_alu instid0(VALU_DEP_1) | instskip(NEXT) | instid1(VALU_DEP_2)
	v_add_co_u32 v5, vcc_lo, s12, v5
	v_add_co_ci_u32_e32 v6, vcc_lo, s13, v6, vcc_lo
	global_load_b32 v5, v[5:6], off
	s_waitcnt vmcnt(0)
	v_subrev_nc_u32_e32 v6, s16, v5
.LBB22_2:
	s_or_b32 exec_lo, exec_lo, s11
	s_and_saveexec_b32 s11, s3
	s_cbranch_execz .LBB22_4
; %bb.3:
	v_lshlrev_b64 v[2:3], 2, v[3:4]
	s_delay_alu instid0(VALU_DEP_1) | instskip(NEXT) | instid1(VALU_DEP_2)
	v_add_co_u32 v2, vcc_lo, s12, v2
	v_add_co_ci_u32_e32 v3, vcc_lo, s13, v3, vcc_lo
	global_load_b32 v2, v[2:3], off offset:4
	s_waitcnt vmcnt(0)
	v_subrev_nc_u32_e32 v2, s16, v2
.LBB22_4:
	s_or_b32 exec_lo, exec_lo, s11
	s_load_b32 s17, s[0:1], 0x50
	v_mov_b32_e32 v5, 0
	v_lshl_or_b32 v4, s10, 2, v24
	s_mov_b32 s3, exec_lo
	s_delay_alu instid0(VALU_DEP_2) | instskip(NEXT) | instid1(VALU_DEP_2)
	v_mov_b32_e32 v3, v5
	v_cmpx_gt_i64_e64 s[4:5], v[4:5]
	s_cbranch_execz .LBB22_6
; %bb.5:
	s_load_b64 s[4:5], s[0:1], 0x60
	v_lshlrev_b64 v[3:4], 2, v[4:5]
	s_waitcnt lgkmcnt(0)
	s_delay_alu instid0(VALU_DEP_1) | instskip(NEXT) | instid1(VALU_DEP_2)
	v_add_co_u32 v3, vcc_lo, s4, v3
	v_add_co_ci_u32_e32 v4, vcc_lo, s5, v4, vcc_lo
	global_load_b32 v3, v[3:4], off
	s_waitcnt vmcnt(0)
	v_subrev_nc_u32_e32 v3, s17, v3
.LBB22_6:
	s_or_b32 exec_lo, exec_lo, s3
	v_cmp_lt_i64_e64 s3, s[6:7], 1
	s_delay_alu instid0(VALU_DEP_1)
	s_and_b32 vcc_lo, exec_lo, s3
	s_cbranch_vccnz .LBB22_44
; %bb.7:
	v_mbcnt_lo_u32_b32 v11, -1, 0
	v_mad_u64_u32 v[7:8], null, v1, s8, 0
	s_load_b64 s[14:15], s[0:1], 0x58
	v_dual_mov_b32 v5, 0 :: v_dual_lshlrev_b32 v10, 2, v1
	s_delay_alu instid0(VALU_DEP_3)
	v_xor_b32_e32 v12, 2, v11
	v_xor_b32_e32 v13, 1, v11
	s_mul_i32 s3, s8, s9
	s_mul_hi_u32 s4, s8, s8
	v_lshl_or_b32 v30, v11, 2, 12
	v_cmp_gt_i32_e32 vcc_lo, 32, v12
	v_mov_b32_e32 v4, v8
	s_add_i32 s10, s4, s3
	s_load_b64 s[4:5], s[0:1], 0x68
	s_add_i32 s18, s10, s3
	s_clause 0x2
	s_load_b64 s[10:11], s[0:1], 0x48
	s_load_b64 s[12:13], s[0:1], 0x38
	s_load_b32 s0, s[0:1], 0x0
	v_mad_u64_u32 v[8:9], null, v1, s9, v[4:5]
	v_cndmask_b32_e32 v9, v11, v12, vcc_lo
	v_lshlrev_b32_e32 v4, 8, v24
	v_cmp_gt_i32_e32 vcc_lo, 32, v13
	v_mov_b32_e32 v12, v5
	s_waitcnt lgkmcnt(0)
	v_add_co_u32 v25, s1, s14, v10
	v_lshlrev_b64 v[7:8], 2, v[7:8]
	v_lshl_or_b32 v27, v1, 4, v4
	v_or_b32_e32 v1, 32, v11
	v_cndmask_b32_e32 v10, v11, v13, vcc_lo
	v_xor_b32_e32 v4, 16, v11
	v_lshlrev_b32_e32 v28, 2, v9
	v_add_co_u32 v31, vcc_lo, s14, v7
	v_add_co_ci_u32_e32 v32, vcc_lo, s15, v8, vcc_lo
	v_cmp_gt_i32_e32 vcc_lo, 32, v1
	v_xor_b32_e32 v7, 8, v11
	v_xor_b32_e32 v8, 4, v11
	v_add_co_ci_u32_e64 v26, null, s15, 0, s1
	v_cndmask_b32_e32 v1, v11, v1, vcc_lo
	v_cmp_gt_i32_e32 vcc_lo, 32, v4
	s_cmp_lg_u32 s0, 0
	v_bfrev_b32_e32 v37, 0.5
	s_mul_i32 s19, s8, s8
	v_dual_cndmask_b32 v4, v11, v4 :: v_dual_lshlrev_b32 v33, 2, v1
	v_cmp_gt_i32_e32 vcc_lo, 32, v7
	v_and_b32_e32 v0, 3, v0
	s_mov_b32 s20, 0
	s_cselect_b32 s21, -1, 0
	s_sub_i32 s25, 0, s8
	v_cndmask_b32_e32 v7, v11, v7, vcc_lo
	v_cmp_gt_i32_e32 vcc_lo, 32, v8
	v_or_b32_e32 v1, v27, v0
	v_or_b32_e32 v15, 12, v0
	s_delay_alu instid0(VALU_DEP_4) | instskip(SKIP_4) | instid1(VALU_DEP_4)
	v_lshlrev_b32_e32 v35, 2, v7
	v_or_b32_e32 v7, 4, v0
	v_dual_cndmask_b32 v8, v11, v8 :: v_dual_lshlrev_b32 v29, 2, v10
	v_mad_u64_u32 v[9:10], null, v0, s8, 0
	v_or_b32_e32 v11, 8, v0
	v_mad_u64_u32 v[13:14], null, v7, s8, 0
	v_dual_mov_b32 v1, v5 :: v_dual_lshlrev_b32 v38, 2, v1
	s_delay_alu instid0(VALU_DEP_3) | instskip(SKIP_2) | instid1(VALU_DEP_4)
	v_mad_u64_u32 v[19:20], null, v11, s8, 0
	v_mad_u64_u32 v[21:22], null, v15, s8, 0
	v_lshlrev_b32_e32 v34, 2, v4
	v_cmp_gt_u64_e32 vcc_lo, s[8:9], v[0:1]
	v_mov_b32_e32 v1, v10
	v_mov_b32_e32 v4, v14
	v_lshlrev_b32_e32 v36, 2, v8
	v_mov_b32_e32 v8, v5
	v_cmp_gt_u64_e64 s1, s[8:9], v[11:12]
	v_mad_u64_u32 v[16:17], null, v0, s9, v[1:2]
	v_mov_b32_e32 v1, v20
	v_mad_u64_u32 v[17:18], null, v7, s9, v[4:5]
	v_mov_b32_e32 v4, v22
	s_and_b32 s22, s2, vcc_lo
	s_delay_alu instid0(VALU_DEP_3) | instskip(SKIP_1) | instid1(VALU_DEP_3)
	v_mad_u64_u32 v[22:23], null, v11, s9, v[1:2]
	v_mov_b32_e32 v10, v16
	v_mad_u64_u32 v[39:40], null, v15, s9, v[4:5]
	v_mov_b32_e32 v16, v5
	v_dual_mov_b32 v14, v17 :: v_dual_mov_b32 v17, 0
	v_mov_b32_e32 v20, v22
	v_mov_b32_e32 v18, 0
	s_delay_alu instid0(VALU_DEP_4)
	v_cmp_gt_u64_e64 s3, s[8:9], v[15:16]
	v_dual_mov_b32 v22, v39 :: v_dual_mov_b32 v39, 0
	v_cmp_gt_u64_e64 s0, s[8:9], v[7:8]
	v_lshlrev_b64 v[7:8], 2, v[9:10]
	v_lshlrev_b64 v[9:10], 2, v[13:14]
	;; [unrolled: 1-line block ×4, first 2 shown]
	v_mov_b32_e32 v1, 1
	s_and_b32 s23, s2, s0
	s_and_b32 s1, s2, s1
	;; [unrolled: 1-line block ×3, first 2 shown]
	s_ashr_i32 s2, s9, 31
	s_branch .LBB22_11
.LBB22_8:                               ;   in Loop: Header=BB22_11 Depth=1
	v_mov_b32_e32 v20, s14
.LBB22_9:                               ;   in Loop: Header=BB22_11 Depth=1
	s_or_b32 exec_lo, exec_lo, s3
.LBB22_10:                              ;   in Loop: Header=BB22_11 Depth=1
	s_delay_alu instid0(SALU_CYCLE_1)
	s_or_b32 exec_lo, exec_lo, s0
	ds_bpermute_b32 v17, v33, v15
	ds_bpermute_b32 v18, v33, v16
	s_waitcnt lgkmcnt(0)
	s_waitcnt_vscnt null, 0x0
	buffer_gl0_inv
	buffer_gl0_inv
	v_add_nc_u32_e32 v3, v20, v3
	v_cmp_lt_i64_e32 vcc_lo, v[17:18], v[15:16]
	v_dual_cndmask_b32 v16, v16, v18 :: v_dual_cndmask_b32 v15, v15, v17
	ds_bpermute_b32 v18, v34, v16
	ds_bpermute_b32 v17, v34, v15
	s_waitcnt lgkmcnt(0)
	v_cmp_lt_i64_e32 vcc_lo, v[17:18], v[15:16]
	v_dual_cndmask_b32 v16, v16, v18 :: v_dual_cndmask_b32 v15, v15, v17
	ds_bpermute_b32 v18, v35, v16
	ds_bpermute_b32 v17, v35, v15
	s_waitcnt lgkmcnt(0)
	;; [unrolled: 5-line block ×5, first 2 shown]
	v_cmp_lt_i64_e32 vcc_lo, v[17:18], v[15:16]
	v_cndmask_b32_e32 v4, v15, v17, vcc_lo
	ds_bpermute_b32 v17, v37, v4
	s_waitcnt lgkmcnt(0)
	v_ashrrev_i32_e32 v18, 31, v17
	v_mov_b32_e32 v39, v17
	s_delay_alu instid0(VALU_DEP_2) | instskip(SKIP_1) | instid1(SALU_CYCLE_1)
	v_cmp_le_i64_e32 vcc_lo, s[6:7], v[17:18]
	s_or_b32 s20, vcc_lo, s20
	s_and_not1_b32 exec_lo, exec_lo, s20
	s_cbranch_execz .LBB22_44
.LBB22_11:                              ; =>This Loop Header: Depth=1
                                        ;     Child Loop BB22_14 Depth 2
	v_dual_mov_b32 v16, s7 :: v_dual_add_nc_u32 v19, v6, v0
	v_dual_mov_b32 v15, s6 :: v_dual_mov_b32 v6, v2
	s_mov_b32 s26, exec_lo
	ds_store_b8 v24, v5 offset:4096
	ds_store_2addr_b32 v38, v5, v5 offset1:4
	ds_store_2addr_b32 v38, v5, v5 offset0:8 offset1:12
	s_waitcnt lgkmcnt(0)
	buffer_gl0_inv
	v_cmpx_lt_i32_e64 v19, v2
	s_cbranch_execz .LBB22_23
; %bb.12:                               ;   in Loop: Header=BB22_11 Depth=1
	v_mad_u64_u32 v[21:22], null, v17, s8, 0
	v_dual_mov_b32 v16, s7 :: v_dual_mov_b32 v15, s6
	v_mov_b32_e32 v4, v2
	s_mov_b32 s27, 0
	s_branch .LBB22_14
.LBB22_13:                              ;   in Loop: Header=BB22_14 Depth=2
	s_or_b32 exec_lo, exec_lo, s3
	s_delay_alu instid0(VALU_DEP_1) | instskip(SKIP_1) | instid1(VALU_DEP_1)
	v_dual_mov_b32 v4, v6 :: v_dual_add_nc_u32 v19, 4, v19
	s_xor_b32 s3, vcc_lo, -1
	v_cmp_ge_i32_e64 s0, v19, v2
	s_delay_alu instid0(VALU_DEP_1) | instskip(NEXT) | instid1(SALU_CYCLE_1)
	s_or_b32 s0, s3, s0
	s_and_b32 s0, exec_lo, s0
	s_delay_alu instid0(SALU_CYCLE_1) | instskip(NEXT) | instid1(SALU_CYCLE_1)
	s_or_b32 s27, s0, s27
	s_and_not1_b32 exec_lo, exec_lo, s27
	s_cbranch_execz .LBB22_22
.LBB22_14:                              ;   Parent Loop BB22_11 Depth=1
                                        ; =>  This Inner Loop Header: Depth=2
	v_ashrrev_i32_e32 v20, 31, v19
	s_mov_b32 s0, exec_lo
	s_delay_alu instid0(VALU_DEP_1) | instskip(NEXT) | instid1(VALU_DEP_1)
	v_lshlrev_b64 v[22:23], 3, v[19:20]
	v_add_co_u32 v22, vcc_lo, s10, v22
	s_delay_alu instid0(VALU_DEP_2) | instskip(SKIP_4) | instid1(VALU_DEP_1)
	v_add_co_ci_u32_e32 v23, vcc_lo, s11, v23, vcc_lo
	global_load_b64 v[22:23], v[22:23], off
	s_waitcnt vmcnt(0)
	v_sub_co_u32 v40, vcc_lo, v22, s16
	v_subrev_co_ci_u32_e32 v41, vcc_lo, 0, v23, vcc_lo
                                        ; implicit-def: $vgpr22_vgpr23
	v_or_b32_e32 v6, s9, v41
	s_delay_alu instid0(VALU_DEP_1)
	v_cmpx_ne_u64_e32 0, v[5:6]
	s_xor_b32 s28, exec_lo, s0
	s_cbranch_execz .LBB22_16
; %bb.15:                               ;   in Loop: Header=BB22_14 Depth=2
	s_add_u32 s14, s8, s2
	s_mov_b32 s3, s2
	s_addc_u32 s15, s9, s2
	s_delay_alu instid0(SALU_CYCLE_1) | instskip(NEXT) | instid1(SALU_CYCLE_1)
	s_xor_b64 s[14:15], s[14:15], s[2:3]
	v_cvt_f32_u32_e32 v6, s14
	v_cvt_f32_u32_e32 v22, s15
	s_sub_u32 s0, 0, s14
	s_subb_u32 s3, 0, s15
	s_delay_alu instid0(VALU_DEP_1) | instskip(NEXT) | instid1(VALU_DEP_1)
	v_fmac_f32_e32 v6, 0x4f800000, v22
	v_rcp_f32_e32 v6, v6
	s_waitcnt_depctr 0xfff
	v_mul_f32_e32 v6, 0x5f7ffffc, v6
	s_delay_alu instid0(VALU_DEP_1) | instskip(NEXT) | instid1(VALU_DEP_1)
	v_mul_f32_e32 v22, 0x2f800000, v6
	v_trunc_f32_e32 v22, v22
	s_delay_alu instid0(VALU_DEP_1) | instskip(SKIP_1) | instid1(VALU_DEP_2)
	v_fmac_f32_e32 v6, 0xcf800000, v22
	v_cvt_u32_f32_e32 v22, v22
	v_cvt_u32_f32_e32 v6, v6
	s_delay_alu instid0(VALU_DEP_2) | instskip(NEXT) | instid1(VALU_DEP_2)
	v_mul_lo_u32 v23, s0, v22
	v_mul_hi_u32 v42, s0, v6
	v_mul_lo_u32 v43, s3, v6
	s_delay_alu instid0(VALU_DEP_2) | instskip(SKIP_1) | instid1(VALU_DEP_2)
	v_add_nc_u32_e32 v23, v42, v23
	v_mul_lo_u32 v42, s0, v6
	v_add_nc_u32_e32 v23, v23, v43
	s_delay_alu instid0(VALU_DEP_2) | instskip(NEXT) | instid1(VALU_DEP_2)
	v_mul_hi_u32 v43, v6, v42
	v_mul_lo_u32 v44, v6, v23
	v_mul_hi_u32 v45, v6, v23
	v_mul_hi_u32 v46, v22, v42
	v_mul_lo_u32 v42, v22, v42
	v_mul_hi_u32 v47, v22, v23
	v_mul_lo_u32 v23, v22, v23
	v_add_co_u32 v43, vcc_lo, v43, v44
	v_add_co_ci_u32_e32 v44, vcc_lo, 0, v45, vcc_lo
	s_delay_alu instid0(VALU_DEP_2) | instskip(NEXT) | instid1(VALU_DEP_2)
	v_add_co_u32 v42, vcc_lo, v43, v42
	v_add_co_ci_u32_e32 v42, vcc_lo, v44, v46, vcc_lo
	v_add_co_ci_u32_e32 v43, vcc_lo, 0, v47, vcc_lo
	v_ashrrev_i32_e32 v46, 31, v41
	s_delay_alu instid0(VALU_DEP_3) | instskip(NEXT) | instid1(VALU_DEP_3)
	v_add_co_u32 v23, vcc_lo, v42, v23
	v_add_co_ci_u32_e32 v42, vcc_lo, 0, v43, vcc_lo
	s_delay_alu instid0(VALU_DEP_2) | instskip(NEXT) | instid1(VALU_DEP_2)
	v_add_co_u32 v6, vcc_lo, v6, v23
	v_add_co_ci_u32_e32 v22, vcc_lo, v22, v42, vcc_lo
	s_delay_alu instid0(VALU_DEP_2) | instskip(SKIP_1) | instid1(VALU_DEP_3)
	v_mul_hi_u32 v23, s0, v6
	v_mul_lo_u32 v43, s3, v6
	v_mul_lo_u32 v42, s0, v22
	s_delay_alu instid0(VALU_DEP_1) | instskip(SKIP_1) | instid1(VALU_DEP_2)
	v_add_nc_u32_e32 v23, v23, v42
	v_mul_lo_u32 v42, s0, v6
	v_add_nc_u32_e32 v23, v23, v43
	s_delay_alu instid0(VALU_DEP_2) | instskip(NEXT) | instid1(VALU_DEP_2)
	v_mul_hi_u32 v43, v6, v42
	v_mul_lo_u32 v44, v6, v23
	v_mul_hi_u32 v45, v6, v23
	v_mul_hi_u32 v47, v22, v42
	v_mul_lo_u32 v42, v22, v42
	v_mul_hi_u32 v48, v22, v23
	v_mul_lo_u32 v23, v22, v23
	v_add_co_u32 v43, vcc_lo, v43, v44
	v_add_co_ci_u32_e32 v44, vcc_lo, 0, v45, vcc_lo
	s_delay_alu instid0(VALU_DEP_2) | instskip(NEXT) | instid1(VALU_DEP_2)
	v_add_co_u32 v42, vcc_lo, v43, v42
	v_add_co_ci_u32_e32 v42, vcc_lo, v44, v47, vcc_lo
	v_add_co_ci_u32_e32 v43, vcc_lo, 0, v48, vcc_lo
	v_add_co_u32 v44, vcc_lo, v40, v46
	v_add_co_ci_u32_e32 v41, vcc_lo, v41, v46, vcc_lo
	s_delay_alu instid0(VALU_DEP_4) | instskip(NEXT) | instid1(VALU_DEP_4)
	v_add_co_u32 v23, vcc_lo, v42, v23
	v_add_co_ci_u32_e32 v42, vcc_lo, 0, v43, vcc_lo
	s_delay_alu instid0(VALU_DEP_4) | instskip(NEXT) | instid1(VALU_DEP_3)
	v_xor_b32_e32 v45, v44, v46
	v_add_co_u32 v6, vcc_lo, v6, v23
	s_delay_alu instid0(VALU_DEP_3) | instskip(SKIP_1) | instid1(VALU_DEP_3)
	v_add_co_ci_u32_e32 v47, vcc_lo, v22, v42, vcc_lo
	v_xor_b32_e32 v48, v41, v46
	v_mul_hi_u32 v49, v45, v6
	s_delay_alu instid0(VALU_DEP_3) | instskip(NEXT) | instid1(VALU_DEP_3)
	v_mad_u64_u32 v[22:23], null, v45, v47, 0
	v_mad_u64_u32 v[41:42], null, v48, v6, 0
	;; [unrolled: 1-line block ×3, first 2 shown]
	s_delay_alu instid0(VALU_DEP_3) | instskip(NEXT) | instid1(VALU_DEP_4)
	v_add_co_u32 v6, vcc_lo, v49, v22
	v_add_co_ci_u32_e32 v22, vcc_lo, 0, v23, vcc_lo
	s_delay_alu instid0(VALU_DEP_2) | instskip(NEXT) | instid1(VALU_DEP_2)
	v_add_co_u32 v6, vcc_lo, v6, v41
	v_add_co_ci_u32_e32 v6, vcc_lo, v22, v42, vcc_lo
	v_add_co_ci_u32_e32 v22, vcc_lo, 0, v44, vcc_lo
	s_delay_alu instid0(VALU_DEP_2) | instskip(NEXT) | instid1(VALU_DEP_2)
	v_add_co_u32 v6, vcc_lo, v6, v43
	v_add_co_ci_u32_e32 v41, vcc_lo, 0, v22, vcc_lo
	s_delay_alu instid0(VALU_DEP_2) | instskip(SKIP_1) | instid1(VALU_DEP_3)
	v_mul_lo_u32 v42, s15, v6
	v_mad_u64_u32 v[22:23], null, s14, v6, 0
	v_mul_lo_u32 v43, s14, v41
	s_delay_alu instid0(VALU_DEP_2) | instskip(NEXT) | instid1(VALU_DEP_2)
	v_sub_co_u32 v22, vcc_lo, v45, v22
	v_add3_u32 v23, v23, v43, v42
	s_delay_alu instid0(VALU_DEP_1) | instskip(NEXT) | instid1(VALU_DEP_1)
	v_sub_nc_u32_e32 v42, v48, v23
	v_subrev_co_ci_u32_e64 v42, s0, s15, v42, vcc_lo
	v_add_co_u32 v43, s0, v6, 2
	s_delay_alu instid0(VALU_DEP_1) | instskip(SKIP_3) | instid1(VALU_DEP_3)
	v_add_co_ci_u32_e64 v44, s0, 0, v41, s0
	v_sub_co_u32 v45, s0, v22, s14
	v_sub_co_ci_u32_e32 v23, vcc_lo, v48, v23, vcc_lo
	v_subrev_co_ci_u32_e64 v42, s0, 0, v42, s0
	v_cmp_le_u32_e32 vcc_lo, s14, v45
	s_delay_alu instid0(VALU_DEP_3) | instskip(SKIP_1) | instid1(VALU_DEP_4)
	v_cmp_eq_u32_e64 s0, s15, v23
	v_cndmask_b32_e64 v45, 0, -1, vcc_lo
	v_cmp_le_u32_e32 vcc_lo, s15, v42
	v_cndmask_b32_e64 v47, 0, -1, vcc_lo
	v_cmp_le_u32_e32 vcc_lo, s14, v22
	;; [unrolled: 2-line block ×3, first 2 shown]
	v_cndmask_b32_e64 v48, 0, -1, vcc_lo
	v_cmp_eq_u32_e32 vcc_lo, s15, v42
	s_delay_alu instid0(VALU_DEP_2) | instskip(SKIP_3) | instid1(VALU_DEP_3)
	v_cndmask_b32_e64 v22, v48, v22, s0
	v_cndmask_b32_e32 v42, v47, v45, vcc_lo
	v_add_co_u32 v45, vcc_lo, v6, 1
	v_add_co_ci_u32_e32 v47, vcc_lo, 0, v41, vcc_lo
	v_cmp_ne_u32_e32 vcc_lo, 0, v42
	s_delay_alu instid0(VALU_DEP_2) | instskip(SKIP_2) | instid1(VALU_DEP_3)
	v_dual_cndmask_b32 v42, v45, v43 :: v_dual_cndmask_b32 v23, v47, v44
	v_cmp_ne_u32_e32 vcc_lo, 0, v22
	v_xor_b32_e32 v43, s2, v46
	v_cndmask_b32_e32 v6, v6, v42, vcc_lo
	s_delay_alu instid0(VALU_DEP_4) | instskip(NEXT) | instid1(VALU_DEP_2)
	v_cndmask_b32_e32 v22, v41, v23, vcc_lo
	v_xor_b32_e32 v6, v6, v43
	s_delay_alu instid0(VALU_DEP_2) | instskip(NEXT) | instid1(VALU_DEP_2)
	v_xor_b32_e32 v23, v22, v43
	v_sub_co_u32 v22, vcc_lo, v6, v43
	s_delay_alu instid0(VALU_DEP_2)
	v_sub_co_ci_u32_e32 v23, vcc_lo, v23, v43, vcc_lo
.LBB22_16:                              ;   in Loop: Header=BB22_14 Depth=2
	s_and_not1_saveexec_b32 s0, s28
	s_cbranch_execz .LBB22_18
; %bb.17:                               ;   in Loop: Header=BB22_14 Depth=2
	v_cvt_f32_u32_e32 v6, s8
	s_delay_alu instid0(VALU_DEP_1) | instskip(SKIP_2) | instid1(VALU_DEP_1)
	v_rcp_iflag_f32_e32 v6, v6
	s_waitcnt_depctr 0xfff
	v_mul_f32_e32 v6, 0x4f7ffffe, v6
	v_cvt_u32_f32_e32 v6, v6
	s_delay_alu instid0(VALU_DEP_1) | instskip(NEXT) | instid1(VALU_DEP_1)
	v_mul_lo_u32 v22, s25, v6
	v_mul_hi_u32 v22, v6, v22
	s_delay_alu instid0(VALU_DEP_1) | instskip(NEXT) | instid1(VALU_DEP_1)
	v_add_nc_u32_e32 v6, v6, v22
	v_mul_hi_u32 v6, v40, v6
	s_delay_alu instid0(VALU_DEP_1) | instskip(NEXT) | instid1(VALU_DEP_1)
	v_mul_lo_u32 v22, v6, s8
	v_sub_nc_u32_e32 v22, v40, v22
	s_delay_alu instid0(VALU_DEP_1) | instskip(SKIP_1) | instid1(VALU_DEP_2)
	v_subrev_nc_u32_e32 v41, s8, v22
	v_cmp_le_u32_e32 vcc_lo, s8, v22
	v_dual_cndmask_b32 v22, v22, v41 :: v_dual_add_nc_u32 v23, 1, v6
	s_delay_alu instid0(VALU_DEP_1) | instskip(NEXT) | instid1(VALU_DEP_2)
	v_cndmask_b32_e32 v6, v6, v23, vcc_lo
	v_cmp_le_u32_e32 vcc_lo, s8, v22
	s_delay_alu instid0(VALU_DEP_2) | instskip(NEXT) | instid1(VALU_DEP_1)
	v_add_nc_u32_e32 v23, 1, v6
	v_dual_cndmask_b32 v22, v6, v23 :: v_dual_mov_b32 v23, v5
.LBB22_18:                              ;   in Loop: Header=BB22_14 Depth=2
	s_or_b32 exec_lo, exec_lo, s0
	s_delay_alu instid0(VALU_DEP_1)
	v_cmp_eq_u64_e32 vcc_lo, v[22:23], v[17:18]
	s_mov_b32 s3, exec_lo
	v_cmpx_ne_u64_e64 v[22:23], v[17:18]
	s_xor_b32 s3, exec_lo, s3
; %bb.19:                               ;   in Loop: Header=BB22_14 Depth=2
	v_cmp_lt_i64_e64 s0, v[22:23], v[15:16]
                                        ; implicit-def: $vgpr40
                                        ; implicit-def: $vgpr4
	s_delay_alu instid0(VALU_DEP_1)
	v_cndmask_b32_e64 v16, v16, v23, s0
	v_cndmask_b32_e64 v15, v15, v22, s0
; %bb.20:                               ;   in Loop: Header=BB22_14 Depth=2
	s_or_saveexec_b32 s3, s3
	v_mov_b32_e32 v6, v19
	s_xor_b32 exec_lo, exec_lo, s3
	s_cbranch_execz .LBB22_13
; %bb.21:                               ;   in Loop: Header=BB22_14 Depth=2
	v_lshlrev_b64 v[22:23], 2, v[19:20]
	v_sub_nc_u32_e32 v6, v40, v21
	s_delay_alu instid0(VALU_DEP_2) | instskip(NEXT) | instid1(VALU_DEP_1)
	v_add_co_u32 v22, s0, s12, v22
	v_add_co_ci_u32_e64 v23, s0, s13, v23, s0
	global_load_b32 v20, v[22:23], off
	v_add_lshl_u32 v22, v27, v6, 2
	v_mov_b32_e32 v6, v4
	ds_store_b8 v24, v1 offset:4096
	s_waitcnt vmcnt(0)
	ds_store_b32 v22, v20
	s_branch .LBB22_13
.LBB22_22:                              ;   in Loop: Header=BB22_11 Depth=1
	s_or_b32 exec_lo, exec_lo, s27
.LBB22_23:                              ;   in Loop: Header=BB22_11 Depth=1
	s_delay_alu instid0(SALU_CYCLE_1)
	s_or_b32 exec_lo, exec_lo, s26
	ds_bpermute_b32 v4, v28, v6
	s_waitcnt lgkmcnt(0)
	buffer_gl0_inv
	ds_load_u8 v17, v24 offset:4096
	v_mov_b32_e32 v20, 0
	s_mov_b32 s0, exec_lo
	v_min_i32_e32 v4, v4, v6
	ds_bpermute_b32 v6, v29, v4
	s_waitcnt lgkmcnt(0)
	v_min_i32_e32 v4, v6, v4
	ds_bpermute_b32 v6, v30, v4
	v_and_b32_e32 v4, 1, v17
	s_delay_alu instid0(VALU_DEP_1)
	v_cmpx_eq_u32_e32 1, v4
	s_cbranch_execz .LBB22_10
; %bb.24:                               ;   in Loop: Header=BB22_11 Depth=1
	v_ashrrev_i32_e32 v4, 31, v3
	v_mul_lo_u32 v19, s18, v3
	v_mad_u64_u32 v[17:18], null, s19, v3, 0
	v_add_nc_u32_e32 v20, s17, v39
	s_delay_alu instid0(VALU_DEP_4) | instskip(SKIP_1) | instid1(VALU_DEP_1)
	v_mul_lo_u32 v21, s19, v4
	v_lshlrev_b64 v[22:23], 3, v[3:4]
	v_add_co_u32 v22, vcc_lo, s4, v22
	s_delay_alu instid0(VALU_DEP_3) | instskip(NEXT) | instid1(VALU_DEP_3)
	v_add3_u32 v18, v18, v21, v19
	v_add_co_ci_u32_e32 v23, vcc_lo, s5, v23, vcc_lo
	v_ashrrev_i32_e32 v21, 31, v20
	s_delay_alu instid0(VALU_DEP_3)
	v_lshlrev_b64 v[39:40], 2, v[17:18]
	global_store_b64 v[22:23], v[20:21], off
	v_add_co_u32 v18, vcc_lo, v25, v39
	v_add_co_ci_u32_e32 v19, vcc_lo, v26, v40, vcc_lo
	v_add_co_u32 v4, vcc_lo, v31, v39
	v_add_co_ci_u32_e32 v17, vcc_lo, v32, v40, vcc_lo
	s_and_saveexec_b32 s3, s22
	s_cbranch_execz .LBB22_28
; %bb.25:                               ;   in Loop: Header=BB22_11 Depth=1
	s_and_b32 vcc_lo, exec_lo, s21
	s_cbranch_vccz .LBB22_39
; %bb.26:                               ;   in Loop: Header=BB22_11 Depth=1
	ds_load_b32 v22, v38
	v_add_co_u32 v20, vcc_lo, v18, v7
	v_add_co_ci_u32_e32 v21, vcc_lo, v19, v8, vcc_lo
	s_waitcnt lgkmcnt(0)
	global_store_b32 v[20:21], v22, off
	s_cbranch_execnz .LBB22_28
.LBB22_27:                              ;   in Loop: Header=BB22_11 Depth=1
	ds_load_b32 v22, v38
	v_lshlrev_b32_e32 v20, 2, v0
	s_delay_alu instid0(VALU_DEP_1)
	v_add_co_u32 v20, vcc_lo, v4, v20
	v_add_co_ci_u32_e32 v21, vcc_lo, 0, v17, vcc_lo
	s_waitcnt lgkmcnt(0)
	global_store_b32 v[20:21], v22, off
.LBB22_28:                              ;   in Loop: Header=BB22_11 Depth=1
	s_or_b32 exec_lo, exec_lo, s3
	s_and_saveexec_b32 s3, s23
	s_cbranch_execz .LBB22_32
; %bb.29:                               ;   in Loop: Header=BB22_11 Depth=1
	s_and_not1_b32 vcc_lo, exec_lo, s21
	s_cbranch_vccnz .LBB22_40
; %bb.30:                               ;   in Loop: Header=BB22_11 Depth=1
	ds_load_b32 v22, v38 offset:16
	v_add_co_u32 v20, vcc_lo, v18, v9
	v_add_co_ci_u32_e32 v21, vcc_lo, v19, v10, vcc_lo
	s_waitcnt lgkmcnt(0)
	global_store_b32 v[20:21], v22, off
	s_cbranch_execnz .LBB22_32
.LBB22_31:                              ;   in Loop: Header=BB22_11 Depth=1
	ds_load_b32 v22, v38 offset:16
	v_lshlrev_b32_e32 v20, 2, v0
	s_delay_alu instid0(VALU_DEP_1)
	v_add_co_u32 v20, vcc_lo, v4, v20
	v_add_co_ci_u32_e32 v21, vcc_lo, 0, v17, vcc_lo
	s_waitcnt lgkmcnt(0)
	global_store_b32 v[20:21], v22, off offset:16
.LBB22_32:                              ;   in Loop: Header=BB22_11 Depth=1
	s_or_b32 exec_lo, exec_lo, s3
	s_and_saveexec_b32 s3, s1
	s_cbranch_execz .LBB22_36
; %bb.33:                               ;   in Loop: Header=BB22_11 Depth=1
	s_and_not1_b32 vcc_lo, exec_lo, s21
	s_cbranch_vccnz .LBB22_41
; %bb.34:                               ;   in Loop: Header=BB22_11 Depth=1
	ds_load_b32 v22, v38 offset:32
	v_add_co_u32 v20, vcc_lo, v18, v11
	v_add_co_ci_u32_e32 v21, vcc_lo, v19, v12, vcc_lo
	s_waitcnt lgkmcnt(0)
	global_store_b32 v[20:21], v22, off
	s_cbranch_execnz .LBB22_36
.LBB22_35:                              ;   in Loop: Header=BB22_11 Depth=1
	ds_load_b32 v22, v38 offset:32
	v_lshlrev_b32_e32 v20, 2, v0
	s_delay_alu instid0(VALU_DEP_1)
	v_add_co_u32 v20, vcc_lo, v4, v20
	v_add_co_ci_u32_e32 v21, vcc_lo, 0, v17, vcc_lo
	s_waitcnt lgkmcnt(0)
	global_store_b32 v[20:21], v22, off offset:32
.LBB22_36:                              ;   in Loop: Header=BB22_11 Depth=1
	s_or_b32 exec_lo, exec_lo, s3
	v_mov_b32_e32 v20, 1
	s_and_saveexec_b32 s3, s24
	s_cbranch_execz .LBB22_9
; %bb.37:                               ;   in Loop: Header=BB22_11 Depth=1
	s_and_not1_b32 vcc_lo, exec_lo, s21
	s_cbranch_vccnz .LBB22_42
; %bb.38:                               ;   in Loop: Header=BB22_11 Depth=1
	ds_load_b32 v20, v38 offset:48
	v_add_co_u32 v18, vcc_lo, v18, v13
	v_add_co_ci_u32_e32 v19, vcc_lo, v19, v14, vcc_lo
	s_mov_b32 s14, 1
	s_waitcnt lgkmcnt(0)
	global_store_b32 v[18:19], v20, off
	s_cbranch_execnz .LBB22_8
	s_branch .LBB22_43
.LBB22_39:                              ;   in Loop: Header=BB22_11 Depth=1
	s_branch .LBB22_27
.LBB22_40:                              ;   in Loop: Header=BB22_11 Depth=1
	s_branch .LBB22_31
.LBB22_41:                              ;   in Loop: Header=BB22_11 Depth=1
	s_branch .LBB22_35
.LBB22_42:                              ;   in Loop: Header=BB22_11 Depth=1
                                        ; implicit-def: $sgpr14
.LBB22_43:                              ;   in Loop: Header=BB22_11 Depth=1
	ds_load_b32 v20, v38 offset:48
	v_lshlrev_b32_e32 v18, 2, v0
	s_mov_b32 s14, 1
	s_delay_alu instid0(VALU_DEP_1)
	v_add_co_u32 v18, vcc_lo, v4, v18
	v_add_co_ci_u32_e32 v19, vcc_lo, 0, v17, vcc_lo
	s_waitcnt lgkmcnt(0)
	global_store_b32 v[18:19], v20, off offset:48
	s_branch .LBB22_8
.LBB22_44:
	s_endpgm
	.section	.rodata,"a",@progbits
	.p2align	6, 0x0
	.amdhsa_kernel _ZN9rocsparseL42csr2bsr_wavefront_per_row_multipass_kernelILj256ELj64ELj16EiilEEv20rocsparse_direction_T4_S2_S2_S2_S2_21rocsparse_index_base_PKT2_PKT3_PKS2_S3_PS4_PS7_PS2_
		.amdhsa_group_segment_fixed_size 4100
		.amdhsa_private_segment_fixed_size 0
		.amdhsa_kernarg_size 112
		.amdhsa_user_sgpr_count 15
		.amdhsa_user_sgpr_dispatch_ptr 0
		.amdhsa_user_sgpr_queue_ptr 0
		.amdhsa_user_sgpr_kernarg_segment_ptr 1
		.amdhsa_user_sgpr_dispatch_id 0
		.amdhsa_user_sgpr_private_segment_size 0
		.amdhsa_wavefront_size32 1
		.amdhsa_uses_dynamic_stack 0
		.amdhsa_enable_private_segment 0
		.amdhsa_system_sgpr_workgroup_id_x 1
		.amdhsa_system_sgpr_workgroup_id_y 0
		.amdhsa_system_sgpr_workgroup_id_z 0
		.amdhsa_system_sgpr_workgroup_info 0
		.amdhsa_system_vgpr_workitem_id 0
		.amdhsa_next_free_vgpr 50
		.amdhsa_next_free_sgpr 29
		.amdhsa_reserve_vcc 1
		.amdhsa_float_round_mode_32 0
		.amdhsa_float_round_mode_16_64 0
		.amdhsa_float_denorm_mode_32 3
		.amdhsa_float_denorm_mode_16_64 3
		.amdhsa_dx10_clamp 1
		.amdhsa_ieee_mode 1
		.amdhsa_fp16_overflow 0
		.amdhsa_workgroup_processor_mode 1
		.amdhsa_memory_ordered 1
		.amdhsa_forward_progress 0
		.amdhsa_shared_vgpr_count 0
		.amdhsa_exception_fp_ieee_invalid_op 0
		.amdhsa_exception_fp_denorm_src 0
		.amdhsa_exception_fp_ieee_div_zero 0
		.amdhsa_exception_fp_ieee_overflow 0
		.amdhsa_exception_fp_ieee_underflow 0
		.amdhsa_exception_fp_ieee_inexact 0
		.amdhsa_exception_int_div_zero 0
	.end_amdhsa_kernel
	.section	.text._ZN9rocsparseL42csr2bsr_wavefront_per_row_multipass_kernelILj256ELj64ELj16EiilEEv20rocsparse_direction_T4_S2_S2_S2_S2_21rocsparse_index_base_PKT2_PKT3_PKS2_S3_PS4_PS7_PS2_,"axG",@progbits,_ZN9rocsparseL42csr2bsr_wavefront_per_row_multipass_kernelILj256ELj64ELj16EiilEEv20rocsparse_direction_T4_S2_S2_S2_S2_21rocsparse_index_base_PKT2_PKT3_PKS2_S3_PS4_PS7_PS2_,comdat
.Lfunc_end22:
	.size	_ZN9rocsparseL42csr2bsr_wavefront_per_row_multipass_kernelILj256ELj64ELj16EiilEEv20rocsparse_direction_T4_S2_S2_S2_S2_21rocsparse_index_base_PKT2_PKT3_PKS2_S3_PS4_PS7_PS2_, .Lfunc_end22-_ZN9rocsparseL42csr2bsr_wavefront_per_row_multipass_kernelILj256ELj64ELj16EiilEEv20rocsparse_direction_T4_S2_S2_S2_S2_21rocsparse_index_base_PKT2_PKT3_PKS2_S3_PS4_PS7_PS2_
                                        ; -- End function
	.section	.AMDGPU.csdata,"",@progbits
; Kernel info:
; codeLenInByte = 3128
; NumSgprs: 31
; NumVgprs: 50
; ScratchSize: 0
; MemoryBound: 0
; FloatMode: 240
; IeeeMode: 1
; LDSByteSize: 4100 bytes/workgroup (compile time only)
; SGPRBlocks: 3
; VGPRBlocks: 6
; NumSGPRsForWavesPerEU: 31
; NumVGPRsForWavesPerEU: 50
; Occupancy: 16
; WaveLimiterHint : 0
; COMPUTE_PGM_RSRC2:SCRATCH_EN: 0
; COMPUTE_PGM_RSRC2:USER_SGPR: 15
; COMPUTE_PGM_RSRC2:TRAP_HANDLER: 0
; COMPUTE_PGM_RSRC2:TGID_X_EN: 1
; COMPUTE_PGM_RSRC2:TGID_Y_EN: 0
; COMPUTE_PGM_RSRC2:TGID_Z_EN: 0
; COMPUTE_PGM_RSRC2:TIDIG_COMP_CNT: 0
	.section	.text._ZN9rocsparseL42csr2bsr_wavefront_per_row_multipass_kernelILj256ELj32ELj16EiilEEv20rocsparse_direction_T4_S2_S2_S2_S2_21rocsparse_index_base_PKT2_PKT3_PKS2_S3_PS4_PS7_PS2_,"axG",@progbits,_ZN9rocsparseL42csr2bsr_wavefront_per_row_multipass_kernelILj256ELj32ELj16EiilEEv20rocsparse_direction_T4_S2_S2_S2_S2_21rocsparse_index_base_PKT2_PKT3_PKS2_S3_PS4_PS7_PS2_,comdat
	.globl	_ZN9rocsparseL42csr2bsr_wavefront_per_row_multipass_kernelILj256ELj32ELj16EiilEEv20rocsparse_direction_T4_S2_S2_S2_S2_21rocsparse_index_base_PKT2_PKT3_PKS2_S3_PS4_PS7_PS2_ ; -- Begin function _ZN9rocsparseL42csr2bsr_wavefront_per_row_multipass_kernelILj256ELj32ELj16EiilEEv20rocsparse_direction_T4_S2_S2_S2_S2_21rocsparse_index_base_PKT2_PKT3_PKS2_S3_PS4_PS7_PS2_
	.p2align	8
	.type	_ZN9rocsparseL42csr2bsr_wavefront_per_row_multipass_kernelILj256ELj32ELj16EiilEEv20rocsparse_direction_T4_S2_S2_S2_S2_21rocsparse_index_base_PKT2_PKT3_PKS2_S3_PS4_PS7_PS2_,@function
_ZN9rocsparseL42csr2bsr_wavefront_per_row_multipass_kernelILj256ELj32ELj16EiilEEv20rocsparse_direction_T4_S2_S2_S2_S2_21rocsparse_index_base_PKT2_PKT3_PKS2_S3_PS4_PS7_PS2_: ; @_ZN9rocsparseL42csr2bsr_wavefront_per_row_multipass_kernelILj256ELj32ELj16EiilEEv20rocsparse_direction_T4_S2_S2_S2_S2_21rocsparse_index_base_PKT2_PKT3_PKS2_S3_PS4_PS7_PS2_
; %bb.0:
	s_load_b64 s[12:13], s[0:1], 0x28
	v_lshrrev_b32_e32 v32, 5, v0
	s_mov_b32 s4, s15
	s_ashr_i32 s5, s15, 31
	s_clause 0x1
	s_load_b64 s[14:15], s[0:1], 0x8
	s_load_b128 s[8:11], s[0:1], 0x18
	s_lshl_b64 s[2:3], s[4:5], 3
	v_mov_b32_e32 v2, 0
	v_or_b32_e32 v5, s2, v32
	v_bfe_u32 v1, v0, 1, 4
	s_clause 0x1
	s_load_b32 s18, s[0:1], 0x30
	s_load_b64 s[6:7], s[0:1], 0x40
	s_waitcnt lgkmcnt(0)
	v_mul_lo_u32 v6, v5, s13
	v_mad_u64_u32 v[3:4], null, v5, s12, v[1:2]
	s_mul_i32 s2, s3, s12
	s_delay_alu instid0(VALU_DEP_1) | instid1(SALU_CYCLE_1)
	v_add3_u32 v4, s2, v4, v6
	v_cmp_gt_i64_e64 s2, s[12:13], v[1:2]
	v_mov_b32_e32 v6, v2
	s_delay_alu instid0(VALU_DEP_3) | instskip(NEXT) | instid1(VALU_DEP_3)
	v_cmp_gt_i64_e32 vcc_lo, s[14:15], v[3:4]
	s_and_b32 s3, s2, vcc_lo
	s_delay_alu instid0(SALU_CYCLE_1)
	s_and_saveexec_b32 s5, s3
	s_cbranch_execz .LBB23_2
; %bb.1:
	v_lshlrev_b64 v[5:6], 2, v[3:4]
	s_delay_alu instid0(VALU_DEP_1) | instskip(NEXT) | instid1(VALU_DEP_2)
	v_add_co_u32 v5, vcc_lo, s6, v5
	v_add_co_ci_u32_e32 v6, vcc_lo, s7, v6, vcc_lo
	global_load_b32 v5, v[5:6], off
	s_waitcnt vmcnt(0)
	v_subrev_nc_u32_e32 v6, s18, v5
.LBB23_2:
	s_or_b32 exec_lo, exec_lo, s5
	s_and_saveexec_b32 s5, s3
	s_cbranch_execz .LBB23_4
; %bb.3:
	v_lshlrev_b64 v[2:3], 2, v[3:4]
	s_delay_alu instid0(VALU_DEP_1) | instskip(NEXT) | instid1(VALU_DEP_2)
	v_add_co_u32 v2, vcc_lo, s6, v2
	v_add_co_ci_u32_e32 v3, vcc_lo, s7, v3, vcc_lo
	global_load_b32 v2, v[2:3], off offset:4
	s_waitcnt vmcnt(0)
	v_subrev_nc_u32_e32 v2, s18, v2
.LBB23_4:
	s_or_b32 exec_lo, exec_lo, s5
	s_load_b32 s19, s[0:1], 0x50
	v_mov_b32_e32 v5, 0
	v_lshl_or_b32 v4, s4, 3, v32
	s_mov_b32 s3, exec_lo
	s_delay_alu instid0(VALU_DEP_2) | instskip(NEXT) | instid1(VALU_DEP_2)
	v_mov_b32_e32 v3, v5
	v_cmpx_gt_i64_e64 s[8:9], v[4:5]
	s_cbranch_execz .LBB23_6
; %bb.5:
	s_load_b64 s[4:5], s[0:1], 0x60
	v_lshlrev_b64 v[3:4], 2, v[4:5]
	s_waitcnt lgkmcnt(0)
	s_delay_alu instid0(VALU_DEP_1) | instskip(NEXT) | instid1(VALU_DEP_2)
	v_add_co_u32 v3, vcc_lo, s4, v3
	v_add_co_ci_u32_e32 v4, vcc_lo, s5, v4, vcc_lo
	global_load_b32 v3, v[3:4], off
	s_waitcnt vmcnt(0)
	v_subrev_nc_u32_e32 v3, s19, v3
.LBB23_6:
	s_or_b32 exec_lo, exec_lo, s3
	v_cmp_lt_i64_e64 s3, s[10:11], 1
	s_delay_alu instid0(VALU_DEP_1)
	s_and_b32 vcc_lo, exec_lo, s3
	s_cbranch_vccnz .LBB23_64
; %bb.7:
	v_mad_u64_u32 v[7:8], null, v1, s12, 0
	s_mul_i32 s3, s12, s13
	s_mul_hi_u32 s4, s12, s12
	v_mbcnt_lo_u32_b32 v10, -1, 0
	s_add_i32 s6, s4, s3
	s_clause 0x1
	s_load_b64 s[4:5], s[0:1], 0x58
	s_load_b64 s[8:9], s[0:1], 0x68
	v_dual_mov_b32 v44, 0x7c :: v_dual_lshlrev_b32 v11, 8, v32
	v_mov_b32_e32 v4, v8
	s_clause 0x2
	s_load_b64 s[14:15], s[0:1], 0x48
	s_load_b64 s[16:17], s[0:1], 0x38
	s_load_b32 s0, s[0:1], 0x0
	s_add_i32 s20, s6, s3
	v_lshl_or_b32 v35, v1, 4, v11
	v_lshl_or_b32 v37, v10, 2, 4
	v_mad_u64_u32 v[8:9], null, v1, s13, v[4:5]
	v_lshlrev_b32_e32 v9, 2, v1
	v_xor_b32_e32 v4, 1, v10
	v_xor_b32_e32 v1, 16, v10
	s_mul_i32 s21, s12, s12
	s_mov_b32 s22, 0
	s_delay_alu instid0(VALU_DEP_2)
	v_cmp_gt_i32_e32 vcc_lo, 32, v4
	v_lshlrev_b64 v[7:8], 2, v[7:8]
	v_mov_b32_e32 v5, 0
	s_waitcnt lgkmcnt(0)
	v_add_co_u32 v33, s1, s4, v9
	v_cndmask_b32_e32 v4, v10, v4, vcc_lo
	v_add_co_ci_u32_e64 v34, null, s5, 0, s1
	v_add_co_u32 v38, vcc_lo, s4, v7
	v_add_co_ci_u32_e32 v39, vcc_lo, s5, v8, vcc_lo
	v_xor_b32_e32 v7, 4, v10
	v_lshlrev_b32_e32 v36, 2, v4
	v_xor_b32_e32 v4, 8, v10
	v_cmp_gt_i32_e32 vcc_lo, 32, v1
	v_and_b32_e32 v0, 1, v0
	v_xor_b32_e32 v8, 2, v10
	s_cmp_lg_u32 s0, 0
	v_dual_mov_b32 v14, v5 :: v_dual_cndmask_b32 v1, v10, v1
	v_cmp_gt_i32_e32 vcc_lo, 32, v4
	v_or_b32_e32 v13, 6, v0
	v_or_b32_e32 v9, 4, v0
	;; [unrolled: 1-line block ×3, first 2 shown]
	v_lshlrev_b32_e32 v40, 2, v1
	v_or_b32_e32 v1, v35, v0
	v_cndmask_b32_e32 v4, v10, v4, vcc_lo
	v_cmp_gt_i32_e32 vcc_lo, 32, v7
	v_mad_u64_u32 v[17:18], null, v13, s12, 0
	s_delay_alu instid0(VALU_DEP_4)
	v_lshlrev_b32_e32 v45, 2, v1
	v_mad_u64_u32 v[15:16], null, v9, s12, 0
	v_cndmask_b32_e32 v7, v10, v7, vcc_lo
	v_cmp_gt_i32_e32 vcc_lo, 32, v8
	v_mov_b32_e32 v1, v5
	v_lshlrev_b32_e32 v41, 2, v4
	v_cmp_gt_u64_e64 s3, s[12:13], v[13:14]
	v_lshlrev_b32_e32 v42, 2, v7
	v_or_b32_e32 v7, 2, v0
	v_cndmask_b32_e32 v8, v10, v8, vcc_lo
	v_cmp_gt_u64_e32 vcc_lo, s[12:13], v[0:1]
	v_mov_b32_e32 v4, v16
	v_mad_u64_u32 v[29:30], null, v25, s12, 0
	v_mad_u64_u32 v[11:12], null, v7, s12, 0
	v_dual_mov_b32 v8, v5 :: v_dual_lshlrev_b32 v43, 2, v8
	v_mul_lo_u32 v20, v0, s13
	v_mul_lo_u32 v19, v0, s12
	v_mov_b32_e32 v26, v5
	s_cselect_b32 s23, -1, 0
	v_mov_b32_e32 v1, v12
	v_cmp_gt_u64_e64 s0, s[12:13], v[7:8]
	s_and_b32 s24, s2, vcc_lo
	v_cmp_gt_u64_e64 s7, s[12:13], v[25:26]
	s_and_b32 s26, s2, s3
	v_mad_u64_u32 v[21:22], null, v7, s13, v[1:2]
	v_mad_u64_u32 v[22:23], null, v9, s13, v[4:5]
	v_or_b32_e32 v7, 8, v0
	v_mov_b32_e32 v1, v18
	s_and_b32 s25, s2, s0
	s_and_b32 s7, s2, s7
	s_delay_alu instid0(VALU_DEP_4)
	v_mov_b32_e32 v12, v21
	v_cmp_gt_u64_e64 s4, s[12:13], v[7:8]
	v_mov_b32_e32 v16, v22
	v_mad_u64_u32 v[21:22], null, v7, s12, 0
	v_mov_b32_e32 v10, v5
	v_mad_u64_u32 v[23:24], null, v13, s13, v[1:2]
	v_or_b32_e32 v13, 12, v0
	s_and_b32 s27, s2, s4
	s_sub_i32 s29, 0, s12
	s_delay_alu instid0(VALU_DEP_4)
	v_mov_b32_e32 v1, v22
	v_cmp_gt_u64_e64 s1, s[12:13], v[9:10]
	v_or_b32_e32 v9, 10, v0
	v_mov_b32_e32 v18, v23
	v_mad_u64_u32 v[27:28], null, v13, s12, 0
	v_mad_u64_u32 v[46:47], null, v7, s13, v[1:2]
	s_delay_alu instid0(VALU_DEP_4) | instskip(SKIP_2) | instid1(VALU_DEP_4)
	v_mad_u64_u32 v[23:24], null, v9, s12, 0
	v_cmp_gt_u64_e64 s5, s[12:13], v[9:10]
	s_and_b32 s1, s2, s1
	v_mov_b32_e32 v1, v28
	v_cmp_gt_u64_e64 s6, s[12:13], v[13:14]
	v_mov_b32_e32 v22, v46
	v_mov_b32_e32 v46, 0
	;; [unrolled: 1-line block ×3, first 2 shown]
	s_and_b32 s28, s2, s5
	s_delay_alu instid0(VALU_DEP_4) | instskip(SKIP_1) | instid1(VALU_DEP_1)
	s_and_b32 s6, s2, s6
	s_ashr_i32 s2, s13, 31
	v_mad_u64_u32 v[7:8], null, v9, s13, v[4:5]
	v_mov_b32_e32 v4, v30
	v_mad_u64_u32 v[30:31], null, v13, s13, v[1:2]
	v_lshlrev_b64 v[13:14], 2, v[17:18]
	v_mov_b32_e32 v1, 1
	s_delay_alu instid0(VALU_DEP_4)
	v_mad_u64_u32 v[47:48], null, v25, s13, v[4:5]
	v_dual_mov_b32 v24, v7 :: v_dual_mov_b32 v25, 0
	v_mov_b32_e32 v28, v30
	v_lshlrev_b64 v[7:8], 2, v[19:20]
	v_lshlrev_b64 v[9:10], 2, v[11:12]
	;; [unrolled: 1-line block ×3, first 2 shown]
	v_mov_b32_e32 v30, v47
	v_lshlrev_b64 v[15:16], 2, v[21:22]
	v_lshlrev_b64 v[17:18], 2, v[23:24]
	;; [unrolled: 1-line block ×3, first 2 shown]
	v_mov_b32_e32 v26, 0
	v_lshlrev_b64 v[21:22], 2, v[29:30]
	s_branch .LBB23_11
.LBB23_8:                               ;   in Loop: Header=BB23_11 Depth=1
	v_mov_b32_e32 v28, s4
.LBB23_9:                               ;   in Loop: Header=BB23_11 Depth=1
	s_or_b32 exec_lo, exec_lo, s3
.LBB23_10:                              ;   in Loop: Header=BB23_11 Depth=1
	s_delay_alu instid0(SALU_CYCLE_1)
	s_or_b32 exec_lo, exec_lo, s0
	ds_bpermute_b32 v25, v40, v23
	ds_bpermute_b32 v26, v40, v24
	s_waitcnt lgkmcnt(0)
	s_waitcnt_vscnt null, 0x0
	buffer_gl0_inv
	buffer_gl0_inv
	v_add_nc_u32_e32 v3, v28, v3
	v_cmp_lt_i64_e32 vcc_lo, v[25:26], v[23:24]
	v_dual_cndmask_b32 v24, v24, v26 :: v_dual_cndmask_b32 v23, v23, v25
	ds_bpermute_b32 v26, v41, v24
	ds_bpermute_b32 v25, v41, v23
	s_waitcnt lgkmcnt(0)
	v_cmp_lt_i64_e32 vcc_lo, v[25:26], v[23:24]
	v_dual_cndmask_b32 v24, v24, v26 :: v_dual_cndmask_b32 v23, v23, v25
	ds_bpermute_b32 v26, v42, v24
	ds_bpermute_b32 v25, v42, v23
	s_waitcnt lgkmcnt(0)
	;; [unrolled: 5-line block ×4, first 2 shown]
	v_cmp_lt_i64_e32 vcc_lo, v[25:26], v[23:24]
	v_cndmask_b32_e32 v4, v23, v25, vcc_lo
	ds_bpermute_b32 v25, v44, v4
	s_waitcnt lgkmcnt(0)
	v_ashrrev_i32_e32 v26, 31, v25
	v_mov_b32_e32 v46, v25
	s_delay_alu instid0(VALU_DEP_2) | instskip(SKIP_1) | instid1(SALU_CYCLE_1)
	v_cmp_le_i64_e32 vcc_lo, s[10:11], v[25:26]
	s_or_b32 s22, vcc_lo, s22
	s_and_not1_b32 exec_lo, exec_lo, s22
	s_cbranch_execz .LBB23_64
.LBB23_11:                              ; =>This Loop Header: Depth=1
                                        ;     Child Loop BB23_14 Depth 2
	v_dual_mov_b32 v24, s11 :: v_dual_add_nc_u32 v27, v6, v0
	v_dual_mov_b32 v23, s10 :: v_dual_mov_b32 v6, v2
	s_mov_b32 s30, exec_lo
	ds_store_b8 v32, v5 offset:8192
	ds_store_2addr_b32 v45, v5, v5 offset1:2
	ds_store_2addr_b32 v45, v5, v5 offset0:4 offset1:6
	ds_store_2addr_b32 v45, v5, v5 offset0:8 offset1:10
	;; [unrolled: 1-line block ×3, first 2 shown]
	s_waitcnt lgkmcnt(0)
	buffer_gl0_inv
	v_cmpx_lt_i32_e64 v27, v2
	s_cbranch_execz .LBB23_23
; %bb.12:                               ;   in Loop: Header=BB23_11 Depth=1
	v_mad_u64_u32 v[29:30], null, v25, s12, 0
	v_dual_mov_b32 v24, s11 :: v_dual_mov_b32 v23, s10
	v_mov_b32_e32 v4, v2
	s_mov_b32 s31, 0
	s_branch .LBB23_14
.LBB23_13:                              ;   in Loop: Header=BB23_14 Depth=2
	s_or_b32 exec_lo, exec_lo, s3
	s_delay_alu instid0(VALU_DEP_1) | instskip(SKIP_1) | instid1(VALU_DEP_1)
	v_dual_mov_b32 v4, v6 :: v_dual_add_nc_u32 v27, 2, v27
	s_xor_b32 s3, vcc_lo, -1
	v_cmp_ge_i32_e64 s0, v27, v2
	s_delay_alu instid0(VALU_DEP_1) | instskip(NEXT) | instid1(SALU_CYCLE_1)
	s_or_b32 s0, s3, s0
	s_and_b32 s0, exec_lo, s0
	s_delay_alu instid0(SALU_CYCLE_1) | instskip(NEXT) | instid1(SALU_CYCLE_1)
	s_or_b32 s31, s0, s31
	s_and_not1_b32 exec_lo, exec_lo, s31
	s_cbranch_execz .LBB23_22
.LBB23_14:                              ;   Parent Loop BB23_11 Depth=1
                                        ; =>  This Inner Loop Header: Depth=2
	v_ashrrev_i32_e32 v28, 31, v27
	s_mov_b32 s0, exec_lo
	s_delay_alu instid0(VALU_DEP_1) | instskip(NEXT) | instid1(VALU_DEP_1)
	v_lshlrev_b64 v[30:31], 3, v[27:28]
	v_add_co_u32 v30, vcc_lo, s14, v30
	s_delay_alu instid0(VALU_DEP_2) | instskip(SKIP_4) | instid1(VALU_DEP_1)
	v_add_co_ci_u32_e32 v31, vcc_lo, s15, v31, vcc_lo
	global_load_b64 v[30:31], v[30:31], off
	s_waitcnt vmcnt(0)
	v_sub_co_u32 v47, vcc_lo, v30, s18
	v_subrev_co_ci_u32_e32 v48, vcc_lo, 0, v31, vcc_lo
                                        ; implicit-def: $vgpr30_vgpr31
	v_or_b32_e32 v6, s13, v48
	s_delay_alu instid0(VALU_DEP_1)
	v_cmpx_ne_u64_e32 0, v[5:6]
	s_xor_b32 s33, exec_lo, s0
	s_cbranch_execz .LBB23_16
; %bb.15:                               ;   in Loop: Header=BB23_14 Depth=2
	s_add_u32 s4, s12, s2
	s_mov_b32 s3, s2
	s_addc_u32 s5, s13, s2
	s_delay_alu instid0(SALU_CYCLE_1) | instskip(NEXT) | instid1(SALU_CYCLE_1)
	s_xor_b64 s[4:5], s[4:5], s[2:3]
	v_cvt_f32_u32_e32 v6, s4
	v_cvt_f32_u32_e32 v30, s5
	s_sub_u32 s0, 0, s4
	s_subb_u32 s3, 0, s5
	s_delay_alu instid0(VALU_DEP_1) | instskip(NEXT) | instid1(VALU_DEP_1)
	v_fmac_f32_e32 v6, 0x4f800000, v30
	v_rcp_f32_e32 v6, v6
	s_waitcnt_depctr 0xfff
	v_mul_f32_e32 v6, 0x5f7ffffc, v6
	s_delay_alu instid0(VALU_DEP_1) | instskip(NEXT) | instid1(VALU_DEP_1)
	v_mul_f32_e32 v30, 0x2f800000, v6
	v_trunc_f32_e32 v30, v30
	s_delay_alu instid0(VALU_DEP_1) | instskip(SKIP_1) | instid1(VALU_DEP_2)
	v_fmac_f32_e32 v6, 0xcf800000, v30
	v_cvt_u32_f32_e32 v30, v30
	v_cvt_u32_f32_e32 v6, v6
	s_delay_alu instid0(VALU_DEP_2) | instskip(NEXT) | instid1(VALU_DEP_2)
	v_mul_lo_u32 v31, s0, v30
	v_mul_hi_u32 v49, s0, v6
	v_mul_lo_u32 v50, s3, v6
	s_delay_alu instid0(VALU_DEP_2) | instskip(SKIP_1) | instid1(VALU_DEP_2)
	v_add_nc_u32_e32 v31, v49, v31
	v_mul_lo_u32 v49, s0, v6
	v_add_nc_u32_e32 v31, v31, v50
	s_delay_alu instid0(VALU_DEP_2) | instskip(NEXT) | instid1(VALU_DEP_2)
	v_mul_hi_u32 v50, v6, v49
	v_mul_lo_u32 v51, v6, v31
	v_mul_hi_u32 v52, v6, v31
	v_mul_hi_u32 v53, v30, v49
	v_mul_lo_u32 v49, v30, v49
	v_mul_hi_u32 v54, v30, v31
	v_mul_lo_u32 v31, v30, v31
	v_add_co_u32 v50, vcc_lo, v50, v51
	v_add_co_ci_u32_e32 v51, vcc_lo, 0, v52, vcc_lo
	s_delay_alu instid0(VALU_DEP_2) | instskip(NEXT) | instid1(VALU_DEP_2)
	v_add_co_u32 v49, vcc_lo, v50, v49
	v_add_co_ci_u32_e32 v49, vcc_lo, v51, v53, vcc_lo
	v_add_co_ci_u32_e32 v50, vcc_lo, 0, v54, vcc_lo
	v_ashrrev_i32_e32 v53, 31, v48
	s_delay_alu instid0(VALU_DEP_3) | instskip(NEXT) | instid1(VALU_DEP_3)
	v_add_co_u32 v31, vcc_lo, v49, v31
	v_add_co_ci_u32_e32 v49, vcc_lo, 0, v50, vcc_lo
	s_delay_alu instid0(VALU_DEP_2) | instskip(NEXT) | instid1(VALU_DEP_2)
	v_add_co_u32 v6, vcc_lo, v6, v31
	v_add_co_ci_u32_e32 v30, vcc_lo, v30, v49, vcc_lo
	s_delay_alu instid0(VALU_DEP_2) | instskip(SKIP_1) | instid1(VALU_DEP_3)
	v_mul_hi_u32 v31, s0, v6
	v_mul_lo_u32 v50, s3, v6
	v_mul_lo_u32 v49, s0, v30
	s_delay_alu instid0(VALU_DEP_1) | instskip(SKIP_1) | instid1(VALU_DEP_2)
	v_add_nc_u32_e32 v31, v31, v49
	v_mul_lo_u32 v49, s0, v6
	v_add_nc_u32_e32 v31, v31, v50
	s_delay_alu instid0(VALU_DEP_2) | instskip(NEXT) | instid1(VALU_DEP_2)
	v_mul_hi_u32 v50, v6, v49
	v_mul_lo_u32 v51, v6, v31
	v_mul_hi_u32 v52, v6, v31
	v_mul_hi_u32 v54, v30, v49
	v_mul_lo_u32 v49, v30, v49
	v_mul_hi_u32 v55, v30, v31
	v_mul_lo_u32 v31, v30, v31
	v_add_co_u32 v50, vcc_lo, v50, v51
	v_add_co_ci_u32_e32 v51, vcc_lo, 0, v52, vcc_lo
	s_delay_alu instid0(VALU_DEP_2) | instskip(NEXT) | instid1(VALU_DEP_2)
	v_add_co_u32 v49, vcc_lo, v50, v49
	v_add_co_ci_u32_e32 v49, vcc_lo, v51, v54, vcc_lo
	v_add_co_ci_u32_e32 v50, vcc_lo, 0, v55, vcc_lo
	v_add_co_u32 v51, vcc_lo, v47, v53
	v_add_co_ci_u32_e32 v48, vcc_lo, v48, v53, vcc_lo
	s_delay_alu instid0(VALU_DEP_4) | instskip(NEXT) | instid1(VALU_DEP_4)
	v_add_co_u32 v31, vcc_lo, v49, v31
	v_add_co_ci_u32_e32 v49, vcc_lo, 0, v50, vcc_lo
	s_delay_alu instid0(VALU_DEP_4) | instskip(NEXT) | instid1(VALU_DEP_3)
	v_xor_b32_e32 v52, v51, v53
	v_add_co_u32 v6, vcc_lo, v6, v31
	s_delay_alu instid0(VALU_DEP_3) | instskip(SKIP_1) | instid1(VALU_DEP_3)
	v_add_co_ci_u32_e32 v54, vcc_lo, v30, v49, vcc_lo
	v_xor_b32_e32 v55, v48, v53
	v_mul_hi_u32 v56, v52, v6
	s_delay_alu instid0(VALU_DEP_3) | instskip(NEXT) | instid1(VALU_DEP_3)
	v_mad_u64_u32 v[30:31], null, v52, v54, 0
	v_mad_u64_u32 v[48:49], null, v55, v6, 0
	;; [unrolled: 1-line block ×3, first 2 shown]
	s_delay_alu instid0(VALU_DEP_3) | instskip(NEXT) | instid1(VALU_DEP_4)
	v_add_co_u32 v6, vcc_lo, v56, v30
	v_add_co_ci_u32_e32 v30, vcc_lo, 0, v31, vcc_lo
	s_delay_alu instid0(VALU_DEP_2) | instskip(NEXT) | instid1(VALU_DEP_2)
	v_add_co_u32 v6, vcc_lo, v6, v48
	v_add_co_ci_u32_e32 v6, vcc_lo, v30, v49, vcc_lo
	v_add_co_ci_u32_e32 v30, vcc_lo, 0, v51, vcc_lo
	s_delay_alu instid0(VALU_DEP_2) | instskip(NEXT) | instid1(VALU_DEP_2)
	v_add_co_u32 v6, vcc_lo, v6, v50
	v_add_co_ci_u32_e32 v48, vcc_lo, 0, v30, vcc_lo
	s_delay_alu instid0(VALU_DEP_2) | instskip(SKIP_1) | instid1(VALU_DEP_3)
	v_mul_lo_u32 v49, s5, v6
	v_mad_u64_u32 v[30:31], null, s4, v6, 0
	v_mul_lo_u32 v50, s4, v48
	s_delay_alu instid0(VALU_DEP_2) | instskip(NEXT) | instid1(VALU_DEP_2)
	v_sub_co_u32 v30, vcc_lo, v52, v30
	v_add3_u32 v31, v31, v50, v49
	s_delay_alu instid0(VALU_DEP_1) | instskip(NEXT) | instid1(VALU_DEP_1)
	v_sub_nc_u32_e32 v49, v55, v31
	v_subrev_co_ci_u32_e64 v49, s0, s5, v49, vcc_lo
	v_add_co_u32 v50, s0, v6, 2
	s_delay_alu instid0(VALU_DEP_1) | instskip(SKIP_3) | instid1(VALU_DEP_3)
	v_add_co_ci_u32_e64 v51, s0, 0, v48, s0
	v_sub_co_u32 v52, s0, v30, s4
	v_sub_co_ci_u32_e32 v31, vcc_lo, v55, v31, vcc_lo
	v_subrev_co_ci_u32_e64 v49, s0, 0, v49, s0
	v_cmp_le_u32_e32 vcc_lo, s4, v52
	s_delay_alu instid0(VALU_DEP_3) | instskip(SKIP_1) | instid1(VALU_DEP_4)
	v_cmp_eq_u32_e64 s0, s5, v31
	v_cndmask_b32_e64 v52, 0, -1, vcc_lo
	v_cmp_le_u32_e32 vcc_lo, s5, v49
	v_cndmask_b32_e64 v54, 0, -1, vcc_lo
	v_cmp_le_u32_e32 vcc_lo, s4, v30
	;; [unrolled: 2-line block ×3, first 2 shown]
	v_cndmask_b32_e64 v55, 0, -1, vcc_lo
	v_cmp_eq_u32_e32 vcc_lo, s5, v49
	s_delay_alu instid0(VALU_DEP_2) | instskip(SKIP_3) | instid1(VALU_DEP_3)
	v_cndmask_b32_e64 v30, v55, v30, s0
	v_cndmask_b32_e32 v49, v54, v52, vcc_lo
	v_add_co_u32 v52, vcc_lo, v6, 1
	v_add_co_ci_u32_e32 v54, vcc_lo, 0, v48, vcc_lo
	v_cmp_ne_u32_e32 vcc_lo, 0, v49
	s_delay_alu instid0(VALU_DEP_2) | instskip(NEXT) | instid1(VALU_DEP_4)
	v_cndmask_b32_e32 v31, v54, v51, vcc_lo
	v_cndmask_b32_e32 v49, v52, v50, vcc_lo
	v_cmp_ne_u32_e32 vcc_lo, 0, v30
	v_xor_b32_e32 v50, s2, v53
	s_delay_alu instid0(VALU_DEP_3) | instskip(SKIP_1) | instid1(VALU_DEP_2)
	v_cndmask_b32_e32 v6, v6, v49, vcc_lo
	v_cndmask_b32_e32 v30, v48, v31, vcc_lo
	v_xor_b32_e32 v6, v6, v50
	s_delay_alu instid0(VALU_DEP_2) | instskip(NEXT) | instid1(VALU_DEP_2)
	v_xor_b32_e32 v31, v30, v50
	v_sub_co_u32 v30, vcc_lo, v6, v50
	s_delay_alu instid0(VALU_DEP_2)
	v_sub_co_ci_u32_e32 v31, vcc_lo, v31, v50, vcc_lo
.LBB23_16:                              ;   in Loop: Header=BB23_14 Depth=2
	s_and_not1_saveexec_b32 s0, s33
	s_cbranch_execz .LBB23_18
; %bb.17:                               ;   in Loop: Header=BB23_14 Depth=2
	v_cvt_f32_u32_e32 v6, s12
	s_delay_alu instid0(VALU_DEP_1) | instskip(SKIP_2) | instid1(VALU_DEP_1)
	v_rcp_iflag_f32_e32 v6, v6
	s_waitcnt_depctr 0xfff
	v_mul_f32_e32 v6, 0x4f7ffffe, v6
	v_cvt_u32_f32_e32 v6, v6
	s_delay_alu instid0(VALU_DEP_1) | instskip(NEXT) | instid1(VALU_DEP_1)
	v_mul_lo_u32 v30, s29, v6
	v_mul_hi_u32 v30, v6, v30
	s_delay_alu instid0(VALU_DEP_1) | instskip(NEXT) | instid1(VALU_DEP_1)
	v_add_nc_u32_e32 v6, v6, v30
	v_mul_hi_u32 v6, v47, v6
	s_delay_alu instid0(VALU_DEP_1) | instskip(NEXT) | instid1(VALU_DEP_1)
	v_mul_lo_u32 v30, v6, s12
	v_sub_nc_u32_e32 v30, v47, v30
	s_delay_alu instid0(VALU_DEP_1) | instskip(SKIP_1) | instid1(VALU_DEP_2)
	v_subrev_nc_u32_e32 v48, s12, v30
	v_cmp_le_u32_e32 vcc_lo, s12, v30
	v_dual_cndmask_b32 v30, v30, v48 :: v_dual_add_nc_u32 v31, 1, v6
	s_delay_alu instid0(VALU_DEP_1) | instskip(NEXT) | instid1(VALU_DEP_2)
	v_cndmask_b32_e32 v6, v6, v31, vcc_lo
	v_cmp_le_u32_e32 vcc_lo, s12, v30
	s_delay_alu instid0(VALU_DEP_2) | instskip(NEXT) | instid1(VALU_DEP_1)
	v_add_nc_u32_e32 v31, 1, v6
	v_dual_cndmask_b32 v30, v6, v31 :: v_dual_mov_b32 v31, v5
.LBB23_18:                              ;   in Loop: Header=BB23_14 Depth=2
	s_or_b32 exec_lo, exec_lo, s0
	s_delay_alu instid0(VALU_DEP_1)
	v_cmp_eq_u64_e32 vcc_lo, v[30:31], v[25:26]
	s_mov_b32 s3, exec_lo
	v_cmpx_ne_u64_e64 v[30:31], v[25:26]
	s_xor_b32 s3, exec_lo, s3
; %bb.19:                               ;   in Loop: Header=BB23_14 Depth=2
	v_cmp_lt_i64_e64 s0, v[30:31], v[23:24]
                                        ; implicit-def: $vgpr47
                                        ; implicit-def: $vgpr4
	s_delay_alu instid0(VALU_DEP_1)
	v_cndmask_b32_e64 v24, v24, v31, s0
	v_cndmask_b32_e64 v23, v23, v30, s0
; %bb.20:                               ;   in Loop: Header=BB23_14 Depth=2
	s_or_saveexec_b32 s3, s3
	v_mov_b32_e32 v6, v27
	s_xor_b32 exec_lo, exec_lo, s3
	s_cbranch_execz .LBB23_13
; %bb.21:                               ;   in Loop: Header=BB23_14 Depth=2
	v_lshlrev_b64 v[30:31], 2, v[27:28]
	v_sub_nc_u32_e32 v6, v47, v29
	s_delay_alu instid0(VALU_DEP_2) | instskip(NEXT) | instid1(VALU_DEP_1)
	v_add_co_u32 v30, s0, s16, v30
	v_add_co_ci_u32_e64 v31, s0, s17, v31, s0
	global_load_b32 v28, v[30:31], off
	v_add_lshl_u32 v30, v35, v6, 2
	v_mov_b32_e32 v6, v4
	ds_store_b8 v32, v1 offset:8192
	s_waitcnt vmcnt(0)
	ds_store_b32 v30, v28
	s_branch .LBB23_13
.LBB23_22:                              ;   in Loop: Header=BB23_11 Depth=1
	s_or_b32 exec_lo, exec_lo, s31
.LBB23_23:                              ;   in Loop: Header=BB23_11 Depth=1
	s_delay_alu instid0(SALU_CYCLE_1)
	s_or_b32 exec_lo, exec_lo, s30
	ds_bpermute_b32 v4, v36, v6
	s_waitcnt lgkmcnt(0)
	buffer_gl0_inv
	ds_load_u8 v25, v32 offset:8192
	v_mov_b32_e32 v28, 0
	s_mov_b32 s0, exec_lo
	v_min_i32_e32 v4, v4, v6
	ds_bpermute_b32 v6, v37, v4
	s_waitcnt lgkmcnt(1)
	v_and_b32_e32 v4, 1, v25
	s_delay_alu instid0(VALU_DEP_1)
	v_cmpx_eq_u32_e32 1, v4
	s_cbranch_execz .LBB23_10
; %bb.24:                               ;   in Loop: Header=BB23_11 Depth=1
	v_ashrrev_i32_e32 v4, 31, v3
	v_mul_lo_u32 v27, s20, v3
	v_mad_u64_u32 v[25:26], null, s21, v3, 0
	v_add_nc_u32_e32 v28, s19, v46
	s_delay_alu instid0(VALU_DEP_4) | instskip(SKIP_1) | instid1(VALU_DEP_1)
	v_mul_lo_u32 v29, s21, v4
	v_lshlrev_b64 v[30:31], 3, v[3:4]
	v_add_co_u32 v30, vcc_lo, s8, v30
	s_delay_alu instid0(VALU_DEP_3) | instskip(NEXT) | instid1(VALU_DEP_3)
	v_add3_u32 v26, v26, v29, v27
	v_add_co_ci_u32_e32 v31, vcc_lo, s9, v31, vcc_lo
	v_ashrrev_i32_e32 v29, 31, v28
	s_delay_alu instid0(VALU_DEP_3)
	v_lshlrev_b64 v[46:47], 2, v[25:26]
	global_store_b64 v[30:31], v[28:29], off
	v_add_co_u32 v26, vcc_lo, v33, v46
	v_add_co_ci_u32_e32 v27, vcc_lo, v34, v47, vcc_lo
	v_add_co_u32 v4, vcc_lo, v38, v46
	v_add_co_ci_u32_e32 v25, vcc_lo, v39, v47, vcc_lo
	s_and_saveexec_b32 s3, s24
	s_cbranch_execz .LBB23_28
; %bb.25:                               ;   in Loop: Header=BB23_11 Depth=1
	s_and_b32 vcc_lo, exec_lo, s23
	s_cbranch_vccz .LBB23_55
; %bb.26:                               ;   in Loop: Header=BB23_11 Depth=1
	ds_load_b32 v30, v45
	v_add_co_u32 v28, vcc_lo, v26, v7
	v_add_co_ci_u32_e32 v29, vcc_lo, v27, v8, vcc_lo
	s_waitcnt lgkmcnt(0)
	global_store_b32 v[28:29], v30, off
	s_cbranch_execnz .LBB23_28
.LBB23_27:                              ;   in Loop: Header=BB23_11 Depth=1
	ds_load_b32 v30, v45
	v_lshlrev_b32_e32 v28, 2, v0
	s_delay_alu instid0(VALU_DEP_1)
	v_add_co_u32 v28, vcc_lo, v4, v28
	v_add_co_ci_u32_e32 v29, vcc_lo, 0, v25, vcc_lo
	s_waitcnt lgkmcnt(0)
	global_store_b32 v[28:29], v30, off
.LBB23_28:                              ;   in Loop: Header=BB23_11 Depth=1
	s_or_b32 exec_lo, exec_lo, s3
	s_and_saveexec_b32 s3, s25
	s_cbranch_execz .LBB23_32
; %bb.29:                               ;   in Loop: Header=BB23_11 Depth=1
	s_and_not1_b32 vcc_lo, exec_lo, s23
	s_cbranch_vccnz .LBB23_56
; %bb.30:                               ;   in Loop: Header=BB23_11 Depth=1
	ds_load_b32 v30, v45 offset:8
	v_add_co_u32 v28, vcc_lo, v26, v9
	v_add_co_ci_u32_e32 v29, vcc_lo, v27, v10, vcc_lo
	s_waitcnt lgkmcnt(0)
	global_store_b32 v[28:29], v30, off
	s_cbranch_execnz .LBB23_32
.LBB23_31:                              ;   in Loop: Header=BB23_11 Depth=1
	ds_load_b32 v30, v45 offset:8
	v_lshlrev_b32_e32 v28, 2, v0
	s_delay_alu instid0(VALU_DEP_1)
	v_add_co_u32 v28, vcc_lo, v4, v28
	v_add_co_ci_u32_e32 v29, vcc_lo, 0, v25, vcc_lo
	s_waitcnt lgkmcnt(0)
	global_store_b32 v[28:29], v30, off offset:8
.LBB23_32:                              ;   in Loop: Header=BB23_11 Depth=1
	s_or_b32 exec_lo, exec_lo, s3
	s_and_saveexec_b32 s3, s1
	s_cbranch_execz .LBB23_36
; %bb.33:                               ;   in Loop: Header=BB23_11 Depth=1
	s_and_not1_b32 vcc_lo, exec_lo, s23
	s_cbranch_vccnz .LBB23_57
; %bb.34:                               ;   in Loop: Header=BB23_11 Depth=1
	ds_load_b32 v30, v45 offset:16
	v_add_co_u32 v28, vcc_lo, v26, v11
	v_add_co_ci_u32_e32 v29, vcc_lo, v27, v12, vcc_lo
	s_waitcnt lgkmcnt(0)
	global_store_b32 v[28:29], v30, off
	s_cbranch_execnz .LBB23_36
.LBB23_35:                              ;   in Loop: Header=BB23_11 Depth=1
	ds_load_b32 v30, v45 offset:16
	v_lshlrev_b32_e32 v28, 2, v0
	s_delay_alu instid0(VALU_DEP_1)
	v_add_co_u32 v28, vcc_lo, v4, v28
	v_add_co_ci_u32_e32 v29, vcc_lo, 0, v25, vcc_lo
	s_waitcnt lgkmcnt(0)
	global_store_b32 v[28:29], v30, off offset:16
.LBB23_36:                              ;   in Loop: Header=BB23_11 Depth=1
	s_or_b32 exec_lo, exec_lo, s3
	s_and_saveexec_b32 s3, s26
	s_cbranch_execz .LBB23_40
; %bb.37:                               ;   in Loop: Header=BB23_11 Depth=1
	s_and_not1_b32 vcc_lo, exec_lo, s23
	s_cbranch_vccnz .LBB23_58
; %bb.38:                               ;   in Loop: Header=BB23_11 Depth=1
	ds_load_b32 v30, v45 offset:24
	v_add_co_u32 v28, vcc_lo, v26, v13
	v_add_co_ci_u32_e32 v29, vcc_lo, v27, v14, vcc_lo
	s_waitcnt lgkmcnt(0)
	global_store_b32 v[28:29], v30, off
	s_cbranch_execnz .LBB23_40
.LBB23_39:                              ;   in Loop: Header=BB23_11 Depth=1
	ds_load_b32 v30, v45 offset:24
	v_lshlrev_b32_e32 v28, 2, v0
	s_delay_alu instid0(VALU_DEP_1)
	v_add_co_u32 v28, vcc_lo, v4, v28
	v_add_co_ci_u32_e32 v29, vcc_lo, 0, v25, vcc_lo
	s_waitcnt lgkmcnt(0)
	global_store_b32 v[28:29], v30, off offset:24
.LBB23_40:                              ;   in Loop: Header=BB23_11 Depth=1
	s_or_b32 exec_lo, exec_lo, s3
	s_and_saveexec_b32 s3, s27
	s_cbranch_execz .LBB23_44
; %bb.41:                               ;   in Loop: Header=BB23_11 Depth=1
	s_and_not1_b32 vcc_lo, exec_lo, s23
	s_cbranch_vccnz .LBB23_59
; %bb.42:                               ;   in Loop: Header=BB23_11 Depth=1
	ds_load_b32 v30, v45 offset:32
	v_add_co_u32 v28, vcc_lo, v26, v15
	v_add_co_ci_u32_e32 v29, vcc_lo, v27, v16, vcc_lo
	s_waitcnt lgkmcnt(0)
	global_store_b32 v[28:29], v30, off
	s_cbranch_execnz .LBB23_44
.LBB23_43:                              ;   in Loop: Header=BB23_11 Depth=1
	ds_load_b32 v30, v45 offset:32
	v_lshlrev_b32_e32 v28, 2, v0
	s_delay_alu instid0(VALU_DEP_1)
	v_add_co_u32 v28, vcc_lo, v4, v28
	v_add_co_ci_u32_e32 v29, vcc_lo, 0, v25, vcc_lo
	s_waitcnt lgkmcnt(0)
	global_store_b32 v[28:29], v30, off offset:32
.LBB23_44:                              ;   in Loop: Header=BB23_11 Depth=1
	s_or_b32 exec_lo, exec_lo, s3
	s_and_saveexec_b32 s3, s28
	s_cbranch_execz .LBB23_48
; %bb.45:                               ;   in Loop: Header=BB23_11 Depth=1
	s_and_not1_b32 vcc_lo, exec_lo, s23
	s_cbranch_vccnz .LBB23_60
; %bb.46:                               ;   in Loop: Header=BB23_11 Depth=1
	ds_load_b32 v30, v45 offset:40
	v_add_co_u32 v28, vcc_lo, v26, v17
	v_add_co_ci_u32_e32 v29, vcc_lo, v27, v18, vcc_lo
	s_waitcnt lgkmcnt(0)
	global_store_b32 v[28:29], v30, off
	s_cbranch_execnz .LBB23_48
.LBB23_47:                              ;   in Loop: Header=BB23_11 Depth=1
	ds_load_b32 v30, v45 offset:40
	v_lshlrev_b32_e32 v28, 2, v0
	s_delay_alu instid0(VALU_DEP_1)
	v_add_co_u32 v28, vcc_lo, v4, v28
	v_add_co_ci_u32_e32 v29, vcc_lo, 0, v25, vcc_lo
	s_waitcnt lgkmcnt(0)
	global_store_b32 v[28:29], v30, off offset:40
.LBB23_48:                              ;   in Loop: Header=BB23_11 Depth=1
	s_or_b32 exec_lo, exec_lo, s3
	s_and_saveexec_b32 s3, s6
	s_cbranch_execz .LBB23_52
; %bb.49:                               ;   in Loop: Header=BB23_11 Depth=1
	s_and_not1_b32 vcc_lo, exec_lo, s23
	s_cbranch_vccnz .LBB23_61
; %bb.50:                               ;   in Loop: Header=BB23_11 Depth=1
	ds_load_b32 v30, v45 offset:48
	v_add_co_u32 v28, vcc_lo, v26, v19
	v_add_co_ci_u32_e32 v29, vcc_lo, v27, v20, vcc_lo
	s_waitcnt lgkmcnt(0)
	global_store_b32 v[28:29], v30, off
	s_cbranch_execnz .LBB23_52
.LBB23_51:                              ;   in Loop: Header=BB23_11 Depth=1
	ds_load_b32 v30, v45 offset:48
	v_lshlrev_b32_e32 v28, 2, v0
	s_delay_alu instid0(VALU_DEP_1)
	v_add_co_u32 v28, vcc_lo, v4, v28
	v_add_co_ci_u32_e32 v29, vcc_lo, 0, v25, vcc_lo
	s_waitcnt lgkmcnt(0)
	global_store_b32 v[28:29], v30, off offset:48
.LBB23_52:                              ;   in Loop: Header=BB23_11 Depth=1
	s_or_b32 exec_lo, exec_lo, s3
	v_mov_b32_e32 v28, 1
	s_and_saveexec_b32 s3, s7
	s_cbranch_execz .LBB23_9
; %bb.53:                               ;   in Loop: Header=BB23_11 Depth=1
	s_and_not1_b32 vcc_lo, exec_lo, s23
	s_cbranch_vccnz .LBB23_62
; %bb.54:                               ;   in Loop: Header=BB23_11 Depth=1
	ds_load_b32 v28, v45 offset:56
	v_add_co_u32 v26, vcc_lo, v26, v21
	v_add_co_ci_u32_e32 v27, vcc_lo, v27, v22, vcc_lo
	s_mov_b32 s4, 1
	s_waitcnt lgkmcnt(0)
	global_store_b32 v[26:27], v28, off
	s_cbranch_execnz .LBB23_8
	s_branch .LBB23_63
.LBB23_55:                              ;   in Loop: Header=BB23_11 Depth=1
	s_branch .LBB23_27
.LBB23_56:                              ;   in Loop: Header=BB23_11 Depth=1
	s_branch .LBB23_31
.LBB23_57:                              ;   in Loop: Header=BB23_11 Depth=1
	s_branch .LBB23_35
.LBB23_58:                              ;   in Loop: Header=BB23_11 Depth=1
	s_branch .LBB23_39
.LBB23_59:                              ;   in Loop: Header=BB23_11 Depth=1
	s_branch .LBB23_43
.LBB23_60:                              ;   in Loop: Header=BB23_11 Depth=1
	s_branch .LBB23_47
.LBB23_61:                              ;   in Loop: Header=BB23_11 Depth=1
	s_branch .LBB23_51
.LBB23_62:                              ;   in Loop: Header=BB23_11 Depth=1
                                        ; implicit-def: $sgpr4
.LBB23_63:                              ;   in Loop: Header=BB23_11 Depth=1
	ds_load_b32 v28, v45 offset:56
	v_lshlrev_b32_e32 v26, 2, v0
	s_mov_b32 s4, 1
	s_delay_alu instid0(VALU_DEP_1)
	v_add_co_u32 v26, vcc_lo, v4, v26
	v_add_co_ci_u32_e32 v27, vcc_lo, 0, v25, vcc_lo
	s_waitcnt lgkmcnt(0)
	global_store_b32 v[26:27], v28, off offset:56
	s_branch .LBB23_8
.LBB23_64:
	s_endpgm
	.section	.rodata,"a",@progbits
	.p2align	6, 0x0
	.amdhsa_kernel _ZN9rocsparseL42csr2bsr_wavefront_per_row_multipass_kernelILj256ELj32ELj16EiilEEv20rocsparse_direction_T4_S2_S2_S2_S2_21rocsparse_index_base_PKT2_PKT3_PKS2_S3_PS4_PS7_PS2_
		.amdhsa_group_segment_fixed_size 8200
		.amdhsa_private_segment_fixed_size 0
		.amdhsa_kernarg_size 112
		.amdhsa_user_sgpr_count 15
		.amdhsa_user_sgpr_dispatch_ptr 0
		.amdhsa_user_sgpr_queue_ptr 0
		.amdhsa_user_sgpr_kernarg_segment_ptr 1
		.amdhsa_user_sgpr_dispatch_id 0
		.amdhsa_user_sgpr_private_segment_size 0
		.amdhsa_wavefront_size32 1
		.amdhsa_uses_dynamic_stack 0
		.amdhsa_enable_private_segment 0
		.amdhsa_system_sgpr_workgroup_id_x 1
		.amdhsa_system_sgpr_workgroup_id_y 0
		.amdhsa_system_sgpr_workgroup_id_z 0
		.amdhsa_system_sgpr_workgroup_info 0
		.amdhsa_system_vgpr_workitem_id 0
		.amdhsa_next_free_vgpr 57
		.amdhsa_next_free_sgpr 34
		.amdhsa_reserve_vcc 1
		.amdhsa_float_round_mode_32 0
		.amdhsa_float_round_mode_16_64 0
		.amdhsa_float_denorm_mode_32 3
		.amdhsa_float_denorm_mode_16_64 3
		.amdhsa_dx10_clamp 1
		.amdhsa_ieee_mode 1
		.amdhsa_fp16_overflow 0
		.amdhsa_workgroup_processor_mode 1
		.amdhsa_memory_ordered 1
		.amdhsa_forward_progress 0
		.amdhsa_shared_vgpr_count 0
		.amdhsa_exception_fp_ieee_invalid_op 0
		.amdhsa_exception_fp_denorm_src 0
		.amdhsa_exception_fp_ieee_div_zero 0
		.amdhsa_exception_fp_ieee_overflow 0
		.amdhsa_exception_fp_ieee_underflow 0
		.amdhsa_exception_fp_ieee_inexact 0
		.amdhsa_exception_int_div_zero 0
	.end_amdhsa_kernel
	.section	.text._ZN9rocsparseL42csr2bsr_wavefront_per_row_multipass_kernelILj256ELj32ELj16EiilEEv20rocsparse_direction_T4_S2_S2_S2_S2_21rocsparse_index_base_PKT2_PKT3_PKS2_S3_PS4_PS7_PS2_,"axG",@progbits,_ZN9rocsparseL42csr2bsr_wavefront_per_row_multipass_kernelILj256ELj32ELj16EiilEEv20rocsparse_direction_T4_S2_S2_S2_S2_21rocsparse_index_base_PKT2_PKT3_PKS2_S3_PS4_PS7_PS2_,comdat
.Lfunc_end23:
	.size	_ZN9rocsparseL42csr2bsr_wavefront_per_row_multipass_kernelILj256ELj32ELj16EiilEEv20rocsparse_direction_T4_S2_S2_S2_S2_21rocsparse_index_base_PKT2_PKT3_PKS2_S3_PS4_PS7_PS2_, .Lfunc_end23-_ZN9rocsparseL42csr2bsr_wavefront_per_row_multipass_kernelILj256ELj32ELj16EiilEEv20rocsparse_direction_T4_S2_S2_S2_S2_21rocsparse_index_base_PKT2_PKT3_PKS2_S3_PS4_PS7_PS2_
                                        ; -- End function
	.section	.AMDGPU.csdata,"",@progbits
; Kernel info:
; codeLenInByte = 3688
; NumSgprs: 36
; NumVgprs: 57
; ScratchSize: 0
; MemoryBound: 0
; FloatMode: 240
; IeeeMode: 1
; LDSByteSize: 8200 bytes/workgroup (compile time only)
; SGPRBlocks: 4
; VGPRBlocks: 7
; NumSGPRsForWavesPerEU: 36
; NumVGPRsForWavesPerEU: 57
; Occupancy: 16
; WaveLimiterHint : 0
; COMPUTE_PGM_RSRC2:SCRATCH_EN: 0
; COMPUTE_PGM_RSRC2:USER_SGPR: 15
; COMPUTE_PGM_RSRC2:TRAP_HANDLER: 0
; COMPUTE_PGM_RSRC2:TGID_X_EN: 1
; COMPUTE_PGM_RSRC2:TGID_Y_EN: 0
; COMPUTE_PGM_RSRC2:TGID_Z_EN: 0
; COMPUTE_PGM_RSRC2:TIDIG_COMP_CNT: 0
	.section	.text._ZN9rocsparseL38csr2bsr_block_per_row_multipass_kernelILj256ELj32EiilEEv20rocsparse_direction_T3_S2_S2_S2_S2_21rocsparse_index_base_PKT1_PKT2_PKS2_S3_PS4_PS7_PS2_,"axG",@progbits,_ZN9rocsparseL38csr2bsr_block_per_row_multipass_kernelILj256ELj32EiilEEv20rocsparse_direction_T3_S2_S2_S2_S2_21rocsparse_index_base_PKT1_PKT2_PKS2_S3_PS4_PS7_PS2_,comdat
	.globl	_ZN9rocsparseL38csr2bsr_block_per_row_multipass_kernelILj256ELj32EiilEEv20rocsparse_direction_T3_S2_S2_S2_S2_21rocsparse_index_base_PKT1_PKT2_PKS2_S3_PS4_PS7_PS2_ ; -- Begin function _ZN9rocsparseL38csr2bsr_block_per_row_multipass_kernelILj256ELj32EiilEEv20rocsparse_direction_T3_S2_S2_S2_S2_21rocsparse_index_base_PKT1_PKT2_PKS2_S3_PS4_PS7_PS2_
	.p2align	8
	.type	_ZN9rocsparseL38csr2bsr_block_per_row_multipass_kernelILj256ELj32EiilEEv20rocsparse_direction_T3_S2_S2_S2_S2_21rocsparse_index_base_PKT1_PKT2_PKS2_S3_PS4_PS7_PS2_,@function
_ZN9rocsparseL38csr2bsr_block_per_row_multipass_kernelILj256ELj32EiilEEv20rocsparse_direction_T3_S2_S2_S2_S2_21rocsparse_index_base_PKT1_PKT2_PKS2_S3_PS4_PS7_PS2_: ; @_ZN9rocsparseL38csr2bsr_block_per_row_multipass_kernelILj256ELj32EiilEEv20rocsparse_direction_T3_S2_S2_S2_S2_21rocsparse_index_base_PKT1_PKT2_PKS2_S3_PS4_PS7_PS2_
; %bb.0:
	s_mov_b32 s2, s15
	s_clause 0x1
	s_load_b128 s[12:15], s[0:1], 0x20
	s_load_b64 s[6:7], s[0:1], 0x8
	v_mov_b32_e32 v2, 0
	v_lshrrev_b32_e32 v1, 3, v0
	s_clause 0x1
	s_load_b32 s28, s[0:1], 0x30
	s_load_b64 s[4:5], s[0:1], 0x40
	s_ashr_i32 s3, s2, 31
	v_mov_b32_e32 v16, v2
	s_waitcnt lgkmcnt(0)
	v_mad_u64_u32 v[3:4], null, s2, s14, v[1:2]
	s_mul_i32 s8, s2, s15
	s_mul_i32 s9, s3, s14
	s_delay_alu instid0(VALU_DEP_1) | instid1(SALU_CYCLE_1)
	v_add3_u32 v4, s8, s9, v4
	v_cmp_gt_i64_e64 s9, s[14:15], v[1:2]
	s_delay_alu instid0(VALU_DEP_2) | instskip(NEXT) | instid1(VALU_DEP_2)
	v_cmp_gt_i64_e32 vcc_lo, s[6:7], v[3:4]
	s_and_b32 s6, s9, vcc_lo
	s_delay_alu instid0(SALU_CYCLE_1)
	s_and_saveexec_b32 s7, s6
	s_cbranch_execnz .LBB24_3
; %bb.1:
	s_or_b32 exec_lo, exec_lo, s7
	s_and_saveexec_b32 s7, s6
	s_cbranch_execnz .LBB24_4
.LBB24_2:
	s_or_b32 exec_lo, exec_lo, s7
	v_cmp_lt_i64_e64 s4, s[12:13], 1
	s_delay_alu instid0(VALU_DEP_1)
	s_and_b32 vcc_lo, exec_lo, s4
	s_cbranch_vccz .LBB24_5
	s_branch .LBB24_45
.LBB24_3:
	v_lshlrev_b64 v[5:6], 2, v[3:4]
	s_delay_alu instid0(VALU_DEP_1) | instskip(NEXT) | instid1(VALU_DEP_2)
	v_add_co_u32 v5, vcc_lo, s4, v5
	v_add_co_ci_u32_e32 v6, vcc_lo, s5, v6, vcc_lo
	global_load_b32 v5, v[5:6], off
	s_waitcnt vmcnt(0)
	v_subrev_nc_u32_e32 v16, s28, v5
	s_or_b32 exec_lo, exec_lo, s7
	s_and_saveexec_b32 s7, s6
	s_cbranch_execz .LBB24_2
.LBB24_4:
	v_lshlrev_b64 v[2:3], 2, v[3:4]
	s_delay_alu instid0(VALU_DEP_1) | instskip(NEXT) | instid1(VALU_DEP_2)
	v_add_co_u32 v2, vcc_lo, s4, v2
	v_add_co_ci_u32_e32 v3, vcc_lo, s5, v3, vcc_lo
	global_load_b32 v2, v[2:3], off offset:4
	s_waitcnt vmcnt(0)
	v_subrev_nc_u32_e32 v2, s28, v2
	s_or_b32 exec_lo, exec_lo, s7
	v_cmp_lt_i64_e64 s4, s[12:13], 1
	s_delay_alu instid0(VALU_DEP_1)
	s_and_b32 vcc_lo, exec_lo, s4
	s_cbranch_vccnz .LBB24_45
.LBB24_5:
	s_clause 0x1
	s_load_b128 s[4:7], s[0:1], 0x58
	s_load_b64 s[16:17], s[0:1], 0x68
	v_mbcnt_lo_u32_b32 v10, -1, 0
	s_mul_i32 s8, s14, s15
	s_mul_hi_u32 s10, s14, s14
	v_mad_u64_u32 v[6:7], null, v1, s14, 0
	s_clause 0x3
	s_load_b32 s30, s[0:1], 0x50
	s_load_b64 s[18:19], s[0:1], 0x48
	s_load_b64 s[20:21], s[0:1], 0x38
	s_load_b32 s11, s[0:1], 0x0
	s_lshl_b64 s[0:1], s[2:3], 2
	s_add_i32 s2, s10, s8
	v_xor_b32_e32 v11, 4, v10
	s_add_i32 s31, s2, s8
	v_dual_mov_b32 v4, v7 :: v_dual_lshlrev_b32 v9, 2, v1
	v_xor_b32_e32 v12, 2, v10
	s_delay_alu instid0(VALU_DEP_3)
	v_cmp_gt_i32_e32 vcc_lo, 32, v11
	v_mov_b32_e32 v3, 0
	v_and_b32_e32 v5, 7, v0
	v_cmp_gt_u32_e64 s2, 64, v0
	v_cmp_gt_u32_e64 s3, 32, v0
	s_waitcnt lgkmcnt(0)
	s_add_u32 s0, s6, s0
	s_addc_u32 s1, s7, s1
	v_mad_u64_u32 v[7:8], null, v1, s15, v[4:5]
	s_load_b32 s0, s[0:1], 0x0
	v_cndmask_b32_e32 v4, v10, v11, vcc_lo
	v_cmp_gt_i32_e32 vcc_lo, 32, v12
	v_lshlrev_b32_e32 v19, 5, v1
	v_xor_b32_e32 v1, 1, v10
	v_lshlrev_b32_e32 v28, 3, v0
	v_lshlrev_b64 v[6:7], 2, v[6:7]
	v_cndmask_b32_e32 v8, v10, v12, vcc_lo
	v_lshlrev_b32_e32 v21, 2, v4
	v_cmp_gt_i32_e32 vcc_lo, 32, v1
	v_cmp_gt_u32_e64 s1, 0x80, v0
	v_cmp_gt_u32_e64 s6, 4, v0
	;; [unrolled: 1-line block ×3, first 2 shown]
	v_cmp_eq_u32_e64 s8, 0, v0
	v_dual_cndmask_b32 v1, v10, v1 :: v_dual_lshlrev_b32 v22, 2, v8
	v_add_co_u32 v4, vcc_lo, s4, v6
	v_add_co_ci_u32_e32 v7, vcc_lo, s5, v7, vcc_lo
	s_waitcnt lgkmcnt(0)
	s_sub_i32 s22, s0, s30
	v_add_co_u32 v24, s0, s4, v9
	s_delay_alu instid0(VALU_DEP_1)
	v_add_co_ci_u32_e64 v25, null, s5, 0, s0
	v_mov_b32_e32 v6, v3
	v_cmp_gt_u32_e64 s4, 16, v0
	v_cmp_gt_u32_e64 s5, 8, v0
	v_or_b32_e32 v0, 8, v5
	v_or_b32_e32 v12, 24, v5
	v_lshl_or_b32 v20, v10, 2, 28
	s_cmp_eq_u32 s11, 0
	v_mov_b32_e32 v13, v3
	v_mad_u64_u32 v[10:11], null, v0, s14, 0
	v_lshlrev_b32_e32 v23, 2, v1
	v_mad_u64_u32 v[17:18], null, v12, s14, 0
	v_lshlrev_b32_e32 v1, 2, v5
	s_cselect_b32 s0, -1, 0
	s_mul_i32 s29, s14, s14
	s_mov_b64 s[24:25], 0
	s_delay_alu instid0(VALU_DEP_1) | instskip(SKIP_4) | instid1(VALU_DEP_3)
	v_add_co_u32 v26, vcc_lo, v4, v1
	v_add_co_ci_u32_e32 v27, vcc_lo, 0, v7, vcc_lo
	v_mad_u64_u32 v[7:8], null, v5, s14, 0
	v_or_b32_e32 v1, v19, v5
	v_cmp_gt_i64_e32 vcc_lo, s[14:15], v[5:6]
	v_mov_b32_e32 v4, v8
	v_or_b32_e32 v8, 16, v5
	s_and_b32 s33, s9, vcc_lo
	s_delay_alu instid0(VALU_DEP_2) | instskip(NEXT) | instid1(VALU_DEP_2)
	v_mad_u64_u32 v[30:31], null, v5, s15, v[4:5]
	v_mad_u64_u32 v[14:15], null, v8, s14, 0
	v_lshlrev_b32_e32 v29, 2, v1
	v_mov_b32_e32 v1, v3
	v_mov_b32_e32 v4, v11
	s_delay_alu instid0(VALU_DEP_2) | instskip(SKIP_1) | instid1(VALU_DEP_3)
	v_cmp_gt_i64_e64 s10, s[14:15], v[0:1]
	v_mov_b32_e32 v1, v15
	v_mad_u64_u32 v[31:32], null, v0, s15, v[4:5]
	v_mov_b32_e32 v0, v18
	s_delay_alu instid0(VALU_DEP_3) | instskip(SKIP_1) | instid1(VALU_DEP_2)
	v_mad_u64_u32 v[32:33], null, v8, s15, v[1:2]
	s_and_b32 s34, s9, s10
	v_mad_u64_u32 v[33:34], null, v12, s15, v[0:1]
	v_mov_b32_e32 v9, v3
	v_mov_b32_e32 v11, v31
	s_ashr_i32 s10, s15, 31
	s_delay_alu instid0(VALU_DEP_3) | instskip(NEXT) | instid1(VALU_DEP_3)
	v_dual_mov_b32 v15, v32 :: v_dual_mov_b32 v18, v33
	v_cmp_gt_i64_e64 s11, s[14:15], v[8:9]
	v_mov_b32_e32 v8, v30
	v_mov_b32_e32 v30, 1
	s_delay_alu instid0(VALU_DEP_2)
	v_lshlrev_b64 v[0:1], 2, v[7:8]
	v_lshlrev_b64 v[8:9], 2, v[14:15]
	v_mov_b32_e32 v14, 0
	v_cmp_gt_i64_e32 vcc_lo, s[14:15], v[12:13]
	v_lshlrev_b64 v[6:7], 2, v[10:11]
	v_lshlrev_b64 v[10:11], 2, v[17:18]
	s_and_b32 s35, s9, s11
	s_and_b32 s36, s9, vcc_lo
	s_branch .LBB24_7
.LBB24_6:                               ;   in Loop: Header=BB24_7 Depth=1
	s_or_b32 exec_lo, exec_lo, s11
	s_waitcnt lgkmcnt(0)
	s_barrier
	buffer_gl0_inv
	ds_load_b64 v[14:15], v3
	s_add_i32 s22, s9, s22
	s_waitcnt lgkmcnt(0)
	s_barrier
	buffer_gl0_inv
	v_readfirstlane_b32 s24, v14
	v_readfirstlane_b32 s25, v15
	s_delay_alu instid0(VALU_DEP_1) | instskip(NEXT) | instid1(SALU_CYCLE_1)
	s_bfe_i64 s[24:25], s[24:25], 0x200000
	v_cmp_lt_i64_e64 s11, s[24:25], s[12:13]
	s_delay_alu instid0(VALU_DEP_1)
	s_and_b32 vcc_lo, exec_lo, s11
	s_cbranch_vccz .LBB24_45
.LBB24_7:                               ; =>This Loop Header: Depth=1
                                        ;     Child Loop BB24_10 Depth 2
	v_dual_mov_b32 v12, s12 :: v_dual_add_nc_u32 v15, v16, v5
	v_dual_mov_b32 v13, s13 :: v_dual_mov_b32 v4, v2
	s_mov_b32 s23, exec_lo
	ds_store_b8 v3, v3 offset:4096
	ds_store_2addr_b32 v29, v3, v3 offset1:8
	ds_store_2addr_b32 v29, v3, v3 offset0:16 offset1:24
	s_waitcnt lgkmcnt(0)
	s_barrier
	buffer_gl0_inv
	v_cmpx_lt_i32_e64 v15, v2
	s_cbranch_execz .LBB24_19
; %bb.8:                                ;   in Loop: Header=BB24_7 Depth=1
	v_dual_mov_b32 v12, s12 :: v_dual_mov_b32 v13, s13
	v_mov_b32_e32 v31, v2
	s_mul_i32 s38, s24, s14
	s_mov_b32 s37, 0
	s_branch .LBB24_10
.LBB24_9:                               ;   in Loop: Header=BB24_10 Depth=2
	s_or_b32 exec_lo, exec_lo, s11
	v_add_nc_u32_e32 v15, 8, v15
	s_xor_b32 s11, vcc_lo, -1
	v_mov_b32_e32 v31, v4
	s_delay_alu instid0(VALU_DEP_2) | instskip(NEXT) | instid1(VALU_DEP_1)
	v_cmp_ge_i32_e64 s9, v15, v2
	s_or_b32 s9, s11, s9
	s_delay_alu instid0(SALU_CYCLE_1) | instskip(NEXT) | instid1(SALU_CYCLE_1)
	s_and_b32 s9, exec_lo, s9
	s_or_b32 s37, s9, s37
	s_delay_alu instid0(SALU_CYCLE_1)
	s_and_not1_b32 exec_lo, exec_lo, s37
	s_cbranch_execz .LBB24_18
.LBB24_10:                              ;   Parent Loop BB24_7 Depth=1
                                        ; =>  This Inner Loop Header: Depth=2
	v_ashrrev_i32_e32 v16, 31, v15
	s_mov_b32 s9, exec_lo
	s_delay_alu instid0(VALU_DEP_1) | instskip(NEXT) | instid1(VALU_DEP_1)
	v_lshlrev_b64 v[17:18], 3, v[15:16]
	v_add_co_u32 v17, vcc_lo, s18, v17
	s_delay_alu instid0(VALU_DEP_2) | instskip(SKIP_4) | instid1(VALU_DEP_1)
	v_add_co_ci_u32_e32 v18, vcc_lo, s19, v18, vcc_lo
	global_load_b64 v[17:18], v[17:18], off
	s_waitcnt vmcnt(0)
	v_sub_co_u32 v32, vcc_lo, v17, s28
	v_subrev_co_ci_u32_e32 v33, vcc_lo, 0, v18, vcc_lo
                                        ; implicit-def: $vgpr17_vgpr18
	v_or_b32_e32 v4, s15, v33
	s_delay_alu instid0(VALU_DEP_1)
	v_cmpx_ne_u64_e32 0, v[3:4]
	s_xor_b32 s39, exec_lo, s9
	s_cbranch_execz .LBB24_12
; %bb.11:                               ;   in Loop: Header=BB24_10 Depth=2
	s_add_u32 s26, s14, s10
	s_mov_b32 s11, s10
	s_addc_u32 s27, s15, s10
	s_delay_alu instid0(SALU_CYCLE_1) | instskip(NEXT) | instid1(SALU_CYCLE_1)
	s_xor_b64 s[26:27], s[26:27], s[10:11]
	v_cvt_f32_u32_e32 v4, s26
	v_cvt_f32_u32_e32 v17, s27
	s_sub_u32 s9, 0, s26
	s_subb_u32 s11, 0, s27
	s_delay_alu instid0(VALU_DEP_1) | instskip(NEXT) | instid1(VALU_DEP_1)
	v_fmac_f32_e32 v4, 0x4f800000, v17
	v_rcp_f32_e32 v4, v4
	s_waitcnt_depctr 0xfff
	v_mul_f32_e32 v4, 0x5f7ffffc, v4
	s_delay_alu instid0(VALU_DEP_1) | instskip(NEXT) | instid1(VALU_DEP_1)
	v_mul_f32_e32 v17, 0x2f800000, v4
	v_trunc_f32_e32 v17, v17
	s_delay_alu instid0(VALU_DEP_1) | instskip(SKIP_1) | instid1(VALU_DEP_2)
	v_fmac_f32_e32 v4, 0xcf800000, v17
	v_cvt_u32_f32_e32 v17, v17
	v_cvt_u32_f32_e32 v4, v4
	s_delay_alu instid0(VALU_DEP_2) | instskip(NEXT) | instid1(VALU_DEP_2)
	v_mul_lo_u32 v18, s9, v17
	v_mul_hi_u32 v34, s9, v4
	v_mul_lo_u32 v35, s11, v4
	s_delay_alu instid0(VALU_DEP_2) | instskip(SKIP_1) | instid1(VALU_DEP_2)
	v_add_nc_u32_e32 v18, v34, v18
	v_mul_lo_u32 v34, s9, v4
	v_add_nc_u32_e32 v18, v18, v35
	s_delay_alu instid0(VALU_DEP_2) | instskip(NEXT) | instid1(VALU_DEP_2)
	v_mul_hi_u32 v35, v4, v34
	v_mul_lo_u32 v36, v4, v18
	v_mul_hi_u32 v37, v4, v18
	v_mul_hi_u32 v38, v17, v34
	v_mul_lo_u32 v34, v17, v34
	v_mul_hi_u32 v39, v17, v18
	v_mul_lo_u32 v18, v17, v18
	v_add_co_u32 v35, vcc_lo, v35, v36
	v_add_co_ci_u32_e32 v36, vcc_lo, 0, v37, vcc_lo
	s_delay_alu instid0(VALU_DEP_2) | instskip(NEXT) | instid1(VALU_DEP_2)
	v_add_co_u32 v34, vcc_lo, v35, v34
	v_add_co_ci_u32_e32 v34, vcc_lo, v36, v38, vcc_lo
	v_add_co_ci_u32_e32 v35, vcc_lo, 0, v39, vcc_lo
	v_ashrrev_i32_e32 v38, 31, v33
	s_delay_alu instid0(VALU_DEP_3) | instskip(NEXT) | instid1(VALU_DEP_3)
	v_add_co_u32 v18, vcc_lo, v34, v18
	v_add_co_ci_u32_e32 v34, vcc_lo, 0, v35, vcc_lo
	s_delay_alu instid0(VALU_DEP_2) | instskip(NEXT) | instid1(VALU_DEP_2)
	v_add_co_u32 v4, vcc_lo, v4, v18
	v_add_co_ci_u32_e32 v17, vcc_lo, v17, v34, vcc_lo
	s_delay_alu instid0(VALU_DEP_2) | instskip(SKIP_1) | instid1(VALU_DEP_3)
	v_mul_hi_u32 v18, s9, v4
	v_mul_lo_u32 v35, s11, v4
	v_mul_lo_u32 v34, s9, v17
	s_delay_alu instid0(VALU_DEP_1) | instskip(SKIP_1) | instid1(VALU_DEP_2)
	v_add_nc_u32_e32 v18, v18, v34
	v_mul_lo_u32 v34, s9, v4
	v_add_nc_u32_e32 v18, v18, v35
	s_delay_alu instid0(VALU_DEP_2) | instskip(NEXT) | instid1(VALU_DEP_2)
	v_mul_hi_u32 v35, v4, v34
	v_mul_lo_u32 v36, v4, v18
	v_mul_hi_u32 v37, v4, v18
	v_mul_hi_u32 v39, v17, v34
	v_mul_lo_u32 v34, v17, v34
	v_mul_hi_u32 v40, v17, v18
	v_mul_lo_u32 v18, v17, v18
	v_add_co_u32 v35, vcc_lo, v35, v36
	v_add_co_ci_u32_e32 v36, vcc_lo, 0, v37, vcc_lo
	s_delay_alu instid0(VALU_DEP_2) | instskip(NEXT) | instid1(VALU_DEP_2)
	v_add_co_u32 v34, vcc_lo, v35, v34
	v_add_co_ci_u32_e32 v34, vcc_lo, v36, v39, vcc_lo
	v_add_co_ci_u32_e32 v35, vcc_lo, 0, v40, vcc_lo
	v_add_co_u32 v36, vcc_lo, v32, v38
	v_add_co_ci_u32_e32 v33, vcc_lo, v33, v38, vcc_lo
	s_delay_alu instid0(VALU_DEP_4) | instskip(NEXT) | instid1(VALU_DEP_4)
	v_add_co_u32 v18, vcc_lo, v34, v18
	v_add_co_ci_u32_e32 v34, vcc_lo, 0, v35, vcc_lo
	s_delay_alu instid0(VALU_DEP_4) | instskip(NEXT) | instid1(VALU_DEP_3)
	v_xor_b32_e32 v37, v36, v38
	v_add_co_u32 v4, vcc_lo, v4, v18
	s_delay_alu instid0(VALU_DEP_3) | instskip(SKIP_1) | instid1(VALU_DEP_3)
	v_add_co_ci_u32_e32 v39, vcc_lo, v17, v34, vcc_lo
	v_xor_b32_e32 v40, v33, v38
	v_mul_hi_u32 v41, v37, v4
	s_delay_alu instid0(VALU_DEP_3) | instskip(NEXT) | instid1(VALU_DEP_3)
	v_mad_u64_u32 v[17:18], null, v37, v39, 0
	v_mad_u64_u32 v[33:34], null, v40, v4, 0
	;; [unrolled: 1-line block ×3, first 2 shown]
	s_delay_alu instid0(VALU_DEP_3) | instskip(NEXT) | instid1(VALU_DEP_4)
	v_add_co_u32 v4, vcc_lo, v41, v17
	v_add_co_ci_u32_e32 v17, vcc_lo, 0, v18, vcc_lo
	s_delay_alu instid0(VALU_DEP_2) | instskip(NEXT) | instid1(VALU_DEP_2)
	v_add_co_u32 v4, vcc_lo, v4, v33
	v_add_co_ci_u32_e32 v4, vcc_lo, v17, v34, vcc_lo
	v_add_co_ci_u32_e32 v17, vcc_lo, 0, v36, vcc_lo
	s_delay_alu instid0(VALU_DEP_2) | instskip(NEXT) | instid1(VALU_DEP_2)
	v_add_co_u32 v4, vcc_lo, v4, v35
	v_add_co_ci_u32_e32 v33, vcc_lo, 0, v17, vcc_lo
	s_delay_alu instid0(VALU_DEP_2) | instskip(SKIP_1) | instid1(VALU_DEP_3)
	v_mul_lo_u32 v34, s27, v4
	v_mad_u64_u32 v[17:18], null, s26, v4, 0
	v_mul_lo_u32 v35, s26, v33
	s_delay_alu instid0(VALU_DEP_2) | instskip(NEXT) | instid1(VALU_DEP_2)
	v_sub_co_u32 v17, vcc_lo, v37, v17
	v_add3_u32 v18, v18, v35, v34
	s_delay_alu instid0(VALU_DEP_1) | instskip(NEXT) | instid1(VALU_DEP_1)
	v_sub_nc_u32_e32 v34, v40, v18
	v_subrev_co_ci_u32_e64 v34, s9, s27, v34, vcc_lo
	v_add_co_u32 v35, s9, v4, 2
	s_delay_alu instid0(VALU_DEP_1) | instskip(SKIP_3) | instid1(VALU_DEP_3)
	v_add_co_ci_u32_e64 v36, s9, 0, v33, s9
	v_sub_co_u32 v37, s9, v17, s26
	v_sub_co_ci_u32_e32 v18, vcc_lo, v40, v18, vcc_lo
	v_subrev_co_ci_u32_e64 v34, s9, 0, v34, s9
	v_cmp_le_u32_e32 vcc_lo, s26, v37
	s_delay_alu instid0(VALU_DEP_3) | instskip(SKIP_1) | instid1(VALU_DEP_4)
	v_cmp_eq_u32_e64 s9, s27, v18
	v_cndmask_b32_e64 v37, 0, -1, vcc_lo
	v_cmp_le_u32_e32 vcc_lo, s27, v34
	v_cndmask_b32_e64 v39, 0, -1, vcc_lo
	v_cmp_le_u32_e32 vcc_lo, s26, v17
	v_cndmask_b32_e64 v17, 0, -1, vcc_lo
	v_cmp_le_u32_e32 vcc_lo, s27, v18
	v_cndmask_b32_e64 v40, 0, -1, vcc_lo
	v_cmp_eq_u32_e32 vcc_lo, s27, v34
	s_delay_alu instid0(VALU_DEP_2) | instskip(SKIP_3) | instid1(VALU_DEP_3)
	v_cndmask_b32_e64 v17, v40, v17, s9
	v_cndmask_b32_e32 v34, v39, v37, vcc_lo
	v_add_co_u32 v37, vcc_lo, v4, 1
	v_add_co_ci_u32_e32 v39, vcc_lo, 0, v33, vcc_lo
	v_cmp_ne_u32_e32 vcc_lo, 0, v34
	s_delay_alu instid0(VALU_DEP_2) | instskip(NEXT) | instid1(VALU_DEP_4)
	v_cndmask_b32_e32 v18, v39, v36, vcc_lo
	v_cndmask_b32_e32 v34, v37, v35, vcc_lo
	v_cmp_ne_u32_e32 vcc_lo, 0, v17
	v_xor_b32_e32 v35, s10, v38
	s_delay_alu instid0(VALU_DEP_3) | instskip(SKIP_1) | instid1(VALU_DEP_2)
	v_cndmask_b32_e32 v4, v4, v34, vcc_lo
	v_cndmask_b32_e32 v17, v33, v18, vcc_lo
	v_xor_b32_e32 v4, v4, v35
	s_delay_alu instid0(VALU_DEP_2) | instskip(NEXT) | instid1(VALU_DEP_2)
	v_xor_b32_e32 v18, v17, v35
	v_sub_co_u32 v17, vcc_lo, v4, v35
	s_delay_alu instid0(VALU_DEP_2)
	v_sub_co_ci_u32_e32 v18, vcc_lo, v18, v35, vcc_lo
.LBB24_12:                              ;   in Loop: Header=BB24_10 Depth=2
	s_and_not1_saveexec_b32 s9, s39
	s_cbranch_execz .LBB24_14
; %bb.13:                               ;   in Loop: Header=BB24_10 Depth=2
	v_cvt_f32_u32_e32 v4, s14
	s_sub_i32 s11, 0, s14
	s_delay_alu instid0(VALU_DEP_1) | instskip(SKIP_2) | instid1(VALU_DEP_1)
	v_rcp_iflag_f32_e32 v4, v4
	s_waitcnt_depctr 0xfff
	v_mul_f32_e32 v4, 0x4f7ffffe, v4
	v_cvt_u32_f32_e32 v4, v4
	s_delay_alu instid0(VALU_DEP_1) | instskip(NEXT) | instid1(VALU_DEP_1)
	v_mul_lo_u32 v17, s11, v4
	v_mul_hi_u32 v17, v4, v17
	s_delay_alu instid0(VALU_DEP_1) | instskip(NEXT) | instid1(VALU_DEP_1)
	v_add_nc_u32_e32 v4, v4, v17
	v_mul_hi_u32 v4, v32, v4
	s_delay_alu instid0(VALU_DEP_1) | instskip(SKIP_1) | instid1(VALU_DEP_2)
	v_mul_lo_u32 v17, v4, s14
	v_add_nc_u32_e32 v18, 1, v4
	v_sub_nc_u32_e32 v17, v32, v17
	s_delay_alu instid0(VALU_DEP_1) | instskip(SKIP_1) | instid1(VALU_DEP_2)
	v_subrev_nc_u32_e32 v33, s14, v17
	v_cmp_le_u32_e32 vcc_lo, s14, v17
	v_dual_cndmask_b32 v17, v17, v33 :: v_dual_cndmask_b32 v4, v4, v18
	s_delay_alu instid0(VALU_DEP_1) | instskip(NEXT) | instid1(VALU_DEP_2)
	v_cmp_le_u32_e32 vcc_lo, s14, v17
	v_add_nc_u32_e32 v18, 1, v4
	s_delay_alu instid0(VALU_DEP_1)
	v_dual_cndmask_b32 v17, v4, v18 :: v_dual_mov_b32 v18, v3
.LBB24_14:                              ;   in Loop: Header=BB24_10 Depth=2
	s_or_b32 exec_lo, exec_lo, s9
	s_delay_alu instid0(VALU_DEP_1)
	v_cmp_eq_u64_e32 vcc_lo, s[24:25], v[17:18]
	s_mov_b32 s11, exec_lo
	v_cmpx_ne_u64_e64 s[24:25], v[17:18]
	s_xor_b32 s11, exec_lo, s11
; %bb.15:                               ;   in Loop: Header=BB24_10 Depth=2
	v_cmp_lt_i64_e64 s9, v[17:18], v[12:13]
                                        ; implicit-def: $vgpr32
                                        ; implicit-def: $vgpr31
	s_delay_alu instid0(VALU_DEP_1)
	v_cndmask_b32_e64 v13, v13, v18, s9
	v_cndmask_b32_e64 v12, v12, v17, s9
; %bb.16:                               ;   in Loop: Header=BB24_10 Depth=2
	s_or_saveexec_b32 s11, s11
	v_mov_b32_e32 v4, v15
	s_xor_b32 exec_lo, exec_lo, s11
	s_cbranch_execz .LBB24_9
; %bb.17:                               ;   in Loop: Header=BB24_10 Depth=2
	v_lshlrev_b64 v[16:17], 2, v[15:16]
	v_subrev_nc_u32_e32 v4, s38, v32
	s_delay_alu instid0(VALU_DEP_2) | instskip(NEXT) | instid1(VALU_DEP_1)
	v_add_co_u32 v16, s9, s20, v16
	v_add_co_ci_u32_e64 v17, s9, s21, v17, s9
	global_load_b32 v16, v[16:17], off
	v_add_lshl_u32 v17, v19, v4, 2
	v_mov_b32_e32 v4, v31
	ds_store_b8 v3, v30 offset:4096
	s_waitcnt vmcnt(0)
	ds_store_b32 v17, v16
	s_branch .LBB24_9
.LBB24_18:                              ;   in Loop: Header=BB24_7 Depth=1
	s_or_b32 exec_lo, exec_lo, s37
.LBB24_19:                              ;   in Loop: Header=BB24_7 Depth=1
	s_delay_alu instid0(SALU_CYCLE_1)
	s_or_b32 exec_lo, exec_lo, s23
	ds_bpermute_b32 v15, v21, v4
	s_waitcnt lgkmcnt(0)
	s_barrier
	buffer_gl0_inv
	ds_load_u8 v17, v3 offset:4096
	s_mov_b32 s9, 0
	v_min_i32_e32 v4, v15, v4
	s_waitcnt lgkmcnt(0)
	v_cmp_eq_u32_e32 vcc_lo, 0, v17
	ds_bpermute_b32 v15, v22, v4
	s_and_b32 vcc_lo, exec_lo, vcc_lo
	s_waitcnt lgkmcnt(0)
	v_min_i32_e32 v4, v15, v4
	ds_bpermute_b32 v15, v23, v4
	s_waitcnt lgkmcnt(0)
	v_min_i32_e32 v4, v15, v4
	ds_bpermute_b32 v16, v20, v4
	s_cbranch_vccnz .LBB24_26
; %bb.20:                               ;   in Loop: Header=BB24_7 Depth=1
	s_ashr_i32 s23, s22, 31
	s_mul_hi_u32 s9, s29, s22
	s_lshl_b64 s[24:25], s[22:23], 3
	s_mul_i32 s11, s29, s23
	s_add_u32 s24, s16, s24
	s_addc_u32 s25, s17, s25
	s_add_i32 s9, s9, s11
	s_mul_i32 s11, s31, s22
	s_mul_i32 s26, s29, s22
	s_add_i32 s27, s9, s11
	v_add_nc_u32_e32 v31, s30, v14
	s_lshl_b64 s[26:27], s[26:27], 2
	s_delay_alu instid0(SALU_CYCLE_1)
	v_add_co_u32 v4, vcc_lo, v24, s26
	v_add_co_ci_u32_e32 v14, vcc_lo, s27, v25, vcc_lo
	v_add_co_u32 v15, vcc_lo, v26, s26
	v_ashrrev_i32_e32 v32, 31, v31
	v_add_co_ci_u32_e32 v17, vcc_lo, s27, v27, vcc_lo
	global_store_b64 v3, v[31:32], s[24:25]
	s_and_saveexec_b32 s9, s33
	s_cbranch_execnz .LBB24_42
; %bb.21:                               ;   in Loop: Header=BB24_7 Depth=1
	s_or_b32 exec_lo, exec_lo, s9
	s_and_saveexec_b32 s9, s34
	s_cbranch_execnz .LBB24_43
.LBB24_22:                              ;   in Loop: Header=BB24_7 Depth=1
	s_or_b32 exec_lo, exec_lo, s9
	s_and_saveexec_b32 s9, s35
	s_cbranch_execnz .LBB24_44
.LBB24_23:                              ;   in Loop: Header=BB24_7 Depth=1
	s_or_b32 exec_lo, exec_lo, s9
	s_and_saveexec_b32 s9, s36
	s_cbranch_execz .LBB24_25
.LBB24_24:                              ;   in Loop: Header=BB24_7 Depth=1
	ds_load_b32 v18, v29 offset:96
	v_add_co_u32 v31, vcc_lo, 0x60, v15
	v_add_co_ci_u32_e32 v15, vcc_lo, 0, v17, vcc_lo
	v_add_co_u32 v4, vcc_lo, v4, v10
	v_add_co_ci_u32_e32 v14, vcc_lo, v14, v11, vcc_lo
	s_delay_alu instid0(VALU_DEP_1) | instskip(NEXT) | instid1(VALU_DEP_3)
	v_cndmask_b32_e64 v15, v14, v15, s0
	v_cndmask_b32_e64 v14, v4, v31, s0
	s_waitcnt lgkmcnt(0)
	global_store_b32 v[14:15], v18, off
.LBB24_25:                              ;   in Loop: Header=BB24_7 Depth=1
	s_or_b32 exec_lo, exec_lo, s9
	s_mov_b32 s9, 1
.LBB24_26:                              ;   in Loop: Header=BB24_7 Depth=1
	s_waitcnt lgkmcnt(0)
	s_waitcnt_vscnt null, 0x0
	s_barrier
	buffer_gl0_inv
	ds_store_b64 v28, v[12:13]
	s_waitcnt lgkmcnt(0)
	s_barrier
	buffer_gl0_inv
	s_and_saveexec_b32 s11, s1
	s_cbranch_execz .LBB24_28
; %bb.27:                               ;   in Loop: Header=BB24_7 Depth=1
	ds_load_2addr_stride64_b64 v[12:15], v28 offset1:2
	s_waitcnt lgkmcnt(0)
	v_cmp_lt_i64_e32 vcc_lo, v[14:15], v[12:13]
	v_dual_cndmask_b32 v13, v13, v15 :: v_dual_cndmask_b32 v12, v12, v14
	ds_store_b64 v28, v[12:13]
.LBB24_28:                              ;   in Loop: Header=BB24_7 Depth=1
	s_or_b32 exec_lo, exec_lo, s11
	s_waitcnt lgkmcnt(0)
	s_barrier
	buffer_gl0_inv
	s_and_saveexec_b32 s11, s2
	s_cbranch_execz .LBB24_30
; %bb.29:                               ;   in Loop: Header=BB24_7 Depth=1
	ds_load_2addr_stride64_b64 v[12:15], v28 offset1:1
	s_waitcnt lgkmcnt(0)
	v_cmp_lt_i64_e32 vcc_lo, v[14:15], v[12:13]
	v_dual_cndmask_b32 v13, v13, v15 :: v_dual_cndmask_b32 v12, v12, v14
	ds_store_b64 v28, v[12:13]
.LBB24_30:                              ;   in Loop: Header=BB24_7 Depth=1
	s_or_b32 exec_lo, exec_lo, s11
	s_waitcnt lgkmcnt(0)
	s_barrier
	buffer_gl0_inv
	s_and_saveexec_b32 s11, s3
	s_cbranch_execz .LBB24_32
; %bb.31:                               ;   in Loop: Header=BB24_7 Depth=1
	ds_load_2addr_b64 v[12:15], v28 offset1:32
	s_waitcnt lgkmcnt(0)
	v_cmp_lt_i64_e32 vcc_lo, v[14:15], v[12:13]
	v_dual_cndmask_b32 v13, v13, v15 :: v_dual_cndmask_b32 v12, v12, v14
	ds_store_b64 v28, v[12:13]
.LBB24_32:                              ;   in Loop: Header=BB24_7 Depth=1
	s_or_b32 exec_lo, exec_lo, s11
	s_waitcnt lgkmcnt(0)
	s_barrier
	buffer_gl0_inv
	s_and_saveexec_b32 s11, s4
	s_cbranch_execz .LBB24_34
; %bb.33:                               ;   in Loop: Header=BB24_7 Depth=1
	ds_load_2addr_b64 v[12:15], v28 offset1:16
	s_waitcnt lgkmcnt(0)
	v_cmp_lt_i64_e32 vcc_lo, v[14:15], v[12:13]
	v_dual_cndmask_b32 v13, v13, v15 :: v_dual_cndmask_b32 v12, v12, v14
	ds_store_b64 v28, v[12:13]
.LBB24_34:                              ;   in Loop: Header=BB24_7 Depth=1
	;; [unrolled: 13-line block ×5, first 2 shown]
	s_or_b32 exec_lo, exec_lo, s11
	s_waitcnt lgkmcnt(0)
	s_barrier
	buffer_gl0_inv
	s_and_saveexec_b32 s11, s8
	s_cbranch_execz .LBB24_6
; %bb.41:                               ;   in Loop: Header=BB24_7 Depth=1
	ds_load_b128 v[12:15], v3
	s_waitcnt lgkmcnt(0)
	v_cmp_lt_i64_e32 vcc_lo, v[14:15], v[12:13]
	v_dual_cndmask_b32 v13, v13, v15 :: v_dual_cndmask_b32 v12, v12, v14
	ds_store_b64 v3, v[12:13]
	s_branch .LBB24_6
.LBB24_42:                              ;   in Loop: Header=BB24_7 Depth=1
	ds_load_b32 v18, v29
	v_add_co_u32 v31, vcc_lo, v4, v0
	v_add_co_ci_u32_e32 v32, vcc_lo, v14, v1, vcc_lo
	s_delay_alu instid0(VALU_DEP_2) | instskip(NEXT) | instid1(VALU_DEP_2)
	v_cndmask_b32_e64 v31, v31, v15, s0
	v_cndmask_b32_e64 v32, v32, v17, s0
	s_waitcnt lgkmcnt(0)
	global_store_b32 v[31:32], v18, off
	s_or_b32 exec_lo, exec_lo, s9
	s_and_saveexec_b32 s9, s34
	s_cbranch_execz .LBB24_22
.LBB24_43:                              ;   in Loop: Header=BB24_7 Depth=1
	ds_load_b32 v18, v29 offset:32
	v_add_co_u32 v31, vcc_lo, v15, 32
	v_add_co_ci_u32_e32 v32, vcc_lo, 0, v17, vcc_lo
	v_add_co_u32 v33, vcc_lo, v4, v6
	v_add_co_ci_u32_e32 v34, vcc_lo, v14, v7, vcc_lo
	s_delay_alu instid0(VALU_DEP_2) | instskip(NEXT) | instid1(VALU_DEP_2)
	v_cndmask_b32_e64 v31, v33, v31, s0
	v_cndmask_b32_e64 v32, v34, v32, s0
	s_waitcnt lgkmcnt(0)
	global_store_b32 v[31:32], v18, off
	s_or_b32 exec_lo, exec_lo, s9
	s_and_saveexec_b32 s9, s35
	s_cbranch_execz .LBB24_23
.LBB24_44:                              ;   in Loop: Header=BB24_7 Depth=1
	ds_load_b32 v18, v29 offset:64
	v_add_co_u32 v31, vcc_lo, v15, 64
	v_add_co_ci_u32_e32 v32, vcc_lo, 0, v17, vcc_lo
	v_add_co_u32 v33, vcc_lo, v4, v8
	v_add_co_ci_u32_e32 v34, vcc_lo, v14, v9, vcc_lo
	s_delay_alu instid0(VALU_DEP_2) | instskip(NEXT) | instid1(VALU_DEP_2)
	v_cndmask_b32_e64 v31, v33, v31, s0
	v_cndmask_b32_e64 v32, v34, v32, s0
	s_waitcnt lgkmcnt(0)
	global_store_b32 v[31:32], v18, off
	s_or_b32 exec_lo, exec_lo, s9
	s_and_saveexec_b32 s9, s36
	s_cbranch_execnz .LBB24_24
	s_branch .LBB24_25
.LBB24_45:
	s_endpgm
	.section	.rodata,"a",@progbits
	.p2align	6, 0x0
	.amdhsa_kernel _ZN9rocsparseL38csr2bsr_block_per_row_multipass_kernelILj256ELj32EiilEEv20rocsparse_direction_T3_S2_S2_S2_S2_21rocsparse_index_base_PKT1_PKT2_PKS2_S3_PS4_PS7_PS2_
		.amdhsa_group_segment_fixed_size 4100
		.amdhsa_private_segment_fixed_size 0
		.amdhsa_kernarg_size 112
		.amdhsa_user_sgpr_count 15
		.amdhsa_user_sgpr_dispatch_ptr 0
		.amdhsa_user_sgpr_queue_ptr 0
		.amdhsa_user_sgpr_kernarg_segment_ptr 1
		.amdhsa_user_sgpr_dispatch_id 0
		.amdhsa_user_sgpr_private_segment_size 0
		.amdhsa_wavefront_size32 1
		.amdhsa_uses_dynamic_stack 0
		.amdhsa_enable_private_segment 0
		.amdhsa_system_sgpr_workgroup_id_x 1
		.amdhsa_system_sgpr_workgroup_id_y 0
		.amdhsa_system_sgpr_workgroup_id_z 0
		.amdhsa_system_sgpr_workgroup_info 0
		.amdhsa_system_vgpr_workitem_id 0
		.amdhsa_next_free_vgpr 42
		.amdhsa_next_free_sgpr 40
		.amdhsa_reserve_vcc 1
		.amdhsa_float_round_mode_32 0
		.amdhsa_float_round_mode_16_64 0
		.amdhsa_float_denorm_mode_32 3
		.amdhsa_float_denorm_mode_16_64 3
		.amdhsa_dx10_clamp 1
		.amdhsa_ieee_mode 1
		.amdhsa_fp16_overflow 0
		.amdhsa_workgroup_processor_mode 1
		.amdhsa_memory_ordered 1
		.amdhsa_forward_progress 0
		.amdhsa_shared_vgpr_count 0
		.amdhsa_exception_fp_ieee_invalid_op 0
		.amdhsa_exception_fp_denorm_src 0
		.amdhsa_exception_fp_ieee_div_zero 0
		.amdhsa_exception_fp_ieee_overflow 0
		.amdhsa_exception_fp_ieee_underflow 0
		.amdhsa_exception_fp_ieee_inexact 0
		.amdhsa_exception_int_div_zero 0
	.end_amdhsa_kernel
	.section	.text._ZN9rocsparseL38csr2bsr_block_per_row_multipass_kernelILj256ELj32EiilEEv20rocsparse_direction_T3_S2_S2_S2_S2_21rocsparse_index_base_PKT1_PKT2_PKS2_S3_PS4_PS7_PS2_,"axG",@progbits,_ZN9rocsparseL38csr2bsr_block_per_row_multipass_kernelILj256ELj32EiilEEv20rocsparse_direction_T3_S2_S2_S2_S2_21rocsparse_index_base_PKT1_PKT2_PKS2_S3_PS4_PS7_PS2_,comdat
.Lfunc_end24:
	.size	_ZN9rocsparseL38csr2bsr_block_per_row_multipass_kernelILj256ELj32EiilEEv20rocsparse_direction_T3_S2_S2_S2_S2_21rocsparse_index_base_PKT1_PKT2_PKS2_S3_PS4_PS7_PS2_, .Lfunc_end24-_ZN9rocsparseL38csr2bsr_block_per_row_multipass_kernelILj256ELj32EiilEEv20rocsparse_direction_T3_S2_S2_S2_S2_21rocsparse_index_base_PKT1_PKT2_PKS2_S3_PS4_PS7_PS2_
                                        ; -- End function
	.section	.AMDGPU.csdata,"",@progbits
; Kernel info:
; codeLenInByte = 3352
; NumSgprs: 42
; NumVgprs: 42
; ScratchSize: 0
; MemoryBound: 0
; FloatMode: 240
; IeeeMode: 1
; LDSByteSize: 4100 bytes/workgroup (compile time only)
; SGPRBlocks: 5
; VGPRBlocks: 5
; NumSGPRsForWavesPerEU: 42
; NumVGPRsForWavesPerEU: 42
; Occupancy: 16
; WaveLimiterHint : 1
; COMPUTE_PGM_RSRC2:SCRATCH_EN: 0
; COMPUTE_PGM_RSRC2:USER_SGPR: 15
; COMPUTE_PGM_RSRC2:TRAP_HANDLER: 0
; COMPUTE_PGM_RSRC2:TGID_X_EN: 1
; COMPUTE_PGM_RSRC2:TGID_Y_EN: 0
; COMPUTE_PGM_RSRC2:TGID_Z_EN: 0
; COMPUTE_PGM_RSRC2:TIDIG_COMP_CNT: 0
	.section	.text._ZN9rocsparseL38csr2bsr_block_per_row_multipass_kernelILj256ELj64EiilEEv20rocsparse_direction_T3_S2_S2_S2_S2_21rocsparse_index_base_PKT1_PKT2_PKS2_S3_PS4_PS7_PS2_,"axG",@progbits,_ZN9rocsparseL38csr2bsr_block_per_row_multipass_kernelILj256ELj64EiilEEv20rocsparse_direction_T3_S2_S2_S2_S2_21rocsparse_index_base_PKT1_PKT2_PKS2_S3_PS4_PS7_PS2_,comdat
	.globl	_ZN9rocsparseL38csr2bsr_block_per_row_multipass_kernelILj256ELj64EiilEEv20rocsparse_direction_T3_S2_S2_S2_S2_21rocsparse_index_base_PKT1_PKT2_PKS2_S3_PS4_PS7_PS2_ ; -- Begin function _ZN9rocsparseL38csr2bsr_block_per_row_multipass_kernelILj256ELj64EiilEEv20rocsparse_direction_T3_S2_S2_S2_S2_21rocsparse_index_base_PKT1_PKT2_PKS2_S3_PS4_PS7_PS2_
	.p2align	8
	.type	_ZN9rocsparseL38csr2bsr_block_per_row_multipass_kernelILj256ELj64EiilEEv20rocsparse_direction_T3_S2_S2_S2_S2_21rocsparse_index_base_PKT1_PKT2_PKS2_S3_PS4_PS7_PS2_,@function
_ZN9rocsparseL38csr2bsr_block_per_row_multipass_kernelILj256ELj64EiilEEv20rocsparse_direction_T3_S2_S2_S2_S2_21rocsparse_index_base_PKT1_PKT2_PKS2_S3_PS4_PS7_PS2_: ; @_ZN9rocsparseL38csr2bsr_block_per_row_multipass_kernelILj256ELj64EiilEEv20rocsparse_direction_T3_S2_S2_S2_S2_21rocsparse_index_base_PKT1_PKT2_PKS2_S3_PS4_PS7_PS2_
; %bb.0:
	s_mov_b32 s2, s15
	s_clause 0x1
	s_load_b128 s[12:15], s[0:1], 0x20
	s_load_b64 s[6:7], s[0:1], 0x8
	v_mov_b32_e32 v2, 0
	v_lshrrev_b32_e32 v1, 2, v0
	s_clause 0x1
	s_load_b32 s28, s[0:1], 0x30
	s_load_b64 s[4:5], s[0:1], 0x40
	s_ashr_i32 s3, s2, 31
	v_mov_b32_e32 v40, v2
	s_waitcnt lgkmcnt(0)
	v_mad_u64_u32 v[3:4], null, s2, s14, v[1:2]
	s_mul_i32 s8, s2, s15
	s_mul_i32 s9, s3, s14
	s_delay_alu instid0(VALU_DEP_1) | instid1(SALU_CYCLE_1)
	v_add3_u32 v4, s8, s9, v4
	v_cmp_gt_i64_e64 s9, s[14:15], v[1:2]
	s_delay_alu instid0(VALU_DEP_2) | instskip(NEXT) | instid1(VALU_DEP_2)
	v_cmp_gt_i64_e32 vcc_lo, s[6:7], v[3:4]
	s_and_b32 s6, s9, vcc_lo
	s_delay_alu instid0(SALU_CYCLE_1)
	s_and_saveexec_b32 s7, s6
	s_cbranch_execnz .LBB25_3
; %bb.1:
	s_or_b32 exec_lo, exec_lo, s7
	s_and_saveexec_b32 s7, s6
	s_cbranch_execnz .LBB25_4
.LBB25_2:
	s_or_b32 exec_lo, exec_lo, s7
	v_cmp_lt_i64_e64 s4, s[12:13], 1
	s_delay_alu instid0(VALU_DEP_1)
	s_and_b32 vcc_lo, exec_lo, s4
	s_cbranch_vccz .LBB25_5
	s_branch .LBB25_69
.LBB25_3:
	v_lshlrev_b64 v[5:6], 2, v[3:4]
	s_delay_alu instid0(VALU_DEP_1) | instskip(NEXT) | instid1(VALU_DEP_2)
	v_add_co_u32 v5, vcc_lo, s4, v5
	v_add_co_ci_u32_e32 v6, vcc_lo, s5, v6, vcc_lo
	global_load_b32 v5, v[5:6], off
	s_waitcnt vmcnt(0)
	v_subrev_nc_u32_e32 v40, s28, v5
	s_or_b32 exec_lo, exec_lo, s7
	s_and_saveexec_b32 s7, s6
	s_cbranch_execz .LBB25_2
.LBB25_4:
	v_lshlrev_b64 v[2:3], 2, v[3:4]
	s_delay_alu instid0(VALU_DEP_1) | instskip(NEXT) | instid1(VALU_DEP_2)
	v_add_co_u32 v2, vcc_lo, s4, v2
	v_add_co_ci_u32_e32 v3, vcc_lo, s5, v3, vcc_lo
	global_load_b32 v2, v[2:3], off offset:4
	s_waitcnt vmcnt(0)
	v_subrev_nc_u32_e32 v2, s28, v2
	s_or_b32 exec_lo, exec_lo, s7
	v_cmp_lt_i64_e64 s4, s[12:13], 1
	s_delay_alu instid0(VALU_DEP_1)
	s_and_b32 vcc_lo, exec_lo, s4
	s_cbranch_vccnz .LBB25_69
.LBB25_5:
	s_clause 0x1
	s_load_b128 s[4:7], s[0:1], 0x58
	s_load_b64 s[16:17], s[0:1], 0x68
	v_mad_u64_u32 v[6:7], null, v1, s14, 0
	v_mbcnt_lo_u32_b32 v9, -1, 0
	s_mul_i32 s8, s14, s15
	s_mul_hi_u32 s10, s14, s14
	s_clause 0x3
	s_load_b32 s30, s[0:1], 0x50
	s_load_b64 s[18:19], s[0:1], 0x48
	s_load_b64 s[20:21], s[0:1], 0x38
	s_load_b32 s11, s[0:1], 0x0
	s_add_i32 s10, s10, s8
	v_xor_b32_e32 v11, 2, v9
	v_dual_mov_b32 v4, v7 :: v_dual_mov_b32 v3, 0
	s_lshl_b64 s[0:1], s[2:3], 2
	s_add_i32 s31, s10, s8
	s_delay_alu instid0(VALU_DEP_2) | instskip(NEXT) | instid1(VALU_DEP_2)
	v_cmp_gt_i32_e32 vcc_lo, 32, v11
	v_mad_u64_u32 v[7:8], null, v1, s15, v[4:5]
	v_xor_b32_e32 v4, 1, v9
	v_lshlrev_b32_e32 v10, 2, v1
	v_lshlrev_b32_e32 v43, 6, v1
	s_waitcnt lgkmcnt(0)
	s_add_u32 s0, s6, s0
	s_addc_u32 s1, s7, s1
	v_cndmask_b32_e32 v1, v9, v11, vcc_lo
	s_load_b32 s0, s[0:1], 0x0
	v_cmp_gt_i32_e32 vcc_lo, 32, v4
	v_lshlrev_b64 v[6:7], 2, v[6:7]
	v_and_b32_e32 v5, 3, v0
	v_lshlrev_b32_e32 v45, 2, v1
	v_lshl_or_b32 v44, v9, 2, 12
	v_cndmask_b32_e32 v4, v9, v4, vcc_lo
	v_lshlrev_b32_e32 v51, 3, v0
	v_add_co_u32 v1, vcc_lo, s4, v6
	v_mov_b32_e32 v6, v3
	s_delay_alu instid0(VALU_DEP_4)
	v_lshlrev_b32_e32 v46, 2, v4
	v_add_co_ci_u32_e32 v4, vcc_lo, s5, v7, vcc_lo
	v_or_b32_e32 v7, 4, v5
	v_cmp_gt_u32_e64 s1, 0x80, v0
	v_cmp_gt_u32_e64 s2, 64, v0
	;; [unrolled: 1-line block ×4, first 2 shown]
	v_mad_u64_u32 v[11:12], null, v7, s14, 0
	v_lshlrev_b32_e32 v8, 2, v5
	s_waitcnt lgkmcnt(0)
	s_sub_i32 s22, s0, s30
	v_add_co_u32 v47, s0, s4, v10
	v_mad_u64_u32 v[9:10], null, v5, s14, 0
	v_add_co_u32 v49, vcc_lo, v1, v8
	v_or_b32_e32 v1, v43, v5
	v_add_co_ci_u32_e64 v48, null, s5, 0, s0
	v_cmp_gt_u32_e64 s4, 16, v0
	v_cmp_gt_u32_e64 s5, 8, v0
	;; [unrolled: 1-line block ×3, first 2 shown]
	v_cmp_eq_u32_e64 s8, 0, v0
	v_lshlrev_b32_e32 v52, 2, v1
	v_dual_mov_b32 v0, v10 :: v_dual_mov_b32 v1, v12
	v_add_co_ci_u32_e32 v50, vcc_lo, 0, v4, vcc_lo
	v_cmp_gt_i64_e32 vcc_lo, s[14:15], v[5:6]
	v_or_b32_e32 v6, 12, v5
	s_delay_alu instid0(VALU_DEP_4) | instskip(SKIP_2) | instid1(VALU_DEP_4)
	v_mad_u64_u32 v[12:13], null, v5, s15, v[0:1]
	v_or_b32_e32 v0, 8, v5
	v_mad_u64_u32 v[13:14], null, v7, s15, v[1:2]
	v_mad_u64_u32 v[16:17], null, v6, s14, 0
	s_delay_alu instid0(VALU_DEP_3)
	v_mad_u64_u32 v[14:15], null, v0, s14, 0
	v_mov_b32_e32 v8, v3
	v_mov_b32_e32 v1, v3
	s_cmp_eq_u32 s11, 0
	v_mov_b32_e32 v10, v12
	s_cselect_b32 s0, -1, 0
	v_cmp_gt_i64_e64 s10, s[14:15], v[7:8]
	v_mov_b32_e32 v4, v15
	s_and_b32 s33, s9, vcc_lo
	v_mov_b32_e32 v7, v3
	v_cmp_gt_i64_e32 vcc_lo, s[14:15], v[0:1]
	v_mov_b32_e32 v1, v17
	v_mad_u64_u32 v[17:18], null, v0, s15, v[4:5]
	v_or_b32_e32 v0, 16, v5
	s_and_b32 s34, s9, s10
	v_cmp_gt_i64_e64 s10, s[14:15], v[6:7]
	v_mad_u64_u32 v[7:8], null, v6, s15, v[1:2]
	v_or_b32_e32 v6, 20, v5
	v_mov_b32_e32 v15, v17
	v_mad_u64_u32 v[18:19], null, v0, s14, 0
	v_dual_mov_b32 v12, v13 :: v_dual_mov_b32 v1, v3
	s_delay_alu instid0(VALU_DEP_4) | instskip(SKIP_2) | instid1(VALU_DEP_4)
	v_mad_u64_u32 v[20:21], null, v6, s14, 0
	s_and_b32 s35, s9, vcc_lo
	v_mov_b32_e32 v17, v7
	v_mov_b32_e32 v4, v19
	;; [unrolled: 1-line block ×3, first 2 shown]
	v_cmp_gt_i64_e32 vcc_lo, s[14:15], v[0:1]
	s_and_b32 s36, s9, s10
	v_mov_b32_e32 v1, v21
	v_mad_u64_u32 v[21:22], null, v0, s15, v[4:5]
	v_or_b32_e32 v0, 24, v5
	v_cmp_gt_i64_e64 s10, s[14:15], v[6:7]
	s_delay_alu instid0(VALU_DEP_4) | instskip(SKIP_1) | instid1(VALU_DEP_4)
	v_mad_u64_u32 v[7:8], null, v6, s15, v[1:2]
	v_or_b32_e32 v6, 28, v5
	v_mad_u64_u32 v[22:23], null, v0, s14, 0
	v_or_b32_e32 v38, 60, v5
	v_mov_b32_e32 v19, v21
	s_delay_alu instid0(VALU_DEP_4) | instskip(SKIP_1) | instid1(VALU_DEP_3)
	v_mad_u64_u32 v[24:25], null, v6, s14, 0
	s_and_b32 s37, s9, vcc_lo
	v_mad_u64_u32 v[53:54], null, v38, s14, 0
	v_mov_b32_e32 v4, v23
	v_mov_b32_e32 v1, v3
	;; [unrolled: 1-line block ×4, first 2 shown]
	s_and_b32 s38, s9, s10
	v_mov_b32_e32 v39, v3
	v_cmp_gt_i64_e32 vcc_lo, s[14:15], v[0:1]
	v_mov_b32_e32 v1, v25
	v_mad_u64_u32 v[25:26], null, v0, s15, v[4:5]
	v_or_b32_e32 v0, 32, v5
	v_cmp_gt_i64_e64 s10, s[14:15], v[6:7]
	s_and_b32 s39, s9, vcc_lo
	s_mul_i32 s29, s14, s14
	s_delay_alu instid0(VALU_DEP_2) | instskip(NEXT) | instid1(VALU_DEP_2)
	v_mad_u64_u32 v[26:27], null, v0, s14, 0
	s_and_b32 s40, s9, s10
	s_delay_alu instid0(VALU_DEP_1) | instskip(SKIP_3) | instid1(VALU_DEP_2)
	v_mov_b32_e32 v4, v27
	v_mad_u64_u32 v[7:8], null, v6, s15, v[1:2]
	v_or_b32_e32 v6, 36, v5
	v_mov_b32_e32 v1, v3
	v_mad_u64_u32 v[28:29], null, v6, s14, 0
	s_delay_alu instid0(VALU_DEP_2) | instskip(NEXT) | instid1(VALU_DEP_2)
	v_cmp_gt_i64_e32 vcc_lo, s[14:15], v[0:1]
	v_mov_b32_e32 v1, v29
	v_mad_u64_u32 v[29:30], null, v0, s15, v[4:5]
	v_or_b32_e32 v0, 40, v5
	s_and_b32 s41, s9, vcc_lo
	s_delay_alu instid0(VALU_DEP_1) | instskip(SKIP_3) | instid1(VALU_DEP_4)
	v_mad_u64_u32 v[30:31], null, v0, s14, 0
	v_mov_b32_e32 v23, v25
	v_mov_b32_e32 v25, v7
	;; [unrolled: 1-line block ×4, first 2 shown]
	s_delay_alu instid0(VALU_DEP_2)
	v_cmp_gt_i64_e64 s10, s[14:15], v[6:7]
	v_mad_u64_u32 v[7:8], null, v6, s15, v[1:2]
	v_or_b32_e32 v6, 44, v5
	v_mov_b32_e32 v1, v3
	v_mad_u64_u32 v[34:35], null, v0, s15, v[4:5]
	s_and_b32 s42, s9, s10
	s_delay_alu instid0(VALU_DEP_3) | instskip(NEXT) | instid1(VALU_DEP_3)
	v_mad_u64_u32 v[32:33], null, v6, s14, 0
	v_cmp_gt_i64_e32 vcc_lo, s[14:15], v[0:1]
	s_delay_alu instid0(VALU_DEP_3) | instskip(NEXT) | instid1(VALU_DEP_3)
	v_dual_mov_b32 v8, v3 :: v_dual_mov_b32 v31, v34
	v_mov_b32_e32 v0, v33
	s_and_b32 s43, s9, vcc_lo
	s_delay_alu instid0(VALU_DEP_1) | instskip(SKIP_1) | instid1(VALU_DEP_2)
	v_mad_u64_u32 v[35:36], null, v6, s15, v[0:1]
	v_or_b32_e32 v0, 52, v5
	v_mov_b32_e32 v33, v35
	s_delay_alu instid0(VALU_DEP_2) | instskip(SKIP_3) | instid1(VALU_DEP_1)
	v_mad_u64_u32 v[34:35], null, v0, s14, 0
	v_mov_b32_e32 v27, v29
	v_mov_b32_e32 v29, v7
	;; [unrolled: 1-line block ×3, first 2 shown]
	v_cmp_gt_i64_e64 s10, s[14:15], v[6:7]
	v_or_b32_e32 v7, 48, v5
	v_or_b32_e32 v6, 56, v5
	s_delay_alu instid0(VALU_DEP_2) | instskip(NEXT) | instid1(VALU_DEP_2)
	v_mad_u64_u32 v[36:37], null, v7, s14, 0
	v_mad_u64_u32 v[41:42], null, v6, s14, 0
	v_cmp_gt_i64_e32 vcc_lo, s[14:15], v[7:8]
	v_mov_b32_e32 v8, v35
	s_and_b32 s44, s9, s10
	v_cmp_gt_i64_e64 s10, s[14:15], v[38:39]
	v_mov_b32_e32 v4, v37
	s_and_b32 s45, s9, vcc_lo
	v_cmp_gt_i64_e32 vcc_lo, s[14:15], v[0:1]
	v_mov_b32_e32 v1, v42
	s_delay_alu instid0(VALU_DEP_3) | instskip(SKIP_2) | instid1(VALU_DEP_4)
	v_mad_u64_u32 v[55:56], null, v7, s15, v[4:5]
	v_mad_u64_u32 v[56:57], null, v0, s15, v[8:9]
	v_mov_b32_e32 v0, v54
	v_mad_u64_u32 v[57:58], null, v6, s15, v[1:2]
	v_mov_b32_e32 v7, v3
	v_mov_b32_e32 v37, v55
	s_delay_alu instid0(VALU_DEP_4)
	v_mad_u64_u32 v[58:59], null, v38, s15, v[0:1]
	v_mov_b32_e32 v35, v56
	s_and_b32 s46, s9, vcc_lo
	v_mov_b32_e32 v42, v57
	v_cmp_gt_i64_e32 vcc_lo, s[14:15], v[6:7]
	v_lshlrev_b64 v[0:1], 2, v[9:10]
	v_lshlrev_b64 v[6:7], 2, v[11:12]
	v_mov_b32_e32 v54, v58
	v_lshlrev_b64 v[8:9], 2, v[14:15]
	v_lshlrev_b64 v[10:11], 2, v[16:17]
	;; [unrolled: 1-line block ×14, first 2 shown]
	v_dual_mov_b32 v53, 1 :: v_dual_mov_b32 v38, 0
	s_and_b32 s47, s9, vcc_lo
	s_and_b32 s48, s9, s10
	s_mov_b64 s[10:11], 0
	s_branch .LBB25_7
.LBB25_6:                               ;   in Loop: Header=BB25_7 Depth=1
	s_or_b32 exec_lo, exec_lo, s10
	s_waitcnt lgkmcnt(0)
	s_barrier
	buffer_gl0_inv
	ds_load_b64 v[38:39], v3
	s_add_i32 s22, s9, s22
	s_waitcnt lgkmcnt(0)
	s_barrier
	buffer_gl0_inv
	v_readfirstlane_b32 s10, v38
	v_readfirstlane_b32 s11, v39
	s_delay_alu instid0(VALU_DEP_1) | instskip(NEXT) | instid1(SALU_CYCLE_1)
	s_bfe_i64 s[10:11], s[10:11], 0x200000
	v_cmp_lt_i64_e64 s23, s[10:11], s[12:13]
	s_delay_alu instid0(VALU_DEP_1)
	s_and_b32 vcc_lo, exec_lo, s23
	s_cbranch_vccz .LBB25_69
.LBB25_7:                               ; =>This Loop Header: Depth=1
                                        ;     Child Loop BB25_10 Depth 2
	v_dual_mov_b32 v37, s13 :: v_dual_mov_b32 v4, v2
	v_dual_mov_b32 v36, s12 :: v_dual_add_nc_u32 v39, v40, v5
	s_mov_b32 s23, exec_lo
	ds_store_b8 v3, v3 offset:16384
	ds_store_2addr_b32 v52, v3, v3 offset1:4
	ds_store_2addr_b32 v52, v3, v3 offset0:8 offset1:12
	ds_store_2addr_b32 v52, v3, v3 offset0:16 offset1:20
	;; [unrolled: 1-line block ×7, first 2 shown]
	s_waitcnt lgkmcnt(0)
	s_barrier
	buffer_gl0_inv
	v_cmpx_lt_i32_e64 v39, v2
	s_cbranch_execz .LBB25_19
; %bb.8:                                ;   in Loop: Header=BB25_7 Depth=1
	v_dual_mov_b32 v37, s13 :: v_dual_mov_b32 v36, s12
	v_mov_b32_e32 v54, v2
	s_mul_i32 s50, s10, s14
	s_mov_b32 s49, 0
	s_branch .LBB25_10
.LBB25_9:                               ;   in Loop: Header=BB25_10 Depth=2
	s_or_b32 exec_lo, exec_lo, s24
	s_delay_alu instid0(VALU_DEP_1) | instskip(SKIP_1) | instid1(VALU_DEP_1)
	v_dual_mov_b32 v54, v4 :: v_dual_add_nc_u32 v39, 4, v39
	s_xor_b32 s24, vcc_lo, -1
	v_cmp_ge_i32_e64 s9, v39, v2
	s_delay_alu instid0(VALU_DEP_1) | instskip(NEXT) | instid1(SALU_CYCLE_1)
	s_or_b32 s9, s24, s9
	s_and_b32 s9, exec_lo, s9
	s_delay_alu instid0(SALU_CYCLE_1) | instskip(NEXT) | instid1(SALU_CYCLE_1)
	s_or_b32 s49, s9, s49
	s_and_not1_b32 exec_lo, exec_lo, s49
	s_cbranch_execz .LBB25_18
.LBB25_10:                              ;   Parent Loop BB25_7 Depth=1
                                        ; =>  This Inner Loop Header: Depth=2
	v_ashrrev_i32_e32 v40, 31, v39
	s_mov_b32 s9, exec_lo
	s_delay_alu instid0(VALU_DEP_1) | instskip(NEXT) | instid1(VALU_DEP_1)
	v_lshlrev_b64 v[41:42], 3, v[39:40]
	v_add_co_u32 v41, vcc_lo, s18, v41
	s_delay_alu instid0(VALU_DEP_2) | instskip(SKIP_4) | instid1(VALU_DEP_1)
	v_add_co_ci_u32_e32 v42, vcc_lo, s19, v42, vcc_lo
	global_load_b64 v[41:42], v[41:42], off
	s_waitcnt vmcnt(0)
	v_sub_co_u32 v55, vcc_lo, v41, s28
	v_subrev_co_ci_u32_e32 v56, vcc_lo, 0, v42, vcc_lo
                                        ; implicit-def: $vgpr41_vgpr42
	v_or_b32_e32 v4, s15, v56
	s_delay_alu instid0(VALU_DEP_1)
	v_cmpx_ne_u64_e32 0, v[3:4]
	s_xor_b32 s51, exec_lo, s9
	s_cbranch_execz .LBB25_12
; %bb.11:                               ;   in Loop: Header=BB25_10 Depth=2
	s_ashr_i32 s24, s15, 31
	s_delay_alu instid0(SALU_CYCLE_1) | instskip(SKIP_2) | instid1(SALU_CYCLE_1)
	s_add_u32 s26, s14, s24
	s_mov_b32 s25, s24
	s_addc_u32 s27, s15, s24
	s_xor_b64 s[26:27], s[26:27], s[24:25]
	s_delay_alu instid0(SALU_CYCLE_1) | instskip(SKIP_3) | instid1(VALU_DEP_1)
	v_cvt_f32_u32_e32 v4, s26
	v_cvt_f32_u32_e32 v41, s27
	s_sub_u32 s9, 0, s26
	s_subb_u32 s25, 0, s27
	v_fmac_f32_e32 v4, 0x4f800000, v41
	s_delay_alu instid0(VALU_DEP_1) | instskip(SKIP_2) | instid1(VALU_DEP_1)
	v_rcp_f32_e32 v4, v4
	s_waitcnt_depctr 0xfff
	v_mul_f32_e32 v4, 0x5f7ffffc, v4
	v_mul_f32_e32 v41, 0x2f800000, v4
	s_delay_alu instid0(VALU_DEP_1) | instskip(NEXT) | instid1(VALU_DEP_1)
	v_trunc_f32_e32 v41, v41
	v_fmac_f32_e32 v4, 0xcf800000, v41
	v_cvt_u32_f32_e32 v41, v41
	s_delay_alu instid0(VALU_DEP_2) | instskip(NEXT) | instid1(VALU_DEP_2)
	v_cvt_u32_f32_e32 v4, v4
	v_mul_lo_u32 v42, s9, v41
	s_delay_alu instid0(VALU_DEP_2) | instskip(SKIP_1) | instid1(VALU_DEP_2)
	v_mul_hi_u32 v57, s9, v4
	v_mul_lo_u32 v58, s25, v4
	v_add_nc_u32_e32 v42, v57, v42
	v_mul_lo_u32 v57, s9, v4
	s_delay_alu instid0(VALU_DEP_2) | instskip(NEXT) | instid1(VALU_DEP_2)
	v_add_nc_u32_e32 v42, v42, v58
	v_mul_hi_u32 v58, v4, v57
	s_delay_alu instid0(VALU_DEP_2)
	v_mul_lo_u32 v59, v4, v42
	v_mul_hi_u32 v60, v4, v42
	v_mul_hi_u32 v61, v41, v57
	v_mul_lo_u32 v57, v41, v57
	v_mul_hi_u32 v62, v41, v42
	v_mul_lo_u32 v42, v41, v42
	v_add_co_u32 v58, vcc_lo, v58, v59
	v_add_co_ci_u32_e32 v59, vcc_lo, 0, v60, vcc_lo
	s_delay_alu instid0(VALU_DEP_2) | instskip(NEXT) | instid1(VALU_DEP_2)
	v_add_co_u32 v57, vcc_lo, v58, v57
	v_add_co_ci_u32_e32 v57, vcc_lo, v59, v61, vcc_lo
	v_add_co_ci_u32_e32 v58, vcc_lo, 0, v62, vcc_lo
	v_ashrrev_i32_e32 v61, 31, v56
	s_delay_alu instid0(VALU_DEP_3) | instskip(NEXT) | instid1(VALU_DEP_3)
	v_add_co_u32 v42, vcc_lo, v57, v42
	v_add_co_ci_u32_e32 v57, vcc_lo, 0, v58, vcc_lo
	s_delay_alu instid0(VALU_DEP_2) | instskip(NEXT) | instid1(VALU_DEP_2)
	v_add_co_u32 v4, vcc_lo, v4, v42
	v_add_co_ci_u32_e32 v41, vcc_lo, v41, v57, vcc_lo
	s_delay_alu instid0(VALU_DEP_2) | instskip(SKIP_1) | instid1(VALU_DEP_3)
	v_mul_hi_u32 v42, s9, v4
	v_mul_lo_u32 v58, s25, v4
	v_mul_lo_u32 v57, s9, v41
	s_delay_alu instid0(VALU_DEP_1) | instskip(SKIP_1) | instid1(VALU_DEP_2)
	v_add_nc_u32_e32 v42, v42, v57
	v_mul_lo_u32 v57, s9, v4
	v_add_nc_u32_e32 v42, v42, v58
	s_delay_alu instid0(VALU_DEP_2) | instskip(NEXT) | instid1(VALU_DEP_2)
	v_mul_hi_u32 v58, v4, v57
	v_mul_lo_u32 v59, v4, v42
	v_mul_hi_u32 v60, v4, v42
	v_mul_hi_u32 v62, v41, v57
	v_mul_lo_u32 v57, v41, v57
	v_mul_hi_u32 v63, v41, v42
	v_mul_lo_u32 v42, v41, v42
	v_add_co_u32 v58, vcc_lo, v58, v59
	v_add_co_ci_u32_e32 v59, vcc_lo, 0, v60, vcc_lo
	s_delay_alu instid0(VALU_DEP_2) | instskip(NEXT) | instid1(VALU_DEP_2)
	v_add_co_u32 v57, vcc_lo, v58, v57
	v_add_co_ci_u32_e32 v57, vcc_lo, v59, v62, vcc_lo
	v_add_co_ci_u32_e32 v58, vcc_lo, 0, v63, vcc_lo
	v_add_co_u32 v59, vcc_lo, v55, v61
	v_add_co_ci_u32_e32 v56, vcc_lo, v56, v61, vcc_lo
	s_delay_alu instid0(VALU_DEP_4) | instskip(NEXT) | instid1(VALU_DEP_4)
	v_add_co_u32 v42, vcc_lo, v57, v42
	v_add_co_ci_u32_e32 v57, vcc_lo, 0, v58, vcc_lo
	s_delay_alu instid0(VALU_DEP_4) | instskip(NEXT) | instid1(VALU_DEP_3)
	v_xor_b32_e32 v60, v59, v61
	v_add_co_u32 v4, vcc_lo, v4, v42
	s_delay_alu instid0(VALU_DEP_3) | instskip(SKIP_1) | instid1(VALU_DEP_3)
	v_add_co_ci_u32_e32 v62, vcc_lo, v41, v57, vcc_lo
	v_xor_b32_e32 v63, v56, v61
	v_mul_hi_u32 v64, v60, v4
	s_delay_alu instid0(VALU_DEP_3) | instskip(NEXT) | instid1(VALU_DEP_3)
	v_mad_u64_u32 v[41:42], null, v60, v62, 0
	v_mad_u64_u32 v[56:57], null, v63, v4, 0
	;; [unrolled: 1-line block ×3, first 2 shown]
	s_delay_alu instid0(VALU_DEP_3) | instskip(NEXT) | instid1(VALU_DEP_4)
	v_add_co_u32 v4, vcc_lo, v64, v41
	v_add_co_ci_u32_e32 v41, vcc_lo, 0, v42, vcc_lo
	s_delay_alu instid0(VALU_DEP_2) | instskip(NEXT) | instid1(VALU_DEP_2)
	v_add_co_u32 v4, vcc_lo, v4, v56
	v_add_co_ci_u32_e32 v4, vcc_lo, v41, v57, vcc_lo
	v_add_co_ci_u32_e32 v41, vcc_lo, 0, v59, vcc_lo
	s_delay_alu instid0(VALU_DEP_2) | instskip(NEXT) | instid1(VALU_DEP_2)
	v_add_co_u32 v4, vcc_lo, v4, v58
	v_add_co_ci_u32_e32 v56, vcc_lo, 0, v41, vcc_lo
	s_delay_alu instid0(VALU_DEP_2) | instskip(SKIP_1) | instid1(VALU_DEP_3)
	v_mul_lo_u32 v57, s27, v4
	v_mad_u64_u32 v[41:42], null, s26, v4, 0
	v_mul_lo_u32 v58, s26, v56
	s_delay_alu instid0(VALU_DEP_2) | instskip(NEXT) | instid1(VALU_DEP_2)
	v_sub_co_u32 v41, vcc_lo, v60, v41
	v_add3_u32 v42, v42, v58, v57
	s_delay_alu instid0(VALU_DEP_1) | instskip(NEXT) | instid1(VALU_DEP_1)
	v_sub_nc_u32_e32 v57, v63, v42
	v_subrev_co_ci_u32_e64 v57, s9, s27, v57, vcc_lo
	v_add_co_u32 v58, s9, v4, 2
	s_delay_alu instid0(VALU_DEP_1) | instskip(SKIP_3) | instid1(VALU_DEP_3)
	v_add_co_ci_u32_e64 v59, s9, 0, v56, s9
	v_sub_co_u32 v60, s9, v41, s26
	v_sub_co_ci_u32_e32 v42, vcc_lo, v63, v42, vcc_lo
	v_subrev_co_ci_u32_e64 v57, s9, 0, v57, s9
	v_cmp_le_u32_e32 vcc_lo, s26, v60
	s_delay_alu instid0(VALU_DEP_3) | instskip(SKIP_1) | instid1(VALU_DEP_4)
	v_cmp_eq_u32_e64 s9, s27, v42
	v_cndmask_b32_e64 v60, 0, -1, vcc_lo
	v_cmp_le_u32_e32 vcc_lo, s27, v57
	v_cndmask_b32_e64 v62, 0, -1, vcc_lo
	v_cmp_le_u32_e32 vcc_lo, s26, v41
	;; [unrolled: 2-line block ×3, first 2 shown]
	v_cndmask_b32_e64 v63, 0, -1, vcc_lo
	v_cmp_eq_u32_e32 vcc_lo, s27, v57
	s_delay_alu instid0(VALU_DEP_2) | instskip(SKIP_3) | instid1(VALU_DEP_3)
	v_cndmask_b32_e64 v41, v63, v41, s9
	v_cndmask_b32_e32 v57, v62, v60, vcc_lo
	v_add_co_u32 v60, vcc_lo, v4, 1
	v_add_co_ci_u32_e32 v62, vcc_lo, 0, v56, vcc_lo
	v_cmp_ne_u32_e32 vcc_lo, 0, v57
	s_delay_alu instid0(VALU_DEP_2) | instskip(SKIP_2) | instid1(VALU_DEP_3)
	v_dual_cndmask_b32 v42, v62, v59 :: v_dual_cndmask_b32 v57, v60, v58
	v_cmp_ne_u32_e32 vcc_lo, 0, v41
	v_xor_b32_e32 v58, s24, v61
	v_cndmask_b32_e32 v41, v56, v42, vcc_lo
	s_delay_alu instid0(VALU_DEP_4) | instskip(NEXT) | instid1(VALU_DEP_2)
	v_cndmask_b32_e32 v4, v4, v57, vcc_lo
	v_xor_b32_e32 v42, v41, v58
	s_delay_alu instid0(VALU_DEP_2) | instskip(NEXT) | instid1(VALU_DEP_1)
	v_xor_b32_e32 v4, v4, v58
	v_sub_co_u32 v41, vcc_lo, v4, v58
	s_delay_alu instid0(VALU_DEP_3)
	v_sub_co_ci_u32_e32 v42, vcc_lo, v42, v58, vcc_lo
.LBB25_12:                              ;   in Loop: Header=BB25_10 Depth=2
	s_and_not1_saveexec_b32 s9, s51
	s_cbranch_execz .LBB25_14
; %bb.13:                               ;   in Loop: Header=BB25_10 Depth=2
	v_cvt_f32_u32_e32 v4, s14
	s_sub_i32 s24, 0, s14
	s_delay_alu instid0(VALU_DEP_1) | instskip(SKIP_2) | instid1(VALU_DEP_1)
	v_rcp_iflag_f32_e32 v4, v4
	s_waitcnt_depctr 0xfff
	v_mul_f32_e32 v4, 0x4f7ffffe, v4
	v_cvt_u32_f32_e32 v4, v4
	s_delay_alu instid0(VALU_DEP_1) | instskip(NEXT) | instid1(VALU_DEP_1)
	v_mul_lo_u32 v41, s24, v4
	v_mul_hi_u32 v41, v4, v41
	s_delay_alu instid0(VALU_DEP_1) | instskip(NEXT) | instid1(VALU_DEP_1)
	v_add_nc_u32_e32 v4, v4, v41
	v_mul_hi_u32 v4, v55, v4
	s_delay_alu instid0(VALU_DEP_1) | instskip(SKIP_1) | instid1(VALU_DEP_2)
	v_mul_lo_u32 v41, v4, s14
	v_add_nc_u32_e32 v42, 1, v4
	v_sub_nc_u32_e32 v41, v55, v41
	s_delay_alu instid0(VALU_DEP_1) | instskip(SKIP_1) | instid1(VALU_DEP_2)
	v_subrev_nc_u32_e32 v56, s14, v41
	v_cmp_le_u32_e32 vcc_lo, s14, v41
	v_dual_cndmask_b32 v41, v41, v56 :: v_dual_cndmask_b32 v4, v4, v42
	s_delay_alu instid0(VALU_DEP_1) | instskip(NEXT) | instid1(VALU_DEP_2)
	v_cmp_le_u32_e32 vcc_lo, s14, v41
	v_add_nc_u32_e32 v42, 1, v4
	s_delay_alu instid0(VALU_DEP_1)
	v_dual_cndmask_b32 v41, v4, v42 :: v_dual_mov_b32 v42, v3
.LBB25_14:                              ;   in Loop: Header=BB25_10 Depth=2
	s_or_b32 exec_lo, exec_lo, s9
	s_delay_alu instid0(VALU_DEP_1)
	v_cmp_eq_u64_e32 vcc_lo, s[10:11], v[41:42]
	s_mov_b32 s24, exec_lo
	v_cmpx_ne_u64_e64 s[10:11], v[41:42]
	s_xor_b32 s24, exec_lo, s24
; %bb.15:                               ;   in Loop: Header=BB25_10 Depth=2
	v_cmp_lt_i64_e64 s9, v[41:42], v[36:37]
                                        ; implicit-def: $vgpr55
                                        ; implicit-def: $vgpr54
	s_delay_alu instid0(VALU_DEP_1)
	v_cndmask_b32_e64 v37, v37, v42, s9
	v_cndmask_b32_e64 v36, v36, v41, s9
; %bb.16:                               ;   in Loop: Header=BB25_10 Depth=2
	s_or_saveexec_b32 s24, s24
	v_mov_b32_e32 v4, v39
	s_xor_b32 exec_lo, exec_lo, s24
	s_cbranch_execz .LBB25_9
; %bb.17:                               ;   in Loop: Header=BB25_10 Depth=2
	v_lshlrev_b64 v[40:41], 2, v[39:40]
	v_subrev_nc_u32_e32 v4, s50, v55
	s_delay_alu instid0(VALU_DEP_2) | instskip(NEXT) | instid1(VALU_DEP_1)
	v_add_co_u32 v40, s9, s20, v40
	v_add_co_ci_u32_e64 v41, s9, s21, v41, s9
	global_load_b32 v40, v[40:41], off
	v_add_lshl_u32 v41, v43, v4, 2
	v_mov_b32_e32 v4, v54
	ds_store_b8 v3, v53 offset:16384
	s_waitcnt vmcnt(0)
	ds_store_b32 v41, v40
	s_branch .LBB25_9
.LBB25_18:                              ;   in Loop: Header=BB25_7 Depth=1
	s_or_b32 exec_lo, exec_lo, s49
.LBB25_19:                              ;   in Loop: Header=BB25_7 Depth=1
	s_delay_alu instid0(SALU_CYCLE_1)
	s_or_b32 exec_lo, exec_lo, s23
	ds_bpermute_b32 v39, v45, v4
	s_waitcnt lgkmcnt(0)
	s_barrier
	buffer_gl0_inv
	ds_load_u8 v41, v3 offset:16384
	s_mov_b32 s9, 0
	v_min_i32_e32 v4, v39, v4
	s_waitcnt lgkmcnt(0)
	v_cmp_eq_u32_e32 vcc_lo, 0, v41
	ds_bpermute_b32 v39, v46, v4
	s_waitcnt lgkmcnt(0)
	v_min_i32_e32 v4, v39, v4
	ds_bpermute_b32 v40, v44, v4
	s_cbranch_vccnz .LBB25_38
; %bb.20:                               ;   in Loop: Header=BB25_7 Depth=1
	s_ashr_i32 s23, s22, 31
	s_mul_hi_u32 s9, s29, s22
	s_lshl_b64 s[10:11], s[22:23], 3
	s_mul_i32 s23, s29, s23
	s_add_u32 s10, s16, s10
	s_addc_u32 s11, s17, s11
	s_add_i32 s9, s9, s23
	s_mul_i32 s23, s31, s22
	s_mul_i32 s24, s29, s22
	s_add_i32 s25, s9, s23
	v_add_nc_u32_e32 v54, s30, v38
	s_lshl_b64 s[24:25], s[24:25], 2
	s_delay_alu instid0(SALU_CYCLE_1)
	v_add_co_u32 v4, vcc_lo, v47, s24
	v_add_co_ci_u32_e32 v38, vcc_lo, s25, v48, vcc_lo
	v_add_co_u32 v39, vcc_lo, v49, s24
	v_ashrrev_i32_e32 v55, 31, v54
	v_add_co_ci_u32_e32 v41, vcc_lo, s25, v50, vcc_lo
	global_store_b64 v3, v[54:55], s[10:11]
	s_and_saveexec_b32 s9, s33
	s_cbranch_execnz .LBB25_54
; %bb.21:                               ;   in Loop: Header=BB25_7 Depth=1
	s_or_b32 exec_lo, exec_lo, s9
	s_and_saveexec_b32 s9, s34
	s_cbranch_execnz .LBB25_55
.LBB25_22:                              ;   in Loop: Header=BB25_7 Depth=1
	s_or_b32 exec_lo, exec_lo, s9
	s_and_saveexec_b32 s9, s35
	s_cbranch_execnz .LBB25_56
.LBB25_23:                              ;   in Loop: Header=BB25_7 Depth=1
	s_or_b32 exec_lo, exec_lo, s9
	s_and_saveexec_b32 s9, s36
	s_cbranch_execnz .LBB25_57
.LBB25_24:                              ;   in Loop: Header=BB25_7 Depth=1
	s_or_b32 exec_lo, exec_lo, s9
	s_and_saveexec_b32 s9, s37
	s_cbranch_execnz .LBB25_58
.LBB25_25:                              ;   in Loop: Header=BB25_7 Depth=1
	s_or_b32 exec_lo, exec_lo, s9
	s_and_saveexec_b32 s9, s38
	s_cbranch_execnz .LBB25_59
.LBB25_26:                              ;   in Loop: Header=BB25_7 Depth=1
	s_or_b32 exec_lo, exec_lo, s9
	s_and_saveexec_b32 s9, s39
	s_cbranch_execnz .LBB25_60
.LBB25_27:                              ;   in Loop: Header=BB25_7 Depth=1
	s_or_b32 exec_lo, exec_lo, s9
	s_and_saveexec_b32 s9, s40
	s_cbranch_execnz .LBB25_61
.LBB25_28:                              ;   in Loop: Header=BB25_7 Depth=1
	s_or_b32 exec_lo, exec_lo, s9
	s_and_saveexec_b32 s9, s41
	s_cbranch_execnz .LBB25_62
.LBB25_29:                              ;   in Loop: Header=BB25_7 Depth=1
	s_or_b32 exec_lo, exec_lo, s9
	s_and_saveexec_b32 s9, s42
	s_cbranch_execnz .LBB25_63
.LBB25_30:                              ;   in Loop: Header=BB25_7 Depth=1
	s_or_b32 exec_lo, exec_lo, s9
	s_and_saveexec_b32 s9, s43
	s_cbranch_execnz .LBB25_64
.LBB25_31:                              ;   in Loop: Header=BB25_7 Depth=1
	s_or_b32 exec_lo, exec_lo, s9
	s_and_saveexec_b32 s9, s44
	s_cbranch_execnz .LBB25_65
.LBB25_32:                              ;   in Loop: Header=BB25_7 Depth=1
	s_or_b32 exec_lo, exec_lo, s9
	s_and_saveexec_b32 s9, s45
	s_cbranch_execnz .LBB25_66
.LBB25_33:                              ;   in Loop: Header=BB25_7 Depth=1
	s_or_b32 exec_lo, exec_lo, s9
	s_and_saveexec_b32 s9, s46
	s_cbranch_execnz .LBB25_67
.LBB25_34:                              ;   in Loop: Header=BB25_7 Depth=1
	s_or_b32 exec_lo, exec_lo, s9
	s_and_saveexec_b32 s9, s47
	s_cbranch_execnz .LBB25_68
.LBB25_35:                              ;   in Loop: Header=BB25_7 Depth=1
	s_or_b32 exec_lo, exec_lo, s9
	s_and_saveexec_b32 s9, s48
	s_cbranch_execz .LBB25_37
.LBB25_36:                              ;   in Loop: Header=BB25_7 Depth=1
	ds_load_b32 v42, v52 offset:240
	v_add_co_u32 v54, vcc_lo, 0xf0, v39
	v_add_co_ci_u32_e32 v39, vcc_lo, 0, v41, vcc_lo
	v_add_co_u32 v4, vcc_lo, v4, v34
	v_add_co_ci_u32_e32 v38, vcc_lo, v38, v35, vcc_lo
	s_delay_alu instid0(VALU_DEP_1) | instskip(NEXT) | instid1(VALU_DEP_3)
	v_cndmask_b32_e64 v39, v38, v39, s0
	v_cndmask_b32_e64 v38, v4, v54, s0
	s_waitcnt lgkmcnt(0)
	global_store_b32 v[38:39], v42, off
.LBB25_37:                              ;   in Loop: Header=BB25_7 Depth=1
	s_or_b32 exec_lo, exec_lo, s9
	s_mov_b32 s9, 1
.LBB25_38:                              ;   in Loop: Header=BB25_7 Depth=1
	s_waitcnt lgkmcnt(0)
	s_waitcnt_vscnt null, 0x0
	s_barrier
	buffer_gl0_inv
	ds_store_b64 v51, v[36:37]
	s_waitcnt lgkmcnt(0)
	s_barrier
	buffer_gl0_inv
	s_and_saveexec_b32 s10, s1
	s_cbranch_execz .LBB25_40
; %bb.39:                               ;   in Loop: Header=BB25_7 Depth=1
	ds_load_2addr_stride64_b64 v[36:39], v51 offset1:2
	s_waitcnt lgkmcnt(0)
	v_cmp_lt_i64_e32 vcc_lo, v[38:39], v[36:37]
	v_dual_cndmask_b32 v37, v37, v39 :: v_dual_cndmask_b32 v36, v36, v38
	ds_store_b64 v51, v[36:37]
.LBB25_40:                              ;   in Loop: Header=BB25_7 Depth=1
	s_or_b32 exec_lo, exec_lo, s10
	s_waitcnt lgkmcnt(0)
	s_barrier
	buffer_gl0_inv
	s_and_saveexec_b32 s10, s2
	s_cbranch_execz .LBB25_42
; %bb.41:                               ;   in Loop: Header=BB25_7 Depth=1
	ds_load_2addr_stride64_b64 v[36:39], v51 offset1:1
	s_waitcnt lgkmcnt(0)
	v_cmp_lt_i64_e32 vcc_lo, v[38:39], v[36:37]
	v_dual_cndmask_b32 v37, v37, v39 :: v_dual_cndmask_b32 v36, v36, v38
	ds_store_b64 v51, v[36:37]
.LBB25_42:                              ;   in Loop: Header=BB25_7 Depth=1
	s_or_b32 exec_lo, exec_lo, s10
	s_waitcnt lgkmcnt(0)
	s_barrier
	buffer_gl0_inv
	s_and_saveexec_b32 s10, s3
	s_cbranch_execz .LBB25_44
; %bb.43:                               ;   in Loop: Header=BB25_7 Depth=1
	ds_load_2addr_b64 v[36:39], v51 offset1:32
	s_waitcnt lgkmcnt(0)
	v_cmp_lt_i64_e32 vcc_lo, v[38:39], v[36:37]
	v_dual_cndmask_b32 v37, v37, v39 :: v_dual_cndmask_b32 v36, v36, v38
	ds_store_b64 v51, v[36:37]
.LBB25_44:                              ;   in Loop: Header=BB25_7 Depth=1
	s_or_b32 exec_lo, exec_lo, s10
	s_waitcnt lgkmcnt(0)
	s_barrier
	buffer_gl0_inv
	s_and_saveexec_b32 s10, s4
	s_cbranch_execz .LBB25_46
; %bb.45:                               ;   in Loop: Header=BB25_7 Depth=1
	ds_load_2addr_b64 v[36:39], v51 offset1:16
	s_waitcnt lgkmcnt(0)
	v_cmp_lt_i64_e32 vcc_lo, v[38:39], v[36:37]
	v_dual_cndmask_b32 v37, v37, v39 :: v_dual_cndmask_b32 v36, v36, v38
	ds_store_b64 v51, v[36:37]
.LBB25_46:                              ;   in Loop: Header=BB25_7 Depth=1
	;; [unrolled: 13-line block ×5, first 2 shown]
	s_or_b32 exec_lo, exec_lo, s10
	s_waitcnt lgkmcnt(0)
	s_barrier
	buffer_gl0_inv
	s_and_saveexec_b32 s10, s8
	s_cbranch_execz .LBB25_6
; %bb.53:                               ;   in Loop: Header=BB25_7 Depth=1
	ds_load_b128 v[36:39], v3
	s_waitcnt lgkmcnt(0)
	v_cmp_lt_i64_e32 vcc_lo, v[38:39], v[36:37]
	v_dual_cndmask_b32 v37, v37, v39 :: v_dual_cndmask_b32 v36, v36, v38
	ds_store_b64 v3, v[36:37]
	s_branch .LBB25_6
.LBB25_54:                              ;   in Loop: Header=BB25_7 Depth=1
	ds_load_b32 v42, v52
	v_add_co_u32 v54, vcc_lo, v4, v0
	v_add_co_ci_u32_e32 v55, vcc_lo, v38, v1, vcc_lo
	s_delay_alu instid0(VALU_DEP_2) | instskip(NEXT) | instid1(VALU_DEP_2)
	v_cndmask_b32_e64 v54, v54, v39, s0
	v_cndmask_b32_e64 v55, v55, v41, s0
	s_waitcnt lgkmcnt(0)
	global_store_b32 v[54:55], v42, off
	s_or_b32 exec_lo, exec_lo, s9
	s_and_saveexec_b32 s9, s34
	s_cbranch_execz .LBB25_22
.LBB25_55:                              ;   in Loop: Header=BB25_7 Depth=1
	ds_load_b32 v42, v52 offset:16
	v_add_co_u32 v54, vcc_lo, v39, 16
	v_add_co_ci_u32_e32 v55, vcc_lo, 0, v41, vcc_lo
	v_add_co_u32 v56, vcc_lo, v4, v6
	v_add_co_ci_u32_e32 v57, vcc_lo, v38, v7, vcc_lo
	s_delay_alu instid0(VALU_DEP_2) | instskip(NEXT) | instid1(VALU_DEP_2)
	v_cndmask_b32_e64 v54, v56, v54, s0
	v_cndmask_b32_e64 v55, v57, v55, s0
	s_waitcnt lgkmcnt(0)
	global_store_b32 v[54:55], v42, off
	s_or_b32 exec_lo, exec_lo, s9
	s_and_saveexec_b32 s9, s35
	s_cbranch_execz .LBB25_23
.LBB25_56:                              ;   in Loop: Header=BB25_7 Depth=1
	ds_load_b32 v42, v52 offset:32
	v_add_co_u32 v54, vcc_lo, v39, 32
	v_add_co_ci_u32_e32 v55, vcc_lo, 0, v41, vcc_lo
	v_add_co_u32 v56, vcc_lo, v4, v8
	v_add_co_ci_u32_e32 v57, vcc_lo, v38, v9, vcc_lo
	s_delay_alu instid0(VALU_DEP_2) | instskip(NEXT) | instid1(VALU_DEP_2)
	v_cndmask_b32_e64 v54, v56, v54, s0
	v_cndmask_b32_e64 v55, v57, v55, s0
	s_waitcnt lgkmcnt(0)
	global_store_b32 v[54:55], v42, off
	s_or_b32 exec_lo, exec_lo, s9
	s_and_saveexec_b32 s9, s36
	s_cbranch_execz .LBB25_24
.LBB25_57:                              ;   in Loop: Header=BB25_7 Depth=1
	ds_load_b32 v42, v52 offset:48
	v_add_co_u32 v54, vcc_lo, v39, 48
	v_add_co_ci_u32_e32 v55, vcc_lo, 0, v41, vcc_lo
	v_add_co_u32 v56, vcc_lo, v4, v10
	v_add_co_ci_u32_e32 v57, vcc_lo, v38, v11, vcc_lo
	s_delay_alu instid0(VALU_DEP_2) | instskip(NEXT) | instid1(VALU_DEP_2)
	v_cndmask_b32_e64 v54, v56, v54, s0
	v_cndmask_b32_e64 v55, v57, v55, s0
	s_waitcnt lgkmcnt(0)
	global_store_b32 v[54:55], v42, off
	s_or_b32 exec_lo, exec_lo, s9
	s_and_saveexec_b32 s9, s37
	s_cbranch_execz .LBB25_25
.LBB25_58:                              ;   in Loop: Header=BB25_7 Depth=1
	ds_load_b32 v42, v52 offset:64
	v_add_co_u32 v54, vcc_lo, v39, 64
	v_add_co_ci_u32_e32 v55, vcc_lo, 0, v41, vcc_lo
	v_add_co_u32 v56, vcc_lo, v4, v12
	v_add_co_ci_u32_e32 v57, vcc_lo, v38, v13, vcc_lo
	s_delay_alu instid0(VALU_DEP_2) | instskip(NEXT) | instid1(VALU_DEP_2)
	v_cndmask_b32_e64 v54, v56, v54, s0
	v_cndmask_b32_e64 v55, v57, v55, s0
	s_waitcnt lgkmcnt(0)
	global_store_b32 v[54:55], v42, off
	s_or_b32 exec_lo, exec_lo, s9
	s_and_saveexec_b32 s9, s38
	s_cbranch_execz .LBB25_26
.LBB25_59:                              ;   in Loop: Header=BB25_7 Depth=1
	ds_load_b32 v42, v52 offset:80
	v_add_co_u32 v54, vcc_lo, 0x50, v39
	v_add_co_ci_u32_e32 v55, vcc_lo, 0, v41, vcc_lo
	v_add_co_u32 v56, vcc_lo, v4, v14
	v_add_co_ci_u32_e32 v57, vcc_lo, v38, v15, vcc_lo
	s_delay_alu instid0(VALU_DEP_2) | instskip(NEXT) | instid1(VALU_DEP_2)
	v_cndmask_b32_e64 v54, v56, v54, s0
	v_cndmask_b32_e64 v55, v57, v55, s0
	s_waitcnt lgkmcnt(0)
	global_store_b32 v[54:55], v42, off
	s_or_b32 exec_lo, exec_lo, s9
	s_and_saveexec_b32 s9, s39
	s_cbranch_execz .LBB25_27
.LBB25_60:                              ;   in Loop: Header=BB25_7 Depth=1
	ds_load_b32 v42, v52 offset:96
	v_add_co_u32 v54, vcc_lo, 0x60, v39
	v_add_co_ci_u32_e32 v55, vcc_lo, 0, v41, vcc_lo
	v_add_co_u32 v56, vcc_lo, v4, v16
	v_add_co_ci_u32_e32 v57, vcc_lo, v38, v17, vcc_lo
	s_delay_alu instid0(VALU_DEP_2) | instskip(NEXT) | instid1(VALU_DEP_2)
	v_cndmask_b32_e64 v54, v56, v54, s0
	v_cndmask_b32_e64 v55, v57, v55, s0
	s_waitcnt lgkmcnt(0)
	global_store_b32 v[54:55], v42, off
	s_or_b32 exec_lo, exec_lo, s9
	s_and_saveexec_b32 s9, s40
	s_cbranch_execz .LBB25_28
.LBB25_61:                              ;   in Loop: Header=BB25_7 Depth=1
	ds_load_b32 v42, v52 offset:112
	v_add_co_u32 v54, vcc_lo, 0x70, v39
	v_add_co_ci_u32_e32 v55, vcc_lo, 0, v41, vcc_lo
	v_add_co_u32 v56, vcc_lo, v4, v18
	v_add_co_ci_u32_e32 v57, vcc_lo, v38, v19, vcc_lo
	s_delay_alu instid0(VALU_DEP_2) | instskip(NEXT) | instid1(VALU_DEP_2)
	v_cndmask_b32_e64 v54, v56, v54, s0
	v_cndmask_b32_e64 v55, v57, v55, s0
	s_waitcnt lgkmcnt(0)
	global_store_b32 v[54:55], v42, off
	s_or_b32 exec_lo, exec_lo, s9
	s_and_saveexec_b32 s9, s41
	s_cbranch_execz .LBB25_29
.LBB25_62:                              ;   in Loop: Header=BB25_7 Depth=1
	ds_load_b32 v42, v52 offset:128
	v_add_co_u32 v54, vcc_lo, 0x80, v39
	v_add_co_ci_u32_e32 v55, vcc_lo, 0, v41, vcc_lo
	v_add_co_u32 v56, vcc_lo, v4, v20
	v_add_co_ci_u32_e32 v57, vcc_lo, v38, v21, vcc_lo
	s_delay_alu instid0(VALU_DEP_2) | instskip(NEXT) | instid1(VALU_DEP_2)
	v_cndmask_b32_e64 v54, v56, v54, s0
	v_cndmask_b32_e64 v55, v57, v55, s0
	s_waitcnt lgkmcnt(0)
	global_store_b32 v[54:55], v42, off
	s_or_b32 exec_lo, exec_lo, s9
	s_and_saveexec_b32 s9, s42
	s_cbranch_execz .LBB25_30
.LBB25_63:                              ;   in Loop: Header=BB25_7 Depth=1
	ds_load_b32 v42, v52 offset:144
	v_add_co_u32 v54, vcc_lo, 0x90, v39
	v_add_co_ci_u32_e32 v55, vcc_lo, 0, v41, vcc_lo
	v_add_co_u32 v56, vcc_lo, v4, v22
	v_add_co_ci_u32_e32 v57, vcc_lo, v38, v23, vcc_lo
	s_delay_alu instid0(VALU_DEP_2) | instskip(NEXT) | instid1(VALU_DEP_2)
	v_cndmask_b32_e64 v54, v56, v54, s0
	v_cndmask_b32_e64 v55, v57, v55, s0
	s_waitcnt lgkmcnt(0)
	global_store_b32 v[54:55], v42, off
	s_or_b32 exec_lo, exec_lo, s9
	s_and_saveexec_b32 s9, s43
	s_cbranch_execz .LBB25_31
.LBB25_64:                              ;   in Loop: Header=BB25_7 Depth=1
	ds_load_b32 v42, v52 offset:160
	v_add_co_u32 v54, vcc_lo, 0xa0, v39
	v_add_co_ci_u32_e32 v55, vcc_lo, 0, v41, vcc_lo
	v_add_co_u32 v56, vcc_lo, v4, v24
	v_add_co_ci_u32_e32 v57, vcc_lo, v38, v25, vcc_lo
	s_delay_alu instid0(VALU_DEP_2) | instskip(NEXT) | instid1(VALU_DEP_2)
	v_cndmask_b32_e64 v54, v56, v54, s0
	v_cndmask_b32_e64 v55, v57, v55, s0
	s_waitcnt lgkmcnt(0)
	global_store_b32 v[54:55], v42, off
	s_or_b32 exec_lo, exec_lo, s9
	s_and_saveexec_b32 s9, s44
	s_cbranch_execz .LBB25_32
.LBB25_65:                              ;   in Loop: Header=BB25_7 Depth=1
	ds_load_b32 v42, v52 offset:176
	v_add_co_u32 v54, vcc_lo, 0xb0, v39
	v_add_co_ci_u32_e32 v55, vcc_lo, 0, v41, vcc_lo
	v_add_co_u32 v56, vcc_lo, v4, v26
	v_add_co_ci_u32_e32 v57, vcc_lo, v38, v27, vcc_lo
	s_delay_alu instid0(VALU_DEP_2) | instskip(NEXT) | instid1(VALU_DEP_2)
	v_cndmask_b32_e64 v54, v56, v54, s0
	v_cndmask_b32_e64 v55, v57, v55, s0
	s_waitcnt lgkmcnt(0)
	global_store_b32 v[54:55], v42, off
	s_or_b32 exec_lo, exec_lo, s9
	s_and_saveexec_b32 s9, s45
	s_cbranch_execz .LBB25_33
.LBB25_66:                              ;   in Loop: Header=BB25_7 Depth=1
	ds_load_b32 v42, v52 offset:192
	v_add_co_u32 v54, vcc_lo, 0xc0, v39
	v_add_co_ci_u32_e32 v55, vcc_lo, 0, v41, vcc_lo
	v_add_co_u32 v56, vcc_lo, v4, v28
	v_add_co_ci_u32_e32 v57, vcc_lo, v38, v29, vcc_lo
	s_delay_alu instid0(VALU_DEP_2) | instskip(NEXT) | instid1(VALU_DEP_2)
	v_cndmask_b32_e64 v54, v56, v54, s0
	v_cndmask_b32_e64 v55, v57, v55, s0
	s_waitcnt lgkmcnt(0)
	global_store_b32 v[54:55], v42, off
	s_or_b32 exec_lo, exec_lo, s9
	s_and_saveexec_b32 s9, s46
	s_cbranch_execz .LBB25_34
.LBB25_67:                              ;   in Loop: Header=BB25_7 Depth=1
	ds_load_b32 v42, v52 offset:208
	v_add_co_u32 v54, vcc_lo, 0xd0, v39
	v_add_co_ci_u32_e32 v55, vcc_lo, 0, v41, vcc_lo
	v_add_co_u32 v56, vcc_lo, v4, v30
	v_add_co_ci_u32_e32 v57, vcc_lo, v38, v31, vcc_lo
	s_delay_alu instid0(VALU_DEP_2) | instskip(NEXT) | instid1(VALU_DEP_2)
	v_cndmask_b32_e64 v54, v56, v54, s0
	v_cndmask_b32_e64 v55, v57, v55, s0
	s_waitcnt lgkmcnt(0)
	global_store_b32 v[54:55], v42, off
	s_or_b32 exec_lo, exec_lo, s9
	s_and_saveexec_b32 s9, s47
	s_cbranch_execz .LBB25_35
.LBB25_68:                              ;   in Loop: Header=BB25_7 Depth=1
	ds_load_b32 v42, v52 offset:224
	v_add_co_u32 v54, vcc_lo, 0xe0, v39
	v_add_co_ci_u32_e32 v55, vcc_lo, 0, v41, vcc_lo
	v_add_co_u32 v56, vcc_lo, v4, v32
	v_add_co_ci_u32_e32 v57, vcc_lo, v38, v33, vcc_lo
	s_delay_alu instid0(VALU_DEP_2) | instskip(NEXT) | instid1(VALU_DEP_2)
	v_cndmask_b32_e64 v54, v56, v54, s0
	v_cndmask_b32_e64 v55, v57, v55, s0
	s_waitcnt lgkmcnt(0)
	global_store_b32 v[54:55], v42, off
	s_or_b32 exec_lo, exec_lo, s9
	s_and_saveexec_b32 s9, s48
	s_cbranch_execnz .LBB25_36
	s_branch .LBB25_37
.LBB25_69:
	s_endpgm
	.section	.rodata,"a",@progbits
	.p2align	6, 0x0
	.amdhsa_kernel _ZN9rocsparseL38csr2bsr_block_per_row_multipass_kernelILj256ELj64EiilEEv20rocsparse_direction_T3_S2_S2_S2_S2_21rocsparse_index_base_PKT1_PKT2_PKS2_S3_PS4_PS7_PS2_
		.amdhsa_group_segment_fixed_size 16388
		.amdhsa_private_segment_fixed_size 0
		.amdhsa_kernarg_size 112
		.amdhsa_user_sgpr_count 15
		.amdhsa_user_sgpr_dispatch_ptr 0
		.amdhsa_user_sgpr_queue_ptr 0
		.amdhsa_user_sgpr_kernarg_segment_ptr 1
		.amdhsa_user_sgpr_dispatch_id 0
		.amdhsa_user_sgpr_private_segment_size 0
		.amdhsa_wavefront_size32 1
		.amdhsa_uses_dynamic_stack 0
		.amdhsa_enable_private_segment 0
		.amdhsa_system_sgpr_workgroup_id_x 1
		.amdhsa_system_sgpr_workgroup_id_y 0
		.amdhsa_system_sgpr_workgroup_id_z 0
		.amdhsa_system_sgpr_workgroup_info 0
		.amdhsa_system_vgpr_workitem_id 0
		.amdhsa_next_free_vgpr 65
		.amdhsa_next_free_sgpr 52
		.amdhsa_reserve_vcc 1
		.amdhsa_float_round_mode_32 0
		.amdhsa_float_round_mode_16_64 0
		.amdhsa_float_denorm_mode_32 3
		.amdhsa_float_denorm_mode_16_64 3
		.amdhsa_dx10_clamp 1
		.amdhsa_ieee_mode 1
		.amdhsa_fp16_overflow 0
		.amdhsa_workgroup_processor_mode 1
		.amdhsa_memory_ordered 1
		.amdhsa_forward_progress 0
		.amdhsa_shared_vgpr_count 0
		.amdhsa_exception_fp_ieee_invalid_op 0
		.amdhsa_exception_fp_denorm_src 0
		.amdhsa_exception_fp_ieee_div_zero 0
		.amdhsa_exception_fp_ieee_overflow 0
		.amdhsa_exception_fp_ieee_underflow 0
		.amdhsa_exception_fp_ieee_inexact 0
		.amdhsa_exception_int_div_zero 0
	.end_amdhsa_kernel
	.section	.text._ZN9rocsparseL38csr2bsr_block_per_row_multipass_kernelILj256ELj64EiilEEv20rocsparse_direction_T3_S2_S2_S2_S2_21rocsparse_index_base_PKT1_PKT2_PKS2_S3_PS4_PS7_PS2_,"axG",@progbits,_ZN9rocsparseL38csr2bsr_block_per_row_multipass_kernelILj256ELj64EiilEEv20rocsparse_direction_T3_S2_S2_S2_S2_21rocsparse_index_base_PKT1_PKT2_PKS2_S3_PS4_PS7_PS2_,comdat
.Lfunc_end25:
	.size	_ZN9rocsparseL38csr2bsr_block_per_row_multipass_kernelILj256ELj64EiilEEv20rocsparse_direction_T3_S2_S2_S2_S2_21rocsparse_index_base_PKT1_PKT2_PKS2_S3_PS4_PS7_PS2_, .Lfunc_end25-_ZN9rocsparseL38csr2bsr_block_per_row_multipass_kernelILj256ELj64EiilEEv20rocsparse_direction_T3_S2_S2_S2_S2_21rocsparse_index_base_PKT1_PKT2_PKS2_S3_PS4_PS7_PS2_
                                        ; -- End function
	.section	.AMDGPU.csdata,"",@progbits
; Kernel info:
; codeLenInByte = 5100
; NumSgprs: 54
; NumVgprs: 65
; ScratchSize: 0
; MemoryBound: 0
; FloatMode: 240
; IeeeMode: 1
; LDSByteSize: 16388 bytes/workgroup (compile time only)
; SGPRBlocks: 6
; VGPRBlocks: 8
; NumSGPRsForWavesPerEU: 54
; NumVGPRsForWavesPerEU: 65
; Occupancy: 14
; WaveLimiterHint : 1
; COMPUTE_PGM_RSRC2:SCRATCH_EN: 0
; COMPUTE_PGM_RSRC2:USER_SGPR: 15
; COMPUTE_PGM_RSRC2:TRAP_HANDLER: 0
; COMPUTE_PGM_RSRC2:TGID_X_EN: 1
; COMPUTE_PGM_RSRC2:TGID_Y_EN: 0
; COMPUTE_PGM_RSRC2:TGID_Z_EN: 0
; COMPUTE_PGM_RSRC2:TIDIG_COMP_CNT: 0
	.section	.text._ZN9rocsparseL21csr2bsr_65_inf_kernelILj32EiilEEv20rocsparse_direction_T2_S2_S2_S2_S2_S2_21rocsparse_index_base_PKT0_PKT1_PKS2_S3_PS4_PS7_PS2_SD_SE_SC_,"axG",@progbits,_ZN9rocsparseL21csr2bsr_65_inf_kernelILj32EiilEEv20rocsparse_direction_T2_S2_S2_S2_S2_S2_21rocsparse_index_base_PKT0_PKT1_PKS2_S3_PS4_PS7_PS2_SD_SE_SC_,comdat
	.globl	_ZN9rocsparseL21csr2bsr_65_inf_kernelILj32EiilEEv20rocsparse_direction_T2_S2_S2_S2_S2_S2_21rocsparse_index_base_PKT0_PKT1_PKS2_S3_PS4_PS7_PS2_SD_SE_SC_ ; -- Begin function _ZN9rocsparseL21csr2bsr_65_inf_kernelILj32EiilEEv20rocsparse_direction_T2_S2_S2_S2_S2_S2_21rocsparse_index_base_PKT0_PKT1_PKS2_S3_PS4_PS7_PS2_SD_SE_SC_
	.p2align	8
	.type	_ZN9rocsparseL21csr2bsr_65_inf_kernelILj32EiilEEv20rocsparse_direction_T2_S2_S2_S2_S2_S2_21rocsparse_index_base_PKT0_PKT1_PKS2_S3_PS4_PS7_PS2_SD_SE_SC_,@function
_ZN9rocsparseL21csr2bsr_65_inf_kernelILj32EiilEEv20rocsparse_direction_T2_S2_S2_S2_S2_S2_21rocsparse_index_base_PKT0_PKT1_PKS2_S3_PS4_PS7_PS2_SD_SE_SC_: ; @_ZN9rocsparseL21csr2bsr_65_inf_kernelILj32EiilEEv20rocsparse_direction_T2_S2_S2_S2_S2_S2_21rocsparse_index_base_PKT0_PKT1_PKS2_S3_PS4_PS7_PS2_SD_SE_SC_
; %bb.0:
	s_clause 0x3
	s_load_b64 s[8:9], s[0:1], 0x18
	s_load_b128 s[4:7], s[0:1], 0x8
	s_load_b64 s[2:3], s[0:1], 0x78
	s_load_b32 s24, s[0:1], 0x58
	s_mov_b32 s12, s15
	s_mov_b32 s13, 0
	s_mov_b64 s[14:15], 0
	s_waitcnt lgkmcnt(0)
	v_cmp_ge_i64_e64 s8, s[12:13], s[8:9]
	s_delay_alu instid0(VALU_DEP_1)
	s_and_b32 vcc_lo, exec_lo, s8
	s_cbranch_vccnz .LBB26_2
; %bb.1:
	s_load_b64 s[8:9], s[0:1], 0x68
	s_lshl_b64 s[10:11], s[12:13], 2
	s_waitcnt lgkmcnt(0)
	s_add_u32 s8, s8, s10
	s_addc_u32 s9, s9, s11
	s_load_b32 s8, s[8:9], 0x0
	s_waitcnt lgkmcnt(0)
	s_sub_i32 s14, s8, s24
	s_delay_alu instid0(SALU_CYCLE_1)
	s_ashr_i32 s15, s14, 31
.LBB26_2:
	s_clause 0x1
	s_load_b128 s[8:11], s[0:1], 0x28
	s_load_b32 s25, s[0:1], 0x38
	s_waitcnt lgkmcnt(0)
	v_mad_u64_u32 v[6:7], null, v0, s10, 0
	s_mul_i32 s13, s12, s11
	s_mul_hi_u32 s17, s12, s10
	s_mul_i32 s16, s12, s10
	s_add_i32 s17, s17, s13
	v_cmp_gt_i64_e64 s26, s[10:11], 0
	s_lshl_b64 s[16:17], s[16:17], 8
	s_delay_alu instid0(VALU_DEP_2)
	v_mov_b32_e32 v1, v7
	s_add_u32 s13, s2, s16
	s_addc_u32 s16, s3, s17
	s_lshl_b64 s[2:3], s[10:11], 7
	v_cmp_lt_i64_e64 s17, s[10:11], 1
	v_mad_u64_u32 v[2:3], null, v0, s11, v[1:2]
	s_add_u32 s2, s13, s2
	s_addc_u32 s3, s16, s3
	v_mov_b32_e32 v1, 0
	s_delay_alu instid0(VALU_DEP_2) | instskip(NEXT) | instid1(VALU_DEP_1)
	v_mov_b32_e32 v7, v2
	v_lshlrev_b64 v[8:9], 2, v[6:7]
	s_delay_alu instid0(VALU_DEP_1) | instskip(NEXT) | instid1(VALU_DEP_2)
	v_add_co_u32 v2, vcc_lo, s13, v8
	v_add_co_ci_u32_e32 v3, vcc_lo, s16, v9, vcc_lo
	v_add_co_u32 v4, vcc_lo, s2, v8
	v_add_co_ci_u32_e32 v5, vcc_lo, s3, v9, vcc_lo
	s_and_b32 vcc_lo, exec_lo, s17
	s_cbranch_vccnz .LBB26_7
; %bb.3:
	s_load_b64 s[16:17], s[0:1], 0x48
	s_mul_i32 s2, s12, s9
	s_mul_hi_u32 s13, s12, s8
	s_mul_i32 s3, s12, s8
	s_add_i32 s13, s13, s2
	v_add_co_u32 v10, s2, s3, v0
	s_delay_alu instid0(VALU_DEP_1) | instskip(SKIP_1) | instid1(VALU_DEP_2)
	v_add_co_ci_u32_e64 v11, null, s13, 0, s2
	v_dual_mov_b32 v17, v1 :: v_dual_mov_b32 v16, v0
	v_lshlrev_b64 v[12:13], 2, v[10:11]
	v_dual_mov_b32 v11, v5 :: v_dual_mov_b32 v10, v4
	s_waitcnt lgkmcnt(0)
	s_delay_alu instid0(VALU_DEP_2) | instskip(NEXT) | instid1(VALU_DEP_3)
	v_add_co_u32 v14, vcc_lo, v12, s16
	v_add_co_ci_u32_e32 v15, vcc_lo, s17, v13, vcc_lo
	v_dual_mov_b32 v13, v3 :: v_dual_mov_b32 v12, v2
	s_delay_alu instid0(VALU_DEP_3) | instskip(NEXT) | instid1(VALU_DEP_3)
	v_add_co_u32 v14, vcc_lo, v14, 4
	v_add_co_ci_u32_e32 v15, vcc_lo, 0, v15, vcc_lo
	s_mov_b64 s[16:17], s[10:11]
	s_set_inst_prefetch_distance 0x1
	s_branch .LBB26_5
	.p2align	6
.LBB26_4:                               ;   in Loop: Header=BB26_5 Depth=1
	s_or_b32 exec_lo, exec_lo, s2
	v_add_co_u32 v16, vcc_lo, v16, 32
	v_add_co_ci_u32_e32 v17, vcc_lo, 0, v17, vcc_lo
	v_add_co_u32 v12, vcc_lo, v12, 4
	v_add_co_ci_u32_e32 v13, vcc_lo, 0, v13, vcc_lo
	;; [unrolled: 2-line block ×3, first 2 shown]
	v_add_co_u32 v10, vcc_lo, v10, 4
	s_add_u32 s16, s16, -1
	v_add_co_ci_u32_e32 v11, vcc_lo, 0, v11, vcc_lo
	s_addc_u32 s17, s17, -1
	s_delay_alu instid0(SALU_CYCLE_1)
	s_cmp_eq_u64 s[16:17], 0
	s_cbranch_scc1 .LBB26_7
.LBB26_5:                               ; =>This Inner Loop Header: Depth=1
	v_add_co_u32 v18, vcc_lo, s3, v16
	v_add_co_ci_u32_e32 v19, vcc_lo, s13, v17, vcc_lo
	v_cmp_gt_i64_e64 s2, s[8:9], v[16:17]
	global_store_b32 v[12:13], v1, off
	global_store_b32 v[10:11], v1, off
	v_cmp_gt_i64_e32 vcc_lo, s[4:5], v[18:19]
	s_and_b32 s18, vcc_lo, s2
	s_delay_alu instid0(SALU_CYCLE_1)
	s_and_saveexec_b32 s2, s18
	s_cbranch_execz .LBB26_4
; %bb.6:                                ;   in Loop: Header=BB26_5 Depth=1
	global_load_b64 v[18:19], v[14:15], off offset:-4
	s_waitcnt vmcnt(0)
	v_subrev_nc_u32_e32 v18, s25, v18
	v_subrev_nc_u32_e32 v19, s25, v19
	global_store_b32 v[12:13], v18, off
	global_store_b32 v[10:11], v19, off
	s_branch .LBB26_4
.LBB26_7:
	s_set_inst_prefetch_distance 0x2
	v_cmp_lt_i64_e64 s2, s[6:7], 1
	s_delay_alu instid0(VALU_DEP_1)
	s_and_b32 vcc_lo, exec_lo, s2
	s_cbranch_vccnz .LBB26_52
; %bb.8:
	s_clause 0x1
	s_load_b128 s[16:19], s[0:1], 0x80
	s_load_b64 s[20:21], s[0:1], 0x70
	s_lshl_b64 s[2:3], s[10:11], 5
	v_lshlrev_b64 v[6:7], 3, v[6:7]
	s_mul_i32 s3, s3, s12
	s_mul_hi_u32 s4, s2, s12
	s_mul_i32 s2, s2, s12
	s_add_i32 s3, s4, s3
	v_mbcnt_lo_u32_b32 v10, -1, 0
	s_lshl_b64 s[4:5], s[2:3], 3
	v_mov_b32_e32 v18, 0
	s_mov_b32 s27, 0
	v_mov_b32_e32 v41, 0x7c
	v_xor_b32_e32 v11, 16, v10
	v_xor_b32_e32 v12, 8, v10
	;; [unrolled: 1-line block ×5, first 2 shown]
	v_mov_b32_e32 v19, 0
	v_mov_b32_e32 v16, v18
	s_waitcnt lgkmcnt(0)
	s_add_u32 s4, s16, s4
	s_addc_u32 s5, s17, s5
	s_lshl_b64 s[2:3], s[2:3], 2
	v_add_co_u32 v6, vcc_lo, s4, v6
	s_add_u32 s2, s18, s2
	v_add_co_ci_u32_e32 v7, vcc_lo, s5, v7, vcc_lo
	s_addc_u32 s3, s19, s3
	v_add_co_u32 v8, vcc_lo, s2, v8
	v_add_co_ci_u32_e32 v9, vcc_lo, s3, v9, vcc_lo
	v_cmp_gt_i32_e32 vcc_lo, 32, v11
	s_clause 0x3
	s_load_b64 s[2:3], s[0:1], 0x60
	s_load_b64 s[4:5], s[0:1], 0x50
	;; [unrolled: 1-line block ×3, first 2 shown]
	s_load_b32 s1, s[0:1], 0x0
	s_lshl_b64 s[16:17], s[14:15], 3
	v_cmp_eq_u32_e64 s0, 31, v0
	s_add_u32 s28, s20, s16
	v_cndmask_b32_e32 v11, v10, v11, vcc_lo
	v_cmp_gt_i32_e32 vcc_lo, 32, v12
	s_addc_u32 s29, s21, s17
	v_dual_mov_b32 v17, v19 :: v_dual_cndmask_b32 v12, v10, v12
	v_cmp_gt_i32_e32 vcc_lo, 32, v13
	v_cndmask_b32_e32 v13, v10, v13, vcc_lo
	v_cmp_gt_i32_e32 vcc_lo, 32, v14
	s_waitcnt lgkmcnt(0)
	s_cmp_lg_u32 s1, 0
	s_delay_alu instid0(VALU_DEP_2)
	v_lshlrev_b32_e32 v38, 2, v13
	v_lshlrev_b32_e32 v36, 2, v11
	v_cndmask_b32_e32 v14, v10, v14, vcc_lo
	v_cmp_gt_i32_e32 vcc_lo, 32, v15
	s_cselect_b32 s30, -1, 0
	s_add_u32 s31, s14, -1
	s_addc_u32 s33, s15, -1
	v_lshlrev_b32_e32 v39, 2, v14
	v_dual_cndmask_b32 v10, v10, v15 :: v_dual_lshlrev_b32 v37, 2, v12
	v_mov_b32_e32 v14, v18
	v_dual_mov_b32 v12, 0 :: v_dual_mov_b32 v15, v19
	s_lshl_b64 s[14:15], s[8:9], 2
	s_delay_alu instid0(VALU_DEP_3) | instskip(SKIP_3) | instid1(VALU_DEP_1)
	v_lshlrev_b32_e32 v40, 2, v10
	v_lshlrev_b32_e32 v10, 2, v0
	s_lshl_b64 s[16:17], s[8:9], 7
	s_ashr_i32 s18, s9, 31
	v_add_co_u32 v10, s1, s2, v10
	s_delay_alu instid0(VALU_DEP_1)
	v_add_co_ci_u32_e64 v11, null, s3, 0, s1
	s_branch .LBB26_10
.LBB26_9:                               ;   in Loop: Header=BB26_10 Depth=1
	s_waitcnt lgkmcnt(3)
	v_add_co_u32 v18, vcc_lo, v34, 1
	s_waitcnt lgkmcnt(2)
	v_add_co_ci_u32_e32 v19, vcc_lo, 0, v35, vcc_lo
	s_delay_alu instid0(VALU_DEP_1) | instskip(SKIP_1) | instid1(SALU_CYCLE_1)
	v_cmp_le_i64_e32 vcc_lo, s[6:7], v[18:19]
	s_or_b32 s27, vcc_lo, s27
	s_and_not1_b32 exec_lo, exec_lo, s27
	s_cbranch_execz .LBB26_52
.LBB26_10:                              ; =>This Loop Header: Depth=1
                                        ;     Child Loop BB26_14 Depth 2
                                        ;       Child Loop BB26_17 Depth 3
                                        ;     Child Loop BB26_33 Depth 2
	v_dual_mov_b32 v21, s7 :: v_dual_mov_b32 v20, s6
	s_and_not1_b32 vcc_lo, exec_lo, s26
	s_cbranch_vccnz .LBB26_23
; %bb.11:                               ;   in Loop: Header=BB26_10 Depth=1
	v_dual_mov_b32 v21, s7 :: v_dual_mov_b32 v20, s6
	s_mov_b64 s[20:21], 0
	s_branch .LBB26_14
.LBB26_12:                              ;   in Loop: Header=BB26_14 Depth=2
	s_or_b32 exec_lo, exec_lo, s1
.LBB26_13:                              ;   in Loop: Header=BB26_14 Depth=2
	s_delay_alu instid0(SALU_CYCLE_1) | instskip(SKIP_2) | instid1(SALU_CYCLE_1)
	s_or_b32 exec_lo, exec_lo, s19
	s_add_u32 s20, s20, 1
	s_addc_u32 s21, s21, 0
	s_cmp_eq_u64 s[20:21], s[10:11]
	s_cbranch_scc1 .LBB26_23
.LBB26_14:                              ;   Parent Loop BB26_10 Depth=1
                                        ; =>  This Loop Header: Depth=2
                                        ;       Child Loop BB26_17 Depth 3
	s_lshl_b64 s[22:23], s[20:21], 2
	v_dual_mov_b32 v29, s7 :: v_dual_mov_b32 v28, s6
	v_add_co_u32 v22, vcc_lo, v2, s22
	v_add_co_ci_u32_e32 v23, vcc_lo, s23, v3, vcc_lo
	v_add_co_u32 v24, vcc_lo, v4, s22
	v_add_co_ci_u32_e32 v25, vcc_lo, s23, v5, vcc_lo
	s_clause 0x1
	global_load_b32 v32, v[22:23], off
	global_load_b32 v13, v[24:25], off
	v_add_co_u32 v24, vcc_lo, v8, s22
	v_add_co_ci_u32_e32 v25, vcc_lo, s23, v9, vcc_lo
	s_lshl_b64 s[22:23], s[20:21], 3
	s_mov_b32 s19, exec_lo
	v_add_co_u32 v26, vcc_lo, v6, s22
	v_add_co_ci_u32_e32 v27, vcc_lo, s23, v7, vcc_lo
	global_store_b32 v[24:25], v12, off
	global_store_b64 v[26:27], v[28:29], off
	s_waitcnt vmcnt(0)
	v_cmpx_lt_i32_e64 v32, v13
	s_cbranch_execz .LBB26_13
; %bb.15:                               ;   in Loop: Header=BB26_14 Depth=2
	v_ashrrev_i32_e32 v33, 31, v32
	s_mov_b32 s22, 0
                                        ; implicit-def: $sgpr23
                                        ; implicit-def: $sgpr35
                                        ; implicit-def: $sgpr34
	s_delay_alu instid0(VALU_DEP_1) | instskip(NEXT) | instid1(VALU_DEP_1)
	v_lshlrev_b64 v[28:29], 3, v[32:33]
	v_add_co_u32 v34, vcc_lo, s4, v28
	s_delay_alu instid0(VALU_DEP_2)
	v_add_co_ci_u32_e32 v35, vcc_lo, s5, v29, vcc_lo
	s_set_inst_prefetch_distance 0x1
	s_branch .LBB26_17
	.p2align	6
.LBB26_16:                              ;   in Loop: Header=BB26_17 Depth=3
	s_or_b32 exec_lo, exec_lo, s36
	s_delay_alu instid0(SALU_CYCLE_1) | instskip(NEXT) | instid1(SALU_CYCLE_1)
	s_and_b32 s1, exec_lo, s35
	s_or_b32 s22, s1, s22
	s_and_not1_b32 s1, s23, exec_lo
	s_and_b32 s23, s34, exec_lo
	s_delay_alu instid0(SALU_CYCLE_1)
	s_or_b32 s23, s1, s23
	s_and_not1_b32 exec_lo, exec_lo, s22
	s_cbranch_execz .LBB26_19
.LBB26_17:                              ;   Parent Loop BB26_10 Depth=1
                                        ;     Parent Loop BB26_14 Depth=2
                                        ; =>    This Inner Loop Header: Depth=3
	global_load_b64 v[28:29], v[34:35], off
	s_or_b32 s34, s34, exec_lo
	s_or_b32 s35, s35, exec_lo
	s_mov_b32 s36, exec_lo
	s_waitcnt vmcnt(0)
	v_sub_co_u32 v30, vcc_lo, v28, s25
	v_subrev_co_ci_u32_e32 v31, vcc_lo, 0, v29, vcc_lo
	v_dual_mov_b32 v28, v32 :: v_dual_mov_b32 v29, v33
                                        ; implicit-def: $vgpr32_vgpr33
	s_delay_alu instid0(VALU_DEP_2)
	v_cmpx_lt_i64_e64 v[30:31], v[18:19]
	s_cbranch_execz .LBB26_16
; %bb.18:                               ;   in Loop: Header=BB26_17 Depth=3
	s_delay_alu instid0(VALU_DEP_2) | instskip(NEXT) | instid1(VALU_DEP_3)
	v_add_co_u32 v32, vcc_lo, v28, 1
	v_add_co_ci_u32_e32 v33, vcc_lo, 0, v29, vcc_lo
	v_add_co_u32 v34, s1, v34, 8
	s_delay_alu instid0(VALU_DEP_3) | instskip(SKIP_4) | instid1(SALU_CYCLE_1)
	v_cmp_ge_i32_e32 vcc_lo, v32, v13
	v_add_co_ci_u32_e64 v35, s1, 0, v35, s1
	s_and_not1_b32 s1, s35, exec_lo
	s_and_not1_b32 s34, s34, exec_lo
	s_and_b32 s35, vcc_lo, exec_lo
	s_or_b32 s35, s1, s35
	s_branch .LBB26_16
.LBB26_19:                              ;   in Loop: Header=BB26_14 Depth=2
	s_set_inst_prefetch_distance 0x2
	s_or_b32 exec_lo, exec_lo, s22
	v_lshlrev_b64 v[32:33], 2, v[28:29]
	s_xor_b32 s1, s23, -1
	s_delay_alu instid0(SALU_CYCLE_1) | instskip(NEXT) | instid1(SALU_CYCLE_1)
	s_and_saveexec_b32 s22, s1
	s_xor_b32 s1, exec_lo, s22
	s_cbranch_execz .LBB26_21
; %bb.20:                               ;   in Loop: Header=BB26_14 Depth=2
	s_delay_alu instid0(VALU_DEP_1)
	v_add_co_u32 v22, vcc_lo, s12, v32
	v_add_co_ci_u32_e32 v23, vcc_lo, s13, v33, vcc_lo
                                        ; implicit-def: $vgpr32_vgpr33
	global_load_b32 v13, v[22:23], off
                                        ; implicit-def: $vgpr22_vgpr23
	s_waitcnt vmcnt(0)
	global_store_b32 v[24:25], v13, off
	global_store_b64 v[26:27], v[30:31], off
                                        ; implicit-def: $vgpr24_vgpr25
                                        ; implicit-def: $vgpr26_vgpr27
.LBB26_21:                              ;   in Loop: Header=BB26_14 Depth=2
	s_and_not1_saveexec_b32 s1, s1
	s_cbranch_execz .LBB26_12
; %bb.22:                               ;   in Loop: Header=BB26_14 Depth=2
	v_add_co_u32 v32, vcc_lo, s12, v32
	v_add_co_ci_u32_e32 v33, vcc_lo, s13, v33, vcc_lo
	v_cmp_lt_i64_e32 vcc_lo, v[30:31], v[20:21]
	global_load_b32 v13, v[32:33], off
	global_store_b64 v[26:27], v[30:31], off
	s_waitcnt vmcnt(0)
	global_store_b32 v[24:25], v13, off
	global_store_b32 v[22:23], v28, off
	v_dual_cndmask_b32 v21, v21, v31 :: v_dual_cndmask_b32 v20, v20, v30
	s_branch .LBB26_12
.LBB26_23:                              ;   in Loop: Header=BB26_10 Depth=1
	ds_bpermute_b32 v18, v36, v20
	ds_bpermute_b32 v19, v36, v21
	s_waitcnt lgkmcnt(0)
	v_cmp_lt_i64_e32 vcc_lo, v[18:19], v[20:21]
	v_dual_cndmask_b32 v19, v21, v19 :: v_dual_cndmask_b32 v18, v20, v18
	ds_bpermute_b32 v21, v37, v19
	ds_bpermute_b32 v20, v37, v18
	s_waitcnt lgkmcnt(0)
	v_cmp_lt_i64_e32 vcc_lo, v[20:21], v[18:19]
	v_dual_cndmask_b32 v19, v19, v21 :: v_dual_cndmask_b32 v18, v18, v20
	ds_bpermute_b32 v21, v38, v19
	ds_bpermute_b32 v20, v38, v18
	s_waitcnt lgkmcnt(0)
	v_cmp_lt_i64_e32 vcc_lo, v[20:21], v[18:19]
	v_dual_cndmask_b32 v19, v19, v21 :: v_dual_cndmask_b32 v18, v18, v20
	ds_bpermute_b32 v21, v39, v19
	ds_bpermute_b32 v20, v39, v18
	s_waitcnt lgkmcnt(0)
	v_cmp_lt_i64_e32 vcc_lo, v[20:21], v[18:19]
	v_dual_cndmask_b32 v19, v19, v21 :: v_dual_cndmask_b32 v18, v18, v20
	ds_bpermute_b32 v21, v40, v19
	ds_bpermute_b32 v20, v40, v18
	s_waitcnt lgkmcnt(0)
	v_cmp_lt_i64_e32 vcc_lo, v[20:21], v[18:19]
	v_dual_cndmask_b32 v19, v19, v21 :: v_dual_cndmask_b32 v18, v18, v20
	s_delay_alu instid0(VALU_DEP_1) | instskip(SKIP_1) | instid1(SALU_CYCLE_1)
	v_cmp_gt_i64_e32 vcc_lo, s[6:7], v[18:19]
	s_and_b32 s1, s0, vcc_lo
	s_and_saveexec_b32 s22, s1
	s_cbranch_execz .LBB26_29
; %bb.24:                               ;   in Loop: Header=BB26_10 Depth=1
	v_or_b32_e32 v13, s9, v19
                                        ; implicit-def: $vgpr20_vgpr21
	s_mov_b32 s1, exec_lo
	s_delay_alu instid0(VALU_DEP_1)
	v_cmpx_ne_u64_e32 0, v[12:13]
	s_xor_b32 s23, exec_lo, s1
	s_cbranch_execnz .LBB26_50
; %bb.25:                               ;   in Loop: Header=BB26_10 Depth=1
	s_and_not1_saveexec_b32 s1, s23
	s_cbranch_execnz .LBB26_51
.LBB26_26:                              ;   in Loop: Header=BB26_10 Depth=1
	s_or_b32 exec_lo, exec_lo, s1
	s_delay_alu instid0(SALU_CYCLE_1)
	s_mov_b32 s1, exec_lo
	v_cmpx_ge_i64_e64 v[20:21], v[16:17]
	s_cbranch_execz .LBB26_28
.LBB26_27:                              ;   in Loop: Header=BB26_10 Depth=1
	v_lshlrev_b64 v[16:17], 3, v[14:15]
	v_add_co_u32 v22, vcc_lo, v20, s24
	v_add_co_ci_u32_e32 v23, vcc_lo, 0, v21, vcc_lo
	s_delay_alu instid0(VALU_DEP_3) | instskip(NEXT) | instid1(VALU_DEP_4)
	v_add_co_u32 v24, vcc_lo, s28, v16
	v_add_co_ci_u32_e32 v25, vcc_lo, s29, v17, vcc_lo
	v_add_co_u32 v14, vcc_lo, v14, 1
	v_add_co_ci_u32_e32 v15, vcc_lo, 0, v15, vcc_lo
	;; [unrolled: 2-line block ×3, first 2 shown]
	global_store_b64 v[24:25], v[22:23], off
.LBB26_28:                              ;   in Loop: Header=BB26_10 Depth=1
	s_or_b32 exec_lo, exec_lo, s1
.LBB26_29:                              ;   in Loop: Header=BB26_10 Depth=1
	s_delay_alu instid0(SALU_CYCLE_1)
	s_or_b32 exec_lo, exec_lo, s22
	ds_bpermute_b32 v34, v41, v18
	ds_bpermute_b32 v35, v41, v19
	;; [unrolled: 1-line block ×4, first 2 shown]
	s_and_not1_b32 vcc_lo, exec_lo, s26
	s_cbranch_vccnz .LBB26_9
; %bb.30:                               ;   in Loop: Header=BB26_10 Depth=1
	v_add_co_u32 v13, vcc_lo, s31, 0
	s_waitcnt lgkmcnt(0)
	v_add_co_ci_u32_e32 v18, vcc_lo, s33, v15, vcc_lo
	v_dual_mov_b32 v25, v9 :: v_dual_mov_b32 v24, v8
	s_delay_alu instid0(VALU_DEP_3) | instskip(NEXT) | instid1(VALU_DEP_3)
	v_add_co_u32 v13, vcc_lo, v13, v14
	v_add_co_ci_u32_e32 v18, vcc_lo, 0, v18, vcc_lo
	s_mov_b64 s[20:21], s[10:11]
	s_delay_alu instid0(VALU_DEP_2) | instskip(SKIP_1) | instid1(VALU_DEP_3)
	v_mul_lo_u32 v19, s9, v13
	v_mad_u64_u32 v[22:23], null, s8, v13, v[0:1]
	v_mul_lo_u32 v18, s8, v18
	v_add_co_u32 v13, vcc_lo, s31, v14
	v_add_co_ci_u32_e32 v20, vcc_lo, s33, v15, vcc_lo
	s_delay_alu instid0(VALU_DEP_2) | instskip(NEXT) | instid1(VALU_DEP_4)
	v_mul_lo_u32 v27, v13, s9
	v_add3_u32 v23, v19, v23, v18
	s_delay_alu instid0(VALU_DEP_3)
	v_mul_lo_u32 v26, v20, s8
	v_mad_u64_u32 v[18:19], null, v13, s8, 0
	v_mul_lo_u32 v13, s15, v22
	v_mad_u64_u32 v[20:21], null, s14, v22, s[2:3]
	v_mul_lo_u32 v28, s14, v23
	v_dual_mov_b32 v23, v7 :: v_dual_mov_b32 v22, v6
	v_add3_u32 v19, v19, v27, v26
	v_dual_mov_b32 v27, v11 :: v_dual_mov_b32 v26, v10
	s_delay_alu instid0(VALU_DEP_4)
	v_add3_u32 v21, v13, v21, v28
	s_branch .LBB26_33
.LBB26_31:                              ;   in Loop: Header=BB26_33 Depth=2
	s_or_b32 exec_lo, exec_lo, s1
	global_load_b32 v13, v[24:25], off
	v_lshlrev_b64 v[28:29], 2, v[30:31]
	s_delay_alu instid0(VALU_DEP_1) | instskip(NEXT) | instid1(VALU_DEP_2)
	v_add_co_u32 v28, vcc_lo, v20, v28
	v_add_co_ci_u32_e32 v29, vcc_lo, v21, v29, vcc_lo
	s_waitcnt vmcnt(0)
	global_store_b32 v[28:29], v13, off
.LBB26_32:                              ;   in Loop: Header=BB26_33 Depth=2
	s_or_b32 exec_lo, exec_lo, s34
	v_add_co_u32 v20, vcc_lo, v20, s16
	v_add_co_ci_u32_e32 v21, vcc_lo, s17, v21, vcc_lo
	v_add_co_u32 v26, vcc_lo, 0x80, v26
	v_add_co_ci_u32_e32 v27, vcc_lo, 0, v27, vcc_lo
	;; [unrolled: 2-line block ×3, first 2 shown]
	v_add_co_u32 v22, vcc_lo, v22, 8
	s_add_u32 s20, s20, -1
	v_add_co_ci_u32_e32 v23, vcc_lo, 0, v23, vcc_lo
	s_addc_u32 s21, s21, -1
	s_delay_alu instid0(SALU_CYCLE_1)
	s_cmp_eq_u64 s[20:21], 0
	s_cbranch_scc1 .LBB26_9
.LBB26_33:                              ;   Parent Loop BB26_10 Depth=1
                                        ; =>  This Inner Loop Header: Depth=2
	global_load_b64 v[28:29], v[22:23], off
	s_mov_b32 s34, exec_lo
	s_waitcnt vmcnt(0)
	v_cmpx_gt_i64_e64 s[6:7], v[28:29]
	s_cbranch_execz .LBB26_32
; %bb.34:                               ;   in Loop: Header=BB26_33 Depth=2
	v_or_b32_e32 v42, s9, v29
                                        ; implicit-def: $vgpr30_vgpr31
	s_mov_b32 s1, exec_lo
	s_delay_alu instid0(VALU_DEP_1) | instskip(NEXT) | instid1(VALU_DEP_1)
	v_mov_b32_e32 v13, v42
	v_cmpx_ne_u64_e32 0, v[12:13]
	s_xor_b32 s35, exec_lo, s1
	s_cbranch_execz .LBB26_36
; %bb.35:                               ;   in Loop: Header=BB26_33 Depth=2
	s_add_u32 s22, s8, s18
	s_mov_b32 s19, s18
	s_addc_u32 s23, s9, s18
	s_delay_alu instid0(SALU_CYCLE_1) | instskip(NEXT) | instid1(SALU_CYCLE_1)
	s_xor_b64 s[22:23], s[22:23], s[18:19]
	v_cvt_f32_u32_e32 v13, s22
	v_cvt_f32_u32_e32 v30, s23
	s_sub_u32 s1, 0, s22
	s_subb_u32 s19, 0, s23
	s_delay_alu instid0(VALU_DEP_1) | instskip(NEXT) | instid1(VALU_DEP_1)
	v_fmac_f32_e32 v13, 0x4f800000, v30
	v_rcp_f32_e32 v13, v13
	s_waitcnt_depctr 0xfff
	v_mul_f32_e32 v13, 0x5f7ffffc, v13
	s_delay_alu instid0(VALU_DEP_1) | instskip(NEXT) | instid1(VALU_DEP_1)
	v_mul_f32_e32 v30, 0x2f800000, v13
	v_trunc_f32_e32 v30, v30
	s_delay_alu instid0(VALU_DEP_1) | instskip(SKIP_1) | instid1(VALU_DEP_2)
	v_fmac_f32_e32 v13, 0xcf800000, v30
	v_cvt_u32_f32_e32 v30, v30
	v_cvt_u32_f32_e32 v13, v13
	s_delay_alu instid0(VALU_DEP_2) | instskip(NEXT) | instid1(VALU_DEP_2)
	v_mul_lo_u32 v31, s1, v30
	v_mul_hi_u32 v32, s1, v13
	v_mul_lo_u32 v33, s19, v13
	s_delay_alu instid0(VALU_DEP_2) | instskip(SKIP_1) | instid1(VALU_DEP_2)
	v_add_nc_u32_e32 v31, v32, v31
	v_mul_lo_u32 v32, s1, v13
	v_add_nc_u32_e32 v31, v31, v33
	s_delay_alu instid0(VALU_DEP_2) | instskip(NEXT) | instid1(VALU_DEP_2)
	v_mul_hi_u32 v33, v13, v32
	v_mul_lo_u32 v43, v13, v31
	v_mul_hi_u32 v44, v13, v31
	v_mul_hi_u32 v45, v30, v32
	v_mul_lo_u32 v32, v30, v32
	v_mul_hi_u32 v46, v30, v31
	v_mul_lo_u32 v31, v30, v31
	v_add_co_u32 v33, vcc_lo, v33, v43
	v_add_co_ci_u32_e32 v43, vcc_lo, 0, v44, vcc_lo
	s_delay_alu instid0(VALU_DEP_2) | instskip(NEXT) | instid1(VALU_DEP_2)
	v_add_co_u32 v32, vcc_lo, v33, v32
	v_add_co_ci_u32_e32 v32, vcc_lo, v43, v45, vcc_lo
	v_add_co_ci_u32_e32 v33, vcc_lo, 0, v46, vcc_lo
	v_ashrrev_i32_e32 v45, 31, v29
	s_delay_alu instid0(VALU_DEP_3) | instskip(NEXT) | instid1(VALU_DEP_3)
	v_add_co_u32 v31, vcc_lo, v32, v31
	v_add_co_ci_u32_e32 v32, vcc_lo, 0, v33, vcc_lo
	s_delay_alu instid0(VALU_DEP_2) | instskip(NEXT) | instid1(VALU_DEP_2)
	v_add_co_u32 v13, vcc_lo, v13, v31
	v_add_co_ci_u32_e32 v30, vcc_lo, v30, v32, vcc_lo
	s_delay_alu instid0(VALU_DEP_2) | instskip(SKIP_1) | instid1(VALU_DEP_3)
	v_mul_hi_u32 v31, s1, v13
	v_mul_lo_u32 v33, s19, v13
	v_mul_lo_u32 v32, s1, v30
	s_delay_alu instid0(VALU_DEP_1) | instskip(SKIP_1) | instid1(VALU_DEP_2)
	v_add_nc_u32_e32 v31, v31, v32
	v_mul_lo_u32 v32, s1, v13
	v_add_nc_u32_e32 v31, v31, v33
	s_delay_alu instid0(VALU_DEP_2) | instskip(NEXT) | instid1(VALU_DEP_2)
	v_mul_hi_u32 v33, v13, v32
	v_mul_lo_u32 v43, v13, v31
	v_mul_hi_u32 v44, v13, v31
	v_mul_hi_u32 v46, v30, v32
	v_mul_lo_u32 v32, v30, v32
	v_mul_hi_u32 v47, v30, v31
	v_mul_lo_u32 v31, v30, v31
	v_add_co_u32 v33, vcc_lo, v33, v43
	v_add_co_ci_u32_e32 v43, vcc_lo, 0, v44, vcc_lo
	s_delay_alu instid0(VALU_DEP_2) | instskip(NEXT) | instid1(VALU_DEP_2)
	v_add_co_u32 v32, vcc_lo, v33, v32
	v_add_co_ci_u32_e32 v32, vcc_lo, v43, v46, vcc_lo
	v_add_co_ci_u32_e32 v33, vcc_lo, 0, v47, vcc_lo
	v_add_co_u32 v43, vcc_lo, v28, v45
	v_add_co_ci_u32_e32 v44, vcc_lo, v29, v45, vcc_lo
	s_delay_alu instid0(VALU_DEP_4) | instskip(NEXT) | instid1(VALU_DEP_4)
	v_add_co_u32 v31, vcc_lo, v32, v31
	v_add_co_ci_u32_e32 v32, vcc_lo, 0, v33, vcc_lo
	s_delay_alu instid0(VALU_DEP_4) | instskip(NEXT) | instid1(VALU_DEP_3)
	v_xor_b32_e32 v46, v43, v45
	v_add_co_u32 v13, vcc_lo, v13, v31
	s_delay_alu instid0(VALU_DEP_3) | instskip(SKIP_1) | instid1(VALU_DEP_3)
	v_add_co_ci_u32_e32 v47, vcc_lo, v30, v32, vcc_lo
	v_xor_b32_e32 v48, v44, v45
	v_mul_hi_u32 v49, v46, v13
	s_delay_alu instid0(VALU_DEP_3) | instskip(NEXT) | instid1(VALU_DEP_3)
	v_mad_u64_u32 v[30:31], null, v46, v47, 0
	v_mad_u64_u32 v[32:33], null, v48, v13, 0
	;; [unrolled: 1-line block ×3, first 2 shown]
	s_delay_alu instid0(VALU_DEP_3) | instskip(NEXT) | instid1(VALU_DEP_4)
	v_add_co_u32 v13, vcc_lo, v49, v30
	v_add_co_ci_u32_e32 v30, vcc_lo, 0, v31, vcc_lo
	s_delay_alu instid0(VALU_DEP_2) | instskip(NEXT) | instid1(VALU_DEP_2)
	v_add_co_u32 v13, vcc_lo, v13, v32
	v_add_co_ci_u32_e32 v13, vcc_lo, v30, v33, vcc_lo
	v_add_co_ci_u32_e32 v30, vcc_lo, 0, v44, vcc_lo
	s_delay_alu instid0(VALU_DEP_2) | instskip(NEXT) | instid1(VALU_DEP_2)
	v_add_co_u32 v13, vcc_lo, v13, v43
	v_add_co_ci_u32_e32 v32, vcc_lo, 0, v30, vcc_lo
	s_delay_alu instid0(VALU_DEP_2) | instskip(SKIP_1) | instid1(VALU_DEP_3)
	v_mul_lo_u32 v33, s23, v13
	v_mad_u64_u32 v[30:31], null, s22, v13, 0
	v_mul_lo_u32 v43, s22, v32
	s_delay_alu instid0(VALU_DEP_2) | instskip(NEXT) | instid1(VALU_DEP_2)
	v_sub_co_u32 v30, vcc_lo, v46, v30
	v_add3_u32 v31, v31, v43, v33
	s_delay_alu instid0(VALU_DEP_1) | instskip(NEXT) | instid1(VALU_DEP_1)
	v_sub_nc_u32_e32 v33, v48, v31
	v_subrev_co_ci_u32_e64 v33, s1, s23, v33, vcc_lo
	v_add_co_u32 v43, s1, v13, 2
	s_delay_alu instid0(VALU_DEP_1) | instskip(SKIP_3) | instid1(VALU_DEP_3)
	v_add_co_ci_u32_e64 v44, s1, 0, v32, s1
	v_sub_co_u32 v46, s1, v30, s22
	v_sub_co_ci_u32_e32 v31, vcc_lo, v48, v31, vcc_lo
	v_subrev_co_ci_u32_e64 v33, s1, 0, v33, s1
	v_cmp_le_u32_e32 vcc_lo, s22, v46
	s_delay_alu instid0(VALU_DEP_3) | instskip(SKIP_1) | instid1(VALU_DEP_4)
	v_cmp_eq_u32_e64 s1, s23, v31
	v_cndmask_b32_e64 v46, 0, -1, vcc_lo
	v_cmp_le_u32_e32 vcc_lo, s23, v33
	v_cndmask_b32_e64 v47, 0, -1, vcc_lo
	v_cmp_le_u32_e32 vcc_lo, s22, v30
	;; [unrolled: 2-line block ×3, first 2 shown]
	v_cndmask_b32_e64 v48, 0, -1, vcc_lo
	v_cmp_eq_u32_e32 vcc_lo, s23, v33
	s_delay_alu instid0(VALU_DEP_2) | instskip(SKIP_3) | instid1(VALU_DEP_3)
	v_cndmask_b32_e64 v30, v48, v30, s1
	v_cndmask_b32_e32 v33, v47, v46, vcc_lo
	v_add_co_u32 v46, vcc_lo, v13, 1
	v_add_co_ci_u32_e32 v47, vcc_lo, 0, v32, vcc_lo
	v_cmp_ne_u32_e32 vcc_lo, 0, v33
	s_delay_alu instid0(VALU_DEP_2) | instskip(NEXT) | instid1(VALU_DEP_4)
	v_cndmask_b32_e32 v31, v47, v44, vcc_lo
	v_cndmask_b32_e32 v33, v46, v43, vcc_lo
	v_cmp_ne_u32_e32 vcc_lo, 0, v30
	v_xor_b32_e32 v43, s18, v45
	s_delay_alu instid0(VALU_DEP_3) | instskip(NEXT) | instid1(VALU_DEP_1)
	v_dual_cndmask_b32 v13, v13, v33 :: v_dual_cndmask_b32 v30, v32, v31
	v_xor_b32_e32 v13, v13, v43
	s_delay_alu instid0(VALU_DEP_2) | instskip(NEXT) | instid1(VALU_DEP_2)
	v_xor_b32_e32 v31, v30, v43
	v_sub_co_u32 v30, vcc_lo, v13, v43
	s_delay_alu instid0(VALU_DEP_2)
	v_sub_co_ci_u32_e32 v31, vcc_lo, v31, v43, vcc_lo
.LBB26_36:                              ;   in Loop: Header=BB26_33 Depth=2
	s_and_not1_saveexec_b32 s1, s35
	s_cbranch_execz .LBB26_38
; %bb.37:                               ;   in Loop: Header=BB26_33 Depth=2
	v_cvt_f32_u32_e32 v13, s8
	s_sub_i32 s19, 0, s8
	s_delay_alu instid0(VALU_DEP_1) | instskip(SKIP_2) | instid1(VALU_DEP_1)
	v_rcp_iflag_f32_e32 v13, v13
	s_waitcnt_depctr 0xfff
	v_mul_f32_e32 v13, 0x4f7ffffe, v13
	v_cvt_u32_f32_e32 v13, v13
	s_delay_alu instid0(VALU_DEP_1) | instskip(NEXT) | instid1(VALU_DEP_1)
	v_mul_lo_u32 v30, s19, v13
	v_mul_hi_u32 v30, v13, v30
	s_delay_alu instid0(VALU_DEP_1) | instskip(NEXT) | instid1(VALU_DEP_1)
	v_add_nc_u32_e32 v13, v13, v30
	v_mul_hi_u32 v13, v28, v13
	s_delay_alu instid0(VALU_DEP_1) | instskip(SKIP_1) | instid1(VALU_DEP_2)
	v_mul_lo_u32 v30, v13, s8
	v_add_nc_u32_e32 v31, 1, v13
	v_sub_nc_u32_e32 v30, v28, v30
	s_delay_alu instid0(VALU_DEP_1) | instskip(SKIP_1) | instid1(VALU_DEP_2)
	v_subrev_nc_u32_e32 v32, s8, v30
	v_cmp_le_u32_e32 vcc_lo, s8, v30
	v_dual_cndmask_b32 v30, v30, v32 :: v_dual_cndmask_b32 v13, v13, v31
	s_delay_alu instid0(VALU_DEP_1) | instskip(NEXT) | instid1(VALU_DEP_2)
	v_cmp_le_u32_e32 vcc_lo, s8, v30
	v_add_nc_u32_e32 v31, 1, v13
	s_delay_alu instid0(VALU_DEP_1)
	v_dual_cndmask_b32 v30, v13, v31 :: v_dual_mov_b32 v31, v12
.LBB26_38:                              ;   in Loop: Header=BB26_33 Depth=2
	s_or_b32 exec_lo, exec_lo, s1
	v_or_b32_e32 v13, s9, v35
                                        ; implicit-def: $vgpr32_vgpr33
	s_mov_b32 s1, exec_lo
	s_delay_alu instid0(VALU_DEP_1)
	v_cmpx_ne_u64_e32 0, v[12:13]
	s_xor_b32 s35, exec_lo, s1
	s_cbranch_execnz .LBB26_41
; %bb.39:                               ;   in Loop: Header=BB26_33 Depth=2
	s_and_not1_saveexec_b32 s1, s35
	s_cbranch_execnz .LBB26_42
.LBB26_40:                              ;   in Loop: Header=BB26_33 Depth=2
	s_or_b32 exec_lo, exec_lo, s1
	s_delay_alu instid0(VALU_DEP_1)
	v_cmp_eq_u64_e32 vcc_lo, v[30:31], v[32:33]
	s_and_b32 exec_lo, exec_lo, vcc_lo
	s_cbranch_execz .LBB26_32
	s_branch .LBB26_43
.LBB26_41:                              ;   in Loop: Header=BB26_33 Depth=2
	s_add_u32 s22, s8, s18
	s_mov_b32 s19, s18
	s_addc_u32 s23, s9, s18
	s_delay_alu instid0(SALU_CYCLE_1) | instskip(NEXT) | instid1(SALU_CYCLE_1)
	s_xor_b64 s[22:23], s[22:23], s[18:19]
	v_cvt_f32_u32_e32 v13, s22
	v_cvt_f32_u32_e32 v32, s23
	s_sub_u32 s1, 0, s22
	s_subb_u32 s19, 0, s23
	s_delay_alu instid0(VALU_DEP_1) | instskip(NEXT) | instid1(VALU_DEP_1)
	v_fmac_f32_e32 v13, 0x4f800000, v32
	v_rcp_f32_e32 v13, v13
	s_waitcnt_depctr 0xfff
	v_mul_f32_e32 v13, 0x5f7ffffc, v13
	s_delay_alu instid0(VALU_DEP_1) | instskip(NEXT) | instid1(VALU_DEP_1)
	v_mul_f32_e32 v32, 0x2f800000, v13
	v_trunc_f32_e32 v32, v32
	s_delay_alu instid0(VALU_DEP_1) | instskip(SKIP_1) | instid1(VALU_DEP_2)
	v_fmac_f32_e32 v13, 0xcf800000, v32
	v_cvt_u32_f32_e32 v32, v32
	v_cvt_u32_f32_e32 v13, v13
	s_delay_alu instid0(VALU_DEP_2) | instskip(NEXT) | instid1(VALU_DEP_2)
	v_mul_lo_u32 v33, s1, v32
	v_mul_hi_u32 v43, s1, v13
	v_mul_lo_u32 v44, s19, v13
	s_delay_alu instid0(VALU_DEP_2) | instskip(SKIP_1) | instid1(VALU_DEP_2)
	v_add_nc_u32_e32 v33, v43, v33
	v_mul_lo_u32 v43, s1, v13
	v_add_nc_u32_e32 v33, v33, v44
	s_delay_alu instid0(VALU_DEP_2) | instskip(NEXT) | instid1(VALU_DEP_2)
	v_mul_hi_u32 v44, v13, v43
	v_mul_lo_u32 v45, v13, v33
	v_mul_hi_u32 v46, v13, v33
	v_mul_hi_u32 v47, v32, v43
	v_mul_lo_u32 v43, v32, v43
	v_mul_hi_u32 v48, v32, v33
	v_mul_lo_u32 v33, v32, v33
	v_add_co_u32 v44, vcc_lo, v44, v45
	v_add_co_ci_u32_e32 v45, vcc_lo, 0, v46, vcc_lo
	s_delay_alu instid0(VALU_DEP_2) | instskip(NEXT) | instid1(VALU_DEP_2)
	v_add_co_u32 v43, vcc_lo, v44, v43
	v_add_co_ci_u32_e32 v43, vcc_lo, v45, v47, vcc_lo
	v_add_co_ci_u32_e32 v44, vcc_lo, 0, v48, vcc_lo
	v_ashrrev_i32_e32 v47, 31, v35
	s_delay_alu instid0(VALU_DEP_3) | instskip(NEXT) | instid1(VALU_DEP_3)
	v_add_co_u32 v33, vcc_lo, v43, v33
	v_add_co_ci_u32_e32 v43, vcc_lo, 0, v44, vcc_lo
	s_delay_alu instid0(VALU_DEP_2) | instskip(NEXT) | instid1(VALU_DEP_2)
	v_add_co_u32 v13, vcc_lo, v13, v33
	v_add_co_ci_u32_e32 v32, vcc_lo, v32, v43, vcc_lo
	s_delay_alu instid0(VALU_DEP_2) | instskip(SKIP_1) | instid1(VALU_DEP_3)
	v_mul_hi_u32 v33, s1, v13
	v_mul_lo_u32 v44, s19, v13
	v_mul_lo_u32 v43, s1, v32
	s_delay_alu instid0(VALU_DEP_1) | instskip(SKIP_1) | instid1(VALU_DEP_2)
	v_add_nc_u32_e32 v33, v33, v43
	v_mul_lo_u32 v43, s1, v13
	v_add_nc_u32_e32 v33, v33, v44
	s_delay_alu instid0(VALU_DEP_2) | instskip(NEXT) | instid1(VALU_DEP_2)
	v_mul_hi_u32 v44, v13, v43
	v_mul_lo_u32 v45, v13, v33
	v_mul_hi_u32 v46, v13, v33
	v_mul_hi_u32 v48, v32, v43
	v_mul_lo_u32 v43, v32, v43
	v_mul_hi_u32 v49, v32, v33
	v_mul_lo_u32 v33, v32, v33
	v_add_co_u32 v44, vcc_lo, v44, v45
	v_add_co_ci_u32_e32 v45, vcc_lo, 0, v46, vcc_lo
	s_delay_alu instid0(VALU_DEP_2) | instskip(NEXT) | instid1(VALU_DEP_2)
	v_add_co_u32 v43, vcc_lo, v44, v43
	v_add_co_ci_u32_e32 v43, vcc_lo, v45, v48, vcc_lo
	v_add_co_ci_u32_e32 v44, vcc_lo, 0, v49, vcc_lo
	v_add_co_u32 v45, vcc_lo, v34, v47
	v_add_co_ci_u32_e32 v46, vcc_lo, v35, v47, vcc_lo
	s_delay_alu instid0(VALU_DEP_4) | instskip(NEXT) | instid1(VALU_DEP_4)
	v_add_co_u32 v33, vcc_lo, v43, v33
	v_add_co_ci_u32_e32 v43, vcc_lo, 0, v44, vcc_lo
	s_delay_alu instid0(VALU_DEP_4) | instskip(NEXT) | instid1(VALU_DEP_3)
	v_xor_b32_e32 v48, v45, v47
	v_add_co_u32 v13, vcc_lo, v13, v33
	s_delay_alu instid0(VALU_DEP_3) | instskip(SKIP_1) | instid1(VALU_DEP_3)
	v_add_co_ci_u32_e32 v49, vcc_lo, v32, v43, vcc_lo
	v_xor_b32_e32 v50, v46, v47
	v_mul_hi_u32 v51, v48, v13
	s_delay_alu instid0(VALU_DEP_3) | instskip(NEXT) | instid1(VALU_DEP_3)
	v_mad_u64_u32 v[32:33], null, v48, v49, 0
	v_mad_u64_u32 v[43:44], null, v50, v13, 0
	;; [unrolled: 1-line block ×3, first 2 shown]
	s_delay_alu instid0(VALU_DEP_3) | instskip(NEXT) | instid1(VALU_DEP_4)
	v_add_co_u32 v13, vcc_lo, v51, v32
	v_add_co_ci_u32_e32 v32, vcc_lo, 0, v33, vcc_lo
	s_delay_alu instid0(VALU_DEP_2) | instskip(NEXT) | instid1(VALU_DEP_2)
	v_add_co_u32 v13, vcc_lo, v13, v43
	v_add_co_ci_u32_e32 v13, vcc_lo, v32, v44, vcc_lo
	v_add_co_ci_u32_e32 v32, vcc_lo, 0, v46, vcc_lo
	s_delay_alu instid0(VALU_DEP_2) | instskip(NEXT) | instid1(VALU_DEP_2)
	v_add_co_u32 v13, vcc_lo, v13, v45
	v_add_co_ci_u32_e32 v43, vcc_lo, 0, v32, vcc_lo
	s_delay_alu instid0(VALU_DEP_2) | instskip(SKIP_1) | instid1(VALU_DEP_3)
	v_mul_lo_u32 v44, s23, v13
	v_mad_u64_u32 v[32:33], null, s22, v13, 0
	v_mul_lo_u32 v45, s22, v43
	s_delay_alu instid0(VALU_DEP_2) | instskip(NEXT) | instid1(VALU_DEP_2)
	v_sub_co_u32 v32, vcc_lo, v48, v32
	v_add3_u32 v33, v33, v45, v44
	s_delay_alu instid0(VALU_DEP_1) | instskip(NEXT) | instid1(VALU_DEP_1)
	v_sub_nc_u32_e32 v44, v50, v33
	v_subrev_co_ci_u32_e64 v44, s1, s23, v44, vcc_lo
	v_add_co_u32 v45, s1, v13, 2
	s_delay_alu instid0(VALU_DEP_1) | instskip(SKIP_3) | instid1(VALU_DEP_3)
	v_add_co_ci_u32_e64 v46, s1, 0, v43, s1
	v_sub_co_u32 v48, s1, v32, s22
	v_sub_co_ci_u32_e32 v33, vcc_lo, v50, v33, vcc_lo
	v_subrev_co_ci_u32_e64 v44, s1, 0, v44, s1
	v_cmp_le_u32_e32 vcc_lo, s22, v48
	s_delay_alu instid0(VALU_DEP_3) | instskip(SKIP_1) | instid1(VALU_DEP_4)
	v_cmp_eq_u32_e64 s1, s23, v33
	v_cndmask_b32_e64 v48, 0, -1, vcc_lo
	v_cmp_le_u32_e32 vcc_lo, s23, v44
	v_cndmask_b32_e64 v49, 0, -1, vcc_lo
	v_cmp_le_u32_e32 vcc_lo, s22, v32
	;; [unrolled: 2-line block ×3, first 2 shown]
	v_cndmask_b32_e64 v50, 0, -1, vcc_lo
	v_cmp_eq_u32_e32 vcc_lo, s23, v44
	s_delay_alu instid0(VALU_DEP_2) | instskip(SKIP_3) | instid1(VALU_DEP_3)
	v_cndmask_b32_e64 v32, v50, v32, s1
	v_cndmask_b32_e32 v44, v49, v48, vcc_lo
	v_add_co_u32 v48, vcc_lo, v13, 1
	v_add_co_ci_u32_e32 v49, vcc_lo, 0, v43, vcc_lo
	v_cmp_ne_u32_e32 vcc_lo, 0, v44
	s_delay_alu instid0(VALU_DEP_2) | instskip(SKIP_2) | instid1(VALU_DEP_3)
	v_dual_cndmask_b32 v33, v49, v46 :: v_dual_cndmask_b32 v44, v48, v45
	v_cmp_ne_u32_e32 vcc_lo, 0, v32
	v_xor_b32_e32 v45, s18, v47
	v_dual_cndmask_b32 v32, v43, v33 :: v_dual_cndmask_b32 v13, v13, v44
	s_delay_alu instid0(VALU_DEP_1) | instskip(NEXT) | instid1(VALU_DEP_2)
	v_xor_b32_e32 v33, v32, v45
	v_xor_b32_e32 v13, v13, v45
	s_delay_alu instid0(VALU_DEP_1) | instskip(NEXT) | instid1(VALU_DEP_3)
	v_sub_co_u32 v32, vcc_lo, v13, v45
	v_sub_co_ci_u32_e32 v33, vcc_lo, v33, v45, vcc_lo
	s_and_not1_saveexec_b32 s1, s35
	s_cbranch_execz .LBB26_40
.LBB26_42:                              ;   in Loop: Header=BB26_33 Depth=2
	v_cvt_f32_u32_e32 v13, s8
	s_sub_i32 s19, 0, s8
	s_delay_alu instid0(VALU_DEP_1) | instskip(SKIP_2) | instid1(VALU_DEP_1)
	v_rcp_iflag_f32_e32 v13, v13
	s_waitcnt_depctr 0xfff
	v_mul_f32_e32 v13, 0x4f7ffffe, v13
	v_cvt_u32_f32_e32 v13, v13
	s_delay_alu instid0(VALU_DEP_1) | instskip(NEXT) | instid1(VALU_DEP_1)
	v_mul_lo_u32 v32, s19, v13
	v_mul_hi_u32 v32, v13, v32
	s_delay_alu instid0(VALU_DEP_1) | instskip(NEXT) | instid1(VALU_DEP_1)
	v_add_nc_u32_e32 v13, v13, v32
	v_mul_hi_u32 v13, v34, v13
	s_delay_alu instid0(VALU_DEP_1) | instskip(SKIP_1) | instid1(VALU_DEP_2)
	v_mul_lo_u32 v32, v13, s8
	v_add_nc_u32_e32 v33, 1, v13
	v_sub_nc_u32_e32 v32, v34, v32
	s_delay_alu instid0(VALU_DEP_1) | instskip(SKIP_1) | instid1(VALU_DEP_2)
	v_subrev_nc_u32_e32 v43, s8, v32
	v_cmp_le_u32_e32 vcc_lo, s8, v32
	v_dual_cndmask_b32 v32, v32, v43 :: v_dual_cndmask_b32 v13, v13, v33
	s_delay_alu instid0(VALU_DEP_1) | instskip(NEXT) | instid1(VALU_DEP_2)
	v_cmp_le_u32_e32 vcc_lo, s8, v32
	v_add_nc_u32_e32 v33, 1, v13
	s_delay_alu instid0(VALU_DEP_1) | instskip(SKIP_1) | instid1(VALU_DEP_1)
	v_dual_cndmask_b32 v32, v13, v33 :: v_dual_mov_b32 v33, v12
	s_or_b32 exec_lo, exec_lo, s1
	v_cmp_eq_u64_e32 vcc_lo, v[30:31], v[32:33]
	s_and_b32 exec_lo, exec_lo, vcc_lo
	s_cbranch_execz .LBB26_32
.LBB26_43:                              ;   in Loop: Header=BB26_33 Depth=2
	s_and_b32 vcc_lo, exec_lo, s30
	s_cbranch_vccz .LBB26_45
; %bb.44:                               ;   in Loop: Header=BB26_33 Depth=2
	global_load_b32 v13, v[24:25], off
	v_mul_lo_u32 v33, v31, s8
	v_mul_lo_u32 v43, v30, s9
	v_mad_u64_u32 v[31:32], null, v30, s8, 0
	s_delay_alu instid0(VALU_DEP_1) | instskip(NEXT) | instid1(VALU_DEP_2)
	v_add3_u32 v30, v32, v43, v33
	v_sub_co_u32 v31, vcc_lo, v28, v31
	s_delay_alu instid0(VALU_DEP_2) | instskip(NEXT) | instid1(VALU_DEP_2)
	v_sub_co_ci_u32_e32 v30, vcc_lo, v29, v30, vcc_lo
	v_add_co_u32 v32, vcc_lo, v31, v18
	s_delay_alu instid0(VALU_DEP_2) | instskip(NEXT) | instid1(VALU_DEP_2)
	v_add_co_ci_u32_e32 v30, vcc_lo, v30, v19, vcc_lo
	v_mul_lo_u32 v43, s15, v32
	s_delay_alu instid0(VALU_DEP_2) | instskip(SKIP_1) | instid1(VALU_DEP_1)
	v_mul_lo_u32 v33, s14, v30
	v_mad_u64_u32 v[30:31], null, s14, v32, v[26:27]
	v_add3_u32 v31, v43, v31, v33
	s_waitcnt vmcnt(0)
	global_store_b32 v[30:31], v13, off
	s_cbranch_execnz .LBB26_32
	s_branch .LBB26_46
.LBB26_45:                              ;   in Loop: Header=BB26_33 Depth=2
.LBB26_46:                              ;   in Loop: Header=BB26_33 Depth=2
	v_mov_b32_e32 v13, v42
                                        ; implicit-def: $vgpr30_vgpr31
	s_mov_b32 s1, exec_lo
	s_delay_alu instid0(VALU_DEP_1)
	v_cmpx_ne_u64_e32 0, v[12:13]
	s_xor_b32 s35, exec_lo, s1
	s_cbranch_execz .LBB26_48
; %bb.47:                               ;   in Loop: Header=BB26_33 Depth=2
	s_add_u32 s22, s8, s18
	s_mov_b32 s19, s18
	s_addc_u32 s23, s9, s18
	s_delay_alu instid0(SALU_CYCLE_1) | instskip(NEXT) | instid1(SALU_CYCLE_1)
	s_xor_b64 s[22:23], s[22:23], s[18:19]
	v_cvt_f32_u32_e32 v13, s22
	v_cvt_f32_u32_e32 v30, s23
	s_sub_u32 s1, 0, s22
	s_subb_u32 s19, 0, s23
	s_delay_alu instid0(VALU_DEP_1) | instskip(NEXT) | instid1(VALU_DEP_1)
	v_fmac_f32_e32 v13, 0x4f800000, v30
	v_rcp_f32_e32 v13, v13
	s_waitcnt_depctr 0xfff
	v_mul_f32_e32 v13, 0x5f7ffffc, v13
	s_delay_alu instid0(VALU_DEP_1) | instskip(NEXT) | instid1(VALU_DEP_1)
	v_mul_f32_e32 v30, 0x2f800000, v13
	v_trunc_f32_e32 v30, v30
	s_delay_alu instid0(VALU_DEP_1) | instskip(SKIP_1) | instid1(VALU_DEP_2)
	v_fmac_f32_e32 v13, 0xcf800000, v30
	v_cvt_u32_f32_e32 v30, v30
	v_cvt_u32_f32_e32 v13, v13
	s_delay_alu instid0(VALU_DEP_2) | instskip(NEXT) | instid1(VALU_DEP_2)
	v_mul_lo_u32 v31, s1, v30
	v_mul_hi_u32 v32, s1, v13
	v_mul_lo_u32 v33, s19, v13
	s_delay_alu instid0(VALU_DEP_2) | instskip(SKIP_1) | instid1(VALU_DEP_2)
	v_add_nc_u32_e32 v31, v32, v31
	v_mul_lo_u32 v32, s1, v13
	v_add_nc_u32_e32 v31, v31, v33
	s_delay_alu instid0(VALU_DEP_2) | instskip(NEXT) | instid1(VALU_DEP_2)
	v_mul_hi_u32 v33, v13, v32
	v_mul_lo_u32 v42, v13, v31
	v_mul_hi_u32 v43, v13, v31
	v_mul_hi_u32 v44, v30, v32
	v_mul_lo_u32 v32, v30, v32
	v_mul_hi_u32 v45, v30, v31
	v_mul_lo_u32 v31, v30, v31
	v_add_co_u32 v33, vcc_lo, v33, v42
	v_add_co_ci_u32_e32 v42, vcc_lo, 0, v43, vcc_lo
	s_delay_alu instid0(VALU_DEP_2) | instskip(NEXT) | instid1(VALU_DEP_2)
	v_add_co_u32 v32, vcc_lo, v33, v32
	v_add_co_ci_u32_e32 v32, vcc_lo, v42, v44, vcc_lo
	v_add_co_ci_u32_e32 v33, vcc_lo, 0, v45, vcc_lo
	v_ashrrev_i32_e32 v44, 31, v29
	s_delay_alu instid0(VALU_DEP_3) | instskip(NEXT) | instid1(VALU_DEP_3)
	v_add_co_u32 v31, vcc_lo, v32, v31
	v_add_co_ci_u32_e32 v32, vcc_lo, 0, v33, vcc_lo
	s_delay_alu instid0(VALU_DEP_2) | instskip(NEXT) | instid1(VALU_DEP_2)
	v_add_co_u32 v13, vcc_lo, v13, v31
	v_add_co_ci_u32_e32 v30, vcc_lo, v30, v32, vcc_lo
	s_delay_alu instid0(VALU_DEP_2) | instskip(SKIP_1) | instid1(VALU_DEP_3)
	v_mul_hi_u32 v31, s1, v13
	v_mul_lo_u32 v33, s19, v13
	v_mul_lo_u32 v32, s1, v30
	s_delay_alu instid0(VALU_DEP_1) | instskip(SKIP_1) | instid1(VALU_DEP_2)
	v_add_nc_u32_e32 v31, v31, v32
	v_mul_lo_u32 v32, s1, v13
	v_add_nc_u32_e32 v31, v31, v33
	s_delay_alu instid0(VALU_DEP_2) | instskip(NEXT) | instid1(VALU_DEP_2)
	v_mul_hi_u32 v33, v13, v32
	v_mul_lo_u32 v42, v13, v31
	v_mul_hi_u32 v43, v13, v31
	v_mul_hi_u32 v45, v30, v32
	v_mul_lo_u32 v32, v30, v32
	v_mul_hi_u32 v46, v30, v31
	v_mul_lo_u32 v31, v30, v31
	v_add_co_u32 v33, vcc_lo, v33, v42
	v_add_co_ci_u32_e32 v42, vcc_lo, 0, v43, vcc_lo
	s_delay_alu instid0(VALU_DEP_2) | instskip(NEXT) | instid1(VALU_DEP_2)
	v_add_co_u32 v32, vcc_lo, v33, v32
	v_add_co_ci_u32_e32 v32, vcc_lo, v42, v45, vcc_lo
	v_add_co_ci_u32_e32 v33, vcc_lo, 0, v46, vcc_lo
	v_add_co_u32 v28, vcc_lo, v28, v44
	v_add_co_ci_u32_e32 v29, vcc_lo, v29, v44, vcc_lo
	s_delay_alu instid0(VALU_DEP_4) | instskip(NEXT) | instid1(VALU_DEP_4)
	v_add_co_u32 v31, vcc_lo, v32, v31
	v_add_co_ci_u32_e32 v32, vcc_lo, 0, v33, vcc_lo
	s_delay_alu instid0(VALU_DEP_4) | instskip(NEXT) | instid1(VALU_DEP_3)
	v_xor_b32_e32 v42, v28, v44
	v_add_co_u32 v13, vcc_lo, v13, v31
	s_delay_alu instid0(VALU_DEP_3) | instskip(SKIP_1) | instid1(VALU_DEP_3)
	v_add_co_ci_u32_e32 v43, vcc_lo, v30, v32, vcc_lo
	v_xor_b32_e32 v45, v29, v44
	v_mul_hi_u32 v46, v42, v13
	s_delay_alu instid0(VALU_DEP_3) | instskip(NEXT) | instid1(VALU_DEP_3)
	v_mad_u64_u32 v[28:29], null, v42, v43, 0
	v_mad_u64_u32 v[30:31], null, v45, v13, 0
	;; [unrolled: 1-line block ×3, first 2 shown]
	s_delay_alu instid0(VALU_DEP_3) | instskip(NEXT) | instid1(VALU_DEP_4)
	v_add_co_u32 v13, vcc_lo, v46, v28
	v_add_co_ci_u32_e32 v28, vcc_lo, 0, v29, vcc_lo
	s_delay_alu instid0(VALU_DEP_2) | instskip(NEXT) | instid1(VALU_DEP_2)
	v_add_co_u32 v13, vcc_lo, v13, v30
	v_add_co_ci_u32_e32 v13, vcc_lo, v28, v31, vcc_lo
	v_add_co_ci_u32_e32 v28, vcc_lo, 0, v33, vcc_lo
	s_delay_alu instid0(VALU_DEP_2) | instskip(NEXT) | instid1(VALU_DEP_2)
	v_add_co_u32 v13, vcc_lo, v13, v32
	v_add_co_ci_u32_e32 v30, vcc_lo, 0, v28, vcc_lo
	s_delay_alu instid0(VALU_DEP_2) | instskip(SKIP_1) | instid1(VALU_DEP_3)
	v_mul_lo_u32 v31, s23, v13
	v_mad_u64_u32 v[28:29], null, s22, v13, 0
	v_mul_lo_u32 v13, s22, v30
	s_delay_alu instid0(VALU_DEP_2) | instskip(NEXT) | instid1(VALU_DEP_2)
	v_sub_co_u32 v28, vcc_lo, v42, v28
	v_add3_u32 v13, v29, v13, v31
	s_delay_alu instid0(VALU_DEP_1) | instskip(NEXT) | instid1(VALU_DEP_1)
	v_sub_nc_u32_e32 v29, v45, v13
	v_subrev_co_ci_u32_e64 v29, s1, s23, v29, vcc_lo
	v_sub_co_ci_u32_e32 v13, vcc_lo, v45, v13, vcc_lo
	v_sub_co_u32 v30, vcc_lo, v28, s22
	s_delay_alu instid0(VALU_DEP_1) | instskip(SKIP_3) | instid1(VALU_DEP_3)
	v_subrev_co_ci_u32_e64 v31, s1, 0, v29, vcc_lo
	v_cmp_le_u32_e64 s1, s22, v28
	v_subrev_co_ci_u32_e32 v29, vcc_lo, s23, v29, vcc_lo
	v_cmp_le_u32_e32 vcc_lo, s23, v13
	v_cndmask_b32_e64 v32, 0, -1, s1
	v_cmp_le_u32_e64 s1, s22, v30
	v_cndmask_b32_e64 v43, 0, -1, vcc_lo
	v_cmp_eq_u32_e32 vcc_lo, s23, v31
	s_delay_alu instid0(VALU_DEP_3) | instskip(SKIP_1) | instid1(VALU_DEP_1)
	v_cndmask_b32_e64 v33, 0, -1, s1
	v_cmp_le_u32_e64 s1, s23, v31
	v_cndmask_b32_e64 v42, 0, -1, s1
	v_cmp_eq_u32_e64 s1, s23, v13
	s_delay_alu instid0(VALU_DEP_2) | instskip(SKIP_2) | instid1(VALU_DEP_3)
	v_cndmask_b32_e32 v33, v42, v33, vcc_lo
	v_sub_co_u32 v42, vcc_lo, v30, s22
	v_subrev_co_ci_u32_e32 v29, vcc_lo, 0, v29, vcc_lo
	v_cmp_ne_u32_e32 vcc_lo, 0, v33
	v_cndmask_b32_e64 v32, v43, v32, s1
	s_delay_alu instid0(VALU_DEP_3) | instskip(NEXT) | instid1(VALU_DEP_2)
	v_dual_cndmask_b32 v29, v31, v29 :: v_dual_cndmask_b32 v30, v30, v42
	v_cmp_ne_u32_e32 vcc_lo, 0, v32
	s_delay_alu instid0(VALU_DEP_2) | instskip(NEXT) | instid1(VALU_DEP_1)
	v_dual_cndmask_b32 v28, v28, v30 :: v_dual_cndmask_b32 v13, v13, v29
	v_xor_b32_e32 v28, v28, v44
	s_delay_alu instid0(VALU_DEP_2) | instskip(NEXT) | instid1(VALU_DEP_2)
	v_xor_b32_e32 v13, v13, v44
	v_sub_co_u32 v30, vcc_lo, v28, v44
	s_delay_alu instid0(VALU_DEP_2)
	v_sub_co_ci_u32_e32 v31, vcc_lo, v13, v44, vcc_lo
                                        ; implicit-def: $vgpr28_vgpr29
.LBB26_48:                              ;   in Loop: Header=BB26_33 Depth=2
	s_and_not1_saveexec_b32 s1, s35
	s_cbranch_execz .LBB26_31
; %bb.49:                               ;   in Loop: Header=BB26_33 Depth=2
	v_cvt_f32_u32_e32 v13, s8
	s_sub_i32 s19, 0, s8
	v_mov_b32_e32 v31, v12
	s_delay_alu instid0(VALU_DEP_2) | instskip(SKIP_2) | instid1(VALU_DEP_1)
	v_rcp_iflag_f32_e32 v13, v13
	s_waitcnt_depctr 0xfff
	v_mul_f32_e32 v13, 0x4f7ffffe, v13
	v_cvt_u32_f32_e32 v13, v13
	s_delay_alu instid0(VALU_DEP_1) | instskip(NEXT) | instid1(VALU_DEP_1)
	v_mul_lo_u32 v29, s19, v13
	v_mul_hi_u32 v29, v13, v29
	s_delay_alu instid0(VALU_DEP_1) | instskip(NEXT) | instid1(VALU_DEP_1)
	v_add_nc_u32_e32 v13, v13, v29
	v_mul_hi_u32 v13, v28, v13
	s_delay_alu instid0(VALU_DEP_1) | instskip(NEXT) | instid1(VALU_DEP_1)
	v_mul_lo_u32 v13, v13, s8
	v_sub_nc_u32_e32 v13, v28, v13
	s_delay_alu instid0(VALU_DEP_1) | instskip(SKIP_1) | instid1(VALU_DEP_2)
	v_subrev_nc_u32_e32 v28, s8, v13
	v_cmp_le_u32_e32 vcc_lo, s8, v13
	v_cndmask_b32_e32 v13, v13, v28, vcc_lo
	s_delay_alu instid0(VALU_DEP_1) | instskip(SKIP_1) | instid1(VALU_DEP_2)
	v_subrev_nc_u32_e32 v28, s8, v13
	v_cmp_le_u32_e32 vcc_lo, s8, v13
	v_cndmask_b32_e32 v30, v13, v28, vcc_lo
	s_branch .LBB26_31
.LBB26_50:                              ;   in Loop: Header=BB26_10 Depth=1
	s_add_u32 s20, s8, s18
	s_mov_b32 s19, s18
	s_addc_u32 s21, s9, s18
	s_delay_alu instid0(SALU_CYCLE_1) | instskip(NEXT) | instid1(SALU_CYCLE_1)
	s_xor_b64 s[20:21], s[20:21], s[18:19]
	v_cvt_f32_u32_e32 v13, s20
	v_cvt_f32_u32_e32 v20, s21
	s_sub_u32 s1, 0, s20
	s_subb_u32 s19, 0, s21
	s_delay_alu instid0(VALU_DEP_1) | instskip(NEXT) | instid1(VALU_DEP_1)
	v_fmac_f32_e32 v13, 0x4f800000, v20
	v_rcp_f32_e32 v13, v13
	s_waitcnt_depctr 0xfff
	v_mul_f32_e32 v13, 0x5f7ffffc, v13
	s_delay_alu instid0(VALU_DEP_1) | instskip(NEXT) | instid1(VALU_DEP_1)
	v_mul_f32_e32 v20, 0x2f800000, v13
	v_trunc_f32_e32 v20, v20
	s_delay_alu instid0(VALU_DEP_1) | instskip(SKIP_1) | instid1(VALU_DEP_2)
	v_fmac_f32_e32 v13, 0xcf800000, v20
	v_cvt_u32_f32_e32 v20, v20
	v_cvt_u32_f32_e32 v13, v13
	s_delay_alu instid0(VALU_DEP_2) | instskip(NEXT) | instid1(VALU_DEP_2)
	v_mul_lo_u32 v21, s1, v20
	v_mul_hi_u32 v22, s1, v13
	v_mul_lo_u32 v23, s19, v13
	s_delay_alu instid0(VALU_DEP_2) | instskip(SKIP_1) | instid1(VALU_DEP_2)
	v_add_nc_u32_e32 v21, v22, v21
	v_mul_lo_u32 v22, s1, v13
	v_add_nc_u32_e32 v21, v21, v23
	s_delay_alu instid0(VALU_DEP_2) | instskip(NEXT) | instid1(VALU_DEP_2)
	v_mul_hi_u32 v23, v13, v22
	v_mul_lo_u32 v24, v13, v21
	v_mul_hi_u32 v25, v13, v21
	v_mul_hi_u32 v26, v20, v22
	v_mul_lo_u32 v22, v20, v22
	v_mul_hi_u32 v27, v20, v21
	v_mul_lo_u32 v21, v20, v21
	v_add_co_u32 v23, vcc_lo, v23, v24
	v_add_co_ci_u32_e32 v24, vcc_lo, 0, v25, vcc_lo
	s_delay_alu instid0(VALU_DEP_2) | instskip(NEXT) | instid1(VALU_DEP_2)
	v_add_co_u32 v22, vcc_lo, v23, v22
	v_add_co_ci_u32_e32 v22, vcc_lo, v24, v26, vcc_lo
	v_add_co_ci_u32_e32 v23, vcc_lo, 0, v27, vcc_lo
	v_ashrrev_i32_e32 v26, 31, v19
	s_delay_alu instid0(VALU_DEP_3) | instskip(NEXT) | instid1(VALU_DEP_3)
	v_add_co_u32 v21, vcc_lo, v22, v21
	v_add_co_ci_u32_e32 v22, vcc_lo, 0, v23, vcc_lo
	s_delay_alu instid0(VALU_DEP_2) | instskip(NEXT) | instid1(VALU_DEP_2)
	v_add_co_u32 v13, vcc_lo, v13, v21
	v_add_co_ci_u32_e32 v20, vcc_lo, v20, v22, vcc_lo
	s_delay_alu instid0(VALU_DEP_2) | instskip(SKIP_1) | instid1(VALU_DEP_3)
	v_mul_hi_u32 v21, s1, v13
	v_mul_lo_u32 v23, s19, v13
	v_mul_lo_u32 v22, s1, v20
	s_delay_alu instid0(VALU_DEP_1) | instskip(SKIP_1) | instid1(VALU_DEP_2)
	v_add_nc_u32_e32 v21, v21, v22
	v_mul_lo_u32 v22, s1, v13
	v_add_nc_u32_e32 v21, v21, v23
	s_delay_alu instid0(VALU_DEP_2) | instskip(NEXT) | instid1(VALU_DEP_2)
	v_mul_hi_u32 v23, v13, v22
	v_mul_lo_u32 v24, v13, v21
	v_mul_hi_u32 v25, v13, v21
	v_mul_hi_u32 v27, v20, v22
	v_mul_lo_u32 v22, v20, v22
	v_mul_hi_u32 v28, v20, v21
	v_mul_lo_u32 v21, v20, v21
	v_add_co_u32 v23, vcc_lo, v23, v24
	v_add_co_ci_u32_e32 v24, vcc_lo, 0, v25, vcc_lo
	s_delay_alu instid0(VALU_DEP_2) | instskip(NEXT) | instid1(VALU_DEP_2)
	v_add_co_u32 v22, vcc_lo, v23, v22
	v_add_co_ci_u32_e32 v22, vcc_lo, v24, v27, vcc_lo
	v_add_co_ci_u32_e32 v23, vcc_lo, 0, v28, vcc_lo
	v_add_co_u32 v24, vcc_lo, v18, v26
	v_add_co_ci_u32_e32 v25, vcc_lo, v19, v26, vcc_lo
	s_delay_alu instid0(VALU_DEP_4) | instskip(NEXT) | instid1(VALU_DEP_4)
	v_add_co_u32 v21, vcc_lo, v22, v21
	v_add_co_ci_u32_e32 v22, vcc_lo, 0, v23, vcc_lo
	s_delay_alu instid0(VALU_DEP_4) | instskip(NEXT) | instid1(VALU_DEP_3)
	v_xor_b32_e32 v27, v24, v26
	v_add_co_u32 v13, vcc_lo, v13, v21
	s_delay_alu instid0(VALU_DEP_3) | instskip(SKIP_1) | instid1(VALU_DEP_3)
	v_add_co_ci_u32_e32 v28, vcc_lo, v20, v22, vcc_lo
	v_xor_b32_e32 v29, v25, v26
	v_mul_hi_u32 v30, v27, v13
	s_delay_alu instid0(VALU_DEP_3) | instskip(NEXT) | instid1(VALU_DEP_3)
	v_mad_u64_u32 v[20:21], null, v27, v28, 0
	v_mad_u64_u32 v[22:23], null, v29, v13, 0
	;; [unrolled: 1-line block ×3, first 2 shown]
	s_delay_alu instid0(VALU_DEP_3) | instskip(NEXT) | instid1(VALU_DEP_4)
	v_add_co_u32 v13, vcc_lo, v30, v20
	v_add_co_ci_u32_e32 v20, vcc_lo, 0, v21, vcc_lo
	s_delay_alu instid0(VALU_DEP_2) | instskip(NEXT) | instid1(VALU_DEP_2)
	v_add_co_u32 v13, vcc_lo, v13, v22
	v_add_co_ci_u32_e32 v13, vcc_lo, v20, v23, vcc_lo
	v_add_co_ci_u32_e32 v20, vcc_lo, 0, v25, vcc_lo
	s_delay_alu instid0(VALU_DEP_2) | instskip(NEXT) | instid1(VALU_DEP_2)
	v_add_co_u32 v13, vcc_lo, v13, v24
	v_add_co_ci_u32_e32 v22, vcc_lo, 0, v20, vcc_lo
	s_delay_alu instid0(VALU_DEP_2) | instskip(SKIP_1) | instid1(VALU_DEP_3)
	v_mul_lo_u32 v23, s21, v13
	v_mad_u64_u32 v[20:21], null, s20, v13, 0
	v_mul_lo_u32 v24, s20, v22
	s_delay_alu instid0(VALU_DEP_2) | instskip(NEXT) | instid1(VALU_DEP_2)
	v_sub_co_u32 v20, vcc_lo, v27, v20
	v_add3_u32 v21, v21, v24, v23
	s_delay_alu instid0(VALU_DEP_1) | instskip(NEXT) | instid1(VALU_DEP_1)
	v_sub_nc_u32_e32 v23, v29, v21
	v_subrev_co_ci_u32_e64 v23, s1, s21, v23, vcc_lo
	v_add_co_u32 v24, s1, v13, 2
	s_delay_alu instid0(VALU_DEP_1) | instskip(SKIP_3) | instid1(VALU_DEP_3)
	v_add_co_ci_u32_e64 v25, s1, 0, v22, s1
	v_sub_co_u32 v27, s1, v20, s20
	v_sub_co_ci_u32_e32 v21, vcc_lo, v29, v21, vcc_lo
	v_subrev_co_ci_u32_e64 v23, s1, 0, v23, s1
	v_cmp_le_u32_e32 vcc_lo, s20, v27
	s_delay_alu instid0(VALU_DEP_3) | instskip(SKIP_1) | instid1(VALU_DEP_4)
	v_cmp_eq_u32_e64 s1, s21, v21
	v_cndmask_b32_e64 v27, 0, -1, vcc_lo
	v_cmp_le_u32_e32 vcc_lo, s21, v23
	v_cndmask_b32_e64 v28, 0, -1, vcc_lo
	v_cmp_le_u32_e32 vcc_lo, s20, v20
	;; [unrolled: 2-line block ×3, first 2 shown]
	v_cndmask_b32_e64 v29, 0, -1, vcc_lo
	v_cmp_eq_u32_e32 vcc_lo, s21, v23
	s_delay_alu instid0(VALU_DEP_2) | instskip(SKIP_3) | instid1(VALU_DEP_3)
	v_cndmask_b32_e64 v20, v29, v20, s1
	v_cndmask_b32_e32 v23, v28, v27, vcc_lo
	v_add_co_u32 v27, vcc_lo, v13, 1
	v_add_co_ci_u32_e32 v28, vcc_lo, 0, v22, vcc_lo
	v_cmp_ne_u32_e32 vcc_lo, 0, v23
	s_delay_alu instid0(VALU_DEP_2) | instskip(NEXT) | instid1(VALU_DEP_4)
	v_cndmask_b32_e32 v21, v28, v25, vcc_lo
	v_cndmask_b32_e32 v23, v27, v24, vcc_lo
	v_cmp_ne_u32_e32 vcc_lo, 0, v20
	v_xor_b32_e32 v24, s18, v26
	s_delay_alu instid0(VALU_DEP_3) | instskip(NEXT) | instid1(VALU_DEP_1)
	v_dual_cndmask_b32 v13, v13, v23 :: v_dual_cndmask_b32 v20, v22, v21
	v_xor_b32_e32 v13, v13, v24
	s_delay_alu instid0(VALU_DEP_2) | instskip(NEXT) | instid1(VALU_DEP_2)
	v_xor_b32_e32 v21, v20, v24
	v_sub_co_u32 v20, vcc_lo, v13, v24
	s_delay_alu instid0(VALU_DEP_2)
	v_sub_co_ci_u32_e32 v21, vcc_lo, v21, v24, vcc_lo
	s_and_not1_saveexec_b32 s1, s23
	s_cbranch_execz .LBB26_26
.LBB26_51:                              ;   in Loop: Header=BB26_10 Depth=1
	v_cvt_f32_u32_e32 v13, s8
	s_sub_i32 s19, 0, s8
	s_delay_alu instid0(VALU_DEP_1) | instskip(SKIP_2) | instid1(VALU_DEP_1)
	v_rcp_iflag_f32_e32 v13, v13
	s_waitcnt_depctr 0xfff
	v_mul_f32_e32 v13, 0x4f7ffffe, v13
	v_cvt_u32_f32_e32 v13, v13
	s_delay_alu instid0(VALU_DEP_1) | instskip(NEXT) | instid1(VALU_DEP_1)
	v_mul_lo_u32 v20, s19, v13
	v_mul_hi_u32 v20, v13, v20
	s_delay_alu instid0(VALU_DEP_1) | instskip(NEXT) | instid1(VALU_DEP_1)
	v_add_nc_u32_e32 v13, v13, v20
	v_mul_hi_u32 v13, v18, v13
	s_delay_alu instid0(VALU_DEP_1) | instskip(SKIP_1) | instid1(VALU_DEP_2)
	v_mul_lo_u32 v20, v13, s8
	v_add_nc_u32_e32 v21, 1, v13
	v_sub_nc_u32_e32 v20, v18, v20
	s_delay_alu instid0(VALU_DEP_1) | instskip(SKIP_1) | instid1(VALU_DEP_2)
	v_subrev_nc_u32_e32 v22, s8, v20
	v_cmp_le_u32_e32 vcc_lo, s8, v20
	v_dual_cndmask_b32 v20, v20, v22 :: v_dual_cndmask_b32 v13, v13, v21
	s_delay_alu instid0(VALU_DEP_1) | instskip(NEXT) | instid1(VALU_DEP_2)
	v_cmp_le_u32_e32 vcc_lo, s8, v20
	v_add_nc_u32_e32 v21, 1, v13
	s_delay_alu instid0(VALU_DEP_1) | instskip(SKIP_1) | instid1(SALU_CYCLE_1)
	v_dual_cndmask_b32 v20, v13, v21 :: v_dual_mov_b32 v21, v12
	s_or_b32 exec_lo, exec_lo, s1
	s_mov_b32 s1, exec_lo
	s_delay_alu instid0(VALU_DEP_1)
	v_cmpx_ge_i64_e64 v[20:21], v[16:17]
	s_cbranch_execnz .LBB26_27
	s_branch .LBB26_28
.LBB26_52:
	s_nop 0
	s_sendmsg sendmsg(MSG_DEALLOC_VGPRS)
	s_endpgm
	.section	.rodata,"a",@progbits
	.p2align	6, 0x0
	.amdhsa_kernel _ZN9rocsparseL21csr2bsr_65_inf_kernelILj32EiilEEv20rocsparse_direction_T2_S2_S2_S2_S2_S2_21rocsparse_index_base_PKT0_PKT1_PKS2_S3_PS4_PS7_PS2_SD_SE_SC_
		.amdhsa_group_segment_fixed_size 0
		.amdhsa_private_segment_fixed_size 0
		.amdhsa_kernarg_size 144
		.amdhsa_user_sgpr_count 15
		.amdhsa_user_sgpr_dispatch_ptr 0
		.amdhsa_user_sgpr_queue_ptr 0
		.amdhsa_user_sgpr_kernarg_segment_ptr 1
		.amdhsa_user_sgpr_dispatch_id 0
		.amdhsa_user_sgpr_private_segment_size 0
		.amdhsa_wavefront_size32 1
		.amdhsa_uses_dynamic_stack 0
		.amdhsa_enable_private_segment 0
		.amdhsa_system_sgpr_workgroup_id_x 1
		.amdhsa_system_sgpr_workgroup_id_y 0
		.amdhsa_system_sgpr_workgroup_id_z 0
		.amdhsa_system_sgpr_workgroup_info 0
		.amdhsa_system_vgpr_workitem_id 0
		.amdhsa_next_free_vgpr 52
		.amdhsa_next_free_sgpr 37
		.amdhsa_reserve_vcc 1
		.amdhsa_float_round_mode_32 0
		.amdhsa_float_round_mode_16_64 0
		.amdhsa_float_denorm_mode_32 3
		.amdhsa_float_denorm_mode_16_64 3
		.amdhsa_dx10_clamp 1
		.amdhsa_ieee_mode 1
		.amdhsa_fp16_overflow 0
		.amdhsa_workgroup_processor_mode 1
		.amdhsa_memory_ordered 1
		.amdhsa_forward_progress 0
		.amdhsa_shared_vgpr_count 0
		.amdhsa_exception_fp_ieee_invalid_op 0
		.amdhsa_exception_fp_denorm_src 0
		.amdhsa_exception_fp_ieee_div_zero 0
		.amdhsa_exception_fp_ieee_overflow 0
		.amdhsa_exception_fp_ieee_underflow 0
		.amdhsa_exception_fp_ieee_inexact 0
		.amdhsa_exception_int_div_zero 0
	.end_amdhsa_kernel
	.section	.text._ZN9rocsparseL21csr2bsr_65_inf_kernelILj32EiilEEv20rocsparse_direction_T2_S2_S2_S2_S2_S2_21rocsparse_index_base_PKT0_PKT1_PKS2_S3_PS4_PS7_PS2_SD_SE_SC_,"axG",@progbits,_ZN9rocsparseL21csr2bsr_65_inf_kernelILj32EiilEEv20rocsparse_direction_T2_S2_S2_S2_S2_S2_21rocsparse_index_base_PKT0_PKT1_PKS2_S3_PS4_PS7_PS2_SD_SE_SC_,comdat
.Lfunc_end26:
	.size	_ZN9rocsparseL21csr2bsr_65_inf_kernelILj32EiilEEv20rocsparse_direction_T2_S2_S2_S2_S2_S2_21rocsparse_index_base_PKT0_PKT1_PKS2_S3_PS4_PS7_PS2_SD_SE_SC_, .Lfunc_end26-_ZN9rocsparseL21csr2bsr_65_inf_kernelILj32EiilEEv20rocsparse_direction_T2_S2_S2_S2_S2_S2_21rocsparse_index_base_PKT0_PKT1_PKS2_S3_PS4_PS7_PS2_SD_SE_SC_
                                        ; -- End function
	.section	.AMDGPU.csdata,"",@progbits
; Kernel info:
; codeLenInByte = 6356
; NumSgprs: 39
; NumVgprs: 52
; ScratchSize: 0
; MemoryBound: 0
; FloatMode: 240
; IeeeMode: 1
; LDSByteSize: 0 bytes/workgroup (compile time only)
; SGPRBlocks: 4
; VGPRBlocks: 6
; NumSGPRsForWavesPerEU: 39
; NumVGPRsForWavesPerEU: 52
; Occupancy: 16
; WaveLimiterHint : 1
; COMPUTE_PGM_RSRC2:SCRATCH_EN: 0
; COMPUTE_PGM_RSRC2:USER_SGPR: 15
; COMPUTE_PGM_RSRC2:TRAP_HANDLER: 0
; COMPUTE_PGM_RSRC2:TGID_X_EN: 1
; COMPUTE_PGM_RSRC2:TGID_Y_EN: 0
; COMPUTE_PGM_RSRC2:TGID_Z_EN: 0
; COMPUTE_PGM_RSRC2:TIDIG_COMP_CNT: 0
	.section	.text._ZN9rocsparseL35csr2bsr_block_dim_equals_one_kernelILj256EillEEvT2_S1_S1_S1_21rocsparse_index_base_PKT0_PKT1_PKS1_S2_PS3_PS6_PS1_,"axG",@progbits,_ZN9rocsparseL35csr2bsr_block_dim_equals_one_kernelILj256EillEEvT2_S1_S1_S1_21rocsparse_index_base_PKT0_PKT1_PKS1_S2_PS3_PS6_PS1_,comdat
	.globl	_ZN9rocsparseL35csr2bsr_block_dim_equals_one_kernelILj256EillEEvT2_S1_S1_S1_21rocsparse_index_base_PKT0_PKT1_PKS1_S2_PS3_PS6_PS1_ ; -- Begin function _ZN9rocsparseL35csr2bsr_block_dim_equals_one_kernelILj256EillEEvT2_S1_S1_S1_21rocsparse_index_base_PKT0_PKT1_PKS1_S2_PS3_PS6_PS1_
	.p2align	8
	.type	_ZN9rocsparseL35csr2bsr_block_dim_equals_one_kernelILj256EillEEvT2_S1_S1_S1_21rocsparse_index_base_PKT0_PKT1_PKS1_S2_PS3_PS6_PS1_,@function
_ZN9rocsparseL35csr2bsr_block_dim_equals_one_kernelILj256EillEEvT2_S1_S1_S1_21rocsparse_index_base_PKT0_PKT1_PKS1_S2_PS3_PS6_PS1_: ; @_ZN9rocsparseL35csr2bsr_block_dim_equals_one_kernelILj256EillEEvT2_S1_S1_S1_21rocsparse_index_base_PKT0_PKT1_PKS1_S2_PS3_PS6_PS1_
; %bb.0:
	s_clause 0x1
	s_load_b64 s[2:3], s[0:1], 0x0
	s_load_b128 s[4:7], s[0:1], 0x28
	v_lshl_or_b32 v0, s15, 8, v0
	v_mov_b32_e32 v1, 0
	s_waitcnt lgkmcnt(0)
	s_lshl_b64 s[2:3], s[2:3], 3
	s_delay_alu instid0(SALU_CYCLE_1)
	s_add_u32 s2, s6, s2
	s_addc_u32 s3, s7, s3
	s_clause 0x1
	s_load_b64 s[2:3], s[2:3], 0x0
	s_load_b64 s[6:7], s[6:7], 0x0
	s_waitcnt lgkmcnt(0)
	s_sub_u32 s2, s2, s6
	s_subb_u32 s3, s3, s7
	s_mov_b32 s6, exec_lo
	v_cmpx_gt_i64_e64 s[2:3], v[0:1]
	s_cbranch_execz .LBB27_3
; %bb.1:
	s_clause 0x5
	s_load_b32 s12, s[0:1], 0x40
	s_load_b64 s[6:7], s[0:1], 0x48
	s_load_b32 s14, s[0:1], 0x20
	s_load_b32 s15, s[0:1], 0x60
	s_load_b64 s[8:9], s[0:1], 0x38
	s_load_b64 s[10:11], s[0:1], 0x58
	v_lshlrev_b64 v[2:3], 2, v[0:1]
	v_lshlrev_b64 v[4:5], 3, v[0:1]
	s_mov_b32 s13, 0
	s_waitcnt lgkmcnt(0)
	s_sub_u32 s18, s12, s14
	s_subb_u32 s19, 0, 0
	s_lshl_b32 s12, s15, 8
	s_delay_alu instid0(SALU_CYCLE_1)
	s_lshl_b64 s[14:15], s[12:13], 2
	s_lshl_b64 s[16:17], s[12:13], 3
	s_set_inst_prefetch_distance 0x1
	.p2align	6
.LBB27_2:                               ; =>This Inner Loop Header: Depth=1
	v_add_co_u32 v6, vcc_lo, s8, v4
	v_add_co_ci_u32_e32 v7, vcc_lo, s9, v5, vcc_lo
	v_add_co_u32 v8, vcc_lo, s4, v2
	v_add_co_ci_u32_e32 v9, vcc_lo, s5, v3, vcc_lo
	global_load_b64 v[6:7], v[6:7], off
	global_load_b32 v12, v[8:9], off
	v_add_co_u32 v8, vcc_lo, s10, v4
	v_add_co_ci_u32_e32 v9, vcc_lo, s11, v5, vcc_lo
	v_add_co_u32 v10, vcc_lo, s6, v2
	v_add_co_ci_u32_e32 v11, vcc_lo, s7, v3, vcc_lo
	;; [unrolled: 2-line block ×4, first 2 shown]
	s_delay_alu instid0(VALU_DEP_3) | instskip(SKIP_2) | instid1(VALU_DEP_3)
	v_cmp_le_i64_e64 s0, s[2:3], v[0:1]
	v_add_co_u32 v4, vcc_lo, v4, s16
	v_add_co_ci_u32_e32 v5, vcc_lo, s17, v5, vcc_lo
	s_or_b32 s13, s0, s13
	s_waitcnt vmcnt(1)
	v_add_co_u32 v6, s1, s18, v6
	s_delay_alu instid0(VALU_DEP_1)
	v_add_co_ci_u32_e64 v7, s1, s19, v7, s1
	s_waitcnt vmcnt(0)
	global_store_b32 v[10:11], v12, off
	global_store_b64 v[8:9], v[6:7], off
	s_and_not1_b32 exec_lo, exec_lo, s13
	s_cbranch_execnz .LBB27_2
.LBB27_3:
	s_set_inst_prefetch_distance 0x2
	s_nop 0
	s_sendmsg sendmsg(MSG_DEALLOC_VGPRS)
	s_endpgm
	.section	.rodata,"a",@progbits
	.p2align	6, 0x0
	.amdhsa_kernel _ZN9rocsparseL35csr2bsr_block_dim_equals_one_kernelILj256EillEEvT2_S1_S1_S1_21rocsparse_index_base_PKT0_PKT1_PKS1_S2_PS3_PS6_PS1_
		.amdhsa_group_segment_fixed_size 0
		.amdhsa_private_segment_fixed_size 0
		.amdhsa_kernarg_size 352
		.amdhsa_user_sgpr_count 15
		.amdhsa_user_sgpr_dispatch_ptr 0
		.amdhsa_user_sgpr_queue_ptr 0
		.amdhsa_user_sgpr_kernarg_segment_ptr 1
		.amdhsa_user_sgpr_dispatch_id 0
		.amdhsa_user_sgpr_private_segment_size 0
		.amdhsa_wavefront_size32 1
		.amdhsa_uses_dynamic_stack 0
		.amdhsa_enable_private_segment 0
		.amdhsa_system_sgpr_workgroup_id_x 1
		.amdhsa_system_sgpr_workgroup_id_y 0
		.amdhsa_system_sgpr_workgroup_id_z 0
		.amdhsa_system_sgpr_workgroup_info 0
		.amdhsa_system_vgpr_workitem_id 0
		.amdhsa_next_free_vgpr 13
		.amdhsa_next_free_sgpr 20
		.amdhsa_reserve_vcc 1
		.amdhsa_float_round_mode_32 0
		.amdhsa_float_round_mode_16_64 0
		.amdhsa_float_denorm_mode_32 3
		.amdhsa_float_denorm_mode_16_64 3
		.amdhsa_dx10_clamp 1
		.amdhsa_ieee_mode 1
		.amdhsa_fp16_overflow 0
		.amdhsa_workgroup_processor_mode 1
		.amdhsa_memory_ordered 1
		.amdhsa_forward_progress 0
		.amdhsa_shared_vgpr_count 0
		.amdhsa_exception_fp_ieee_invalid_op 0
		.amdhsa_exception_fp_denorm_src 0
		.amdhsa_exception_fp_ieee_div_zero 0
		.amdhsa_exception_fp_ieee_overflow 0
		.amdhsa_exception_fp_ieee_underflow 0
		.amdhsa_exception_fp_ieee_inexact 0
		.amdhsa_exception_int_div_zero 0
	.end_amdhsa_kernel
	.section	.text._ZN9rocsparseL35csr2bsr_block_dim_equals_one_kernelILj256EillEEvT2_S1_S1_S1_21rocsparse_index_base_PKT0_PKT1_PKS1_S2_PS3_PS6_PS1_,"axG",@progbits,_ZN9rocsparseL35csr2bsr_block_dim_equals_one_kernelILj256EillEEvT2_S1_S1_S1_21rocsparse_index_base_PKT0_PKT1_PKS1_S2_PS3_PS6_PS1_,comdat
.Lfunc_end27:
	.size	_ZN9rocsparseL35csr2bsr_block_dim_equals_one_kernelILj256EillEEvT2_S1_S1_S1_21rocsparse_index_base_PKT0_PKT1_PKS1_S2_PS3_PS6_PS1_, .Lfunc_end27-_ZN9rocsparseL35csr2bsr_block_dim_equals_one_kernelILj256EillEEvT2_S1_S1_S1_21rocsparse_index_base_PKT0_PKT1_PKS1_S2_PS3_PS6_PS1_
                                        ; -- End function
	.section	.AMDGPU.csdata,"",@progbits
; Kernel info:
; codeLenInByte = 388
; NumSgprs: 22
; NumVgprs: 13
; ScratchSize: 0
; MemoryBound: 0
; FloatMode: 240
; IeeeMode: 1
; LDSByteSize: 0 bytes/workgroup (compile time only)
; SGPRBlocks: 2
; VGPRBlocks: 1
; NumSGPRsForWavesPerEU: 22
; NumVGPRsForWavesPerEU: 13
; Occupancy: 16
; WaveLimiterHint : 0
; COMPUTE_PGM_RSRC2:SCRATCH_EN: 0
; COMPUTE_PGM_RSRC2:USER_SGPR: 15
; COMPUTE_PGM_RSRC2:TRAP_HANDLER: 0
; COMPUTE_PGM_RSRC2:TGID_X_EN: 1
; COMPUTE_PGM_RSRC2:TGID_Y_EN: 0
; COMPUTE_PGM_RSRC2:TGID_Z_EN: 0
; COMPUTE_PGM_RSRC2:TIDIG_COMP_CNT: 0
	.section	.text._ZN9rocsparseL42csr2bsr_wavefront_per_row_multipass_kernelILj256ELj16ELj4EillEEv20rocsparse_direction_T4_S2_S2_S2_S2_21rocsparse_index_base_PKT2_PKT3_PKS2_S3_PS4_PS7_PS2_,"axG",@progbits,_ZN9rocsparseL42csr2bsr_wavefront_per_row_multipass_kernelILj256ELj16ELj4EillEEv20rocsparse_direction_T4_S2_S2_S2_S2_21rocsparse_index_base_PKT2_PKT3_PKS2_S3_PS4_PS7_PS2_,comdat
	.globl	_ZN9rocsparseL42csr2bsr_wavefront_per_row_multipass_kernelILj256ELj16ELj4EillEEv20rocsparse_direction_T4_S2_S2_S2_S2_21rocsparse_index_base_PKT2_PKT3_PKS2_S3_PS4_PS7_PS2_ ; -- Begin function _ZN9rocsparseL42csr2bsr_wavefront_per_row_multipass_kernelILj256ELj16ELj4EillEEv20rocsparse_direction_T4_S2_S2_S2_S2_21rocsparse_index_base_PKT2_PKT3_PKS2_S3_PS4_PS7_PS2_
	.p2align	8
	.type	_ZN9rocsparseL42csr2bsr_wavefront_per_row_multipass_kernelILj256ELj16ELj4EillEEv20rocsparse_direction_T4_S2_S2_S2_S2_21rocsparse_index_base_PKT2_PKT3_PKS2_S3_PS4_PS7_PS2_,@function
_ZN9rocsparseL42csr2bsr_wavefront_per_row_multipass_kernelILj256ELj16ELj4EillEEv20rocsparse_direction_T4_S2_S2_S2_S2_21rocsparse_index_base_PKT2_PKT3_PKS2_S3_PS4_PS7_PS2_: ; @_ZN9rocsparseL42csr2bsr_wavefront_per_row_multipass_kernelILj256ELj16ELj4EillEEv20rocsparse_direction_T4_S2_S2_S2_S2_21rocsparse_index_base_PKT2_PKT3_PKS2_S3_PS4_PS7_PS2_
; %bb.0:
	s_load_b64 s[8:9], s[0:1], 0x28
	v_lshrrev_b32_e32 v24, 4, v0
	s_mov_b32 s10, s15
	s_ashr_i32 s11, s15, 31
	s_clause 0x1
	s_load_b64 s[14:15], s[0:1], 0x8
	s_load_b128 s[4:7], s[0:1], 0x18
	s_lshl_b64 s[2:3], s[10:11], 4
	v_mov_b32_e32 v9, 0
	v_or_b32_e32 v1, s2, v24
	v_bfe_u32 v8, v0, 2, 2
	s_clause 0x1
	s_load_b32 s16, s[0:1], 0x30
	s_load_b64 s[12:13], s[0:1], 0x40
	s_waitcnt lgkmcnt(0)
	v_mul_lo_u32 v2, v1, s9
	v_mad_u64_u32 v[3:4], null, v1, s8, v[8:9]
	s_mul_i32 s2, s3, s8
	s_delay_alu instid0(VALU_DEP_1) | instid1(SALU_CYCLE_1)
	v_add3_u32 v4, s2, v4, v2
	v_mov_b32_e32 v1, 0
	v_mov_b32_e32 v2, 0
	v_cmp_gt_i64_e64 s2, s[8:9], v[8:9]
	s_delay_alu instid0(VALU_DEP_4) | instskip(NEXT) | instid1(VALU_DEP_3)
	v_cmp_gt_i64_e32 vcc_lo, s[14:15], v[3:4]
	v_dual_mov_b32 v14, v2 :: v_dual_mov_b32 v13, v1
	s_delay_alu instid0(VALU_DEP_3) | instskip(NEXT) | instid1(SALU_CYCLE_1)
	s_and_b32 s3, s2, vcc_lo
	s_and_saveexec_b32 s11, s3
	s_cbranch_execz .LBB28_2
; %bb.1:
	v_lshlrev_b64 v[5:6], 3, v[3:4]
	s_delay_alu instid0(VALU_DEP_1) | instskip(NEXT) | instid1(VALU_DEP_2)
	v_add_co_u32 v5, vcc_lo, s12, v5
	v_add_co_ci_u32_e32 v6, vcc_lo, s13, v6, vcc_lo
	global_load_b64 v[5:6], v[5:6], off
	s_waitcnt vmcnt(0)
	v_sub_co_u32 v13, vcc_lo, v5, s16
	v_subrev_co_ci_u32_e32 v14, vcc_lo, 0, v6, vcc_lo
.LBB28_2:
	s_or_b32 exec_lo, exec_lo, s11
	s_and_saveexec_b32 s11, s3
	s_cbranch_execz .LBB28_4
; %bb.3:
	v_lshlrev_b64 v[1:2], 3, v[3:4]
	s_delay_alu instid0(VALU_DEP_1) | instskip(NEXT) | instid1(VALU_DEP_2)
	v_add_co_u32 v1, vcc_lo, s12, v1
	v_add_co_ci_u32_e32 v2, vcc_lo, s13, v2, vcc_lo
	global_load_b64 v[1:2], v[1:2], off offset:8
	s_waitcnt vmcnt(0)
	v_sub_co_u32 v1, vcc_lo, v1, s16
	v_subrev_co_ci_u32_e32 v2, vcc_lo, 0, v2, vcc_lo
.LBB28_4:
	s_or_b32 exec_lo, exec_lo, s11
	s_load_b32 s17, s[0:1], 0x50
	v_dual_mov_b32 v6, 0 :: v_dual_mov_b32 v3, 0
	v_lshl_or_b32 v5, s10, 4, v24
	v_mov_b32_e32 v4, 0
	s_mov_b32 s3, exec_lo
	s_delay_alu instid0(VALU_DEP_2)
	v_cmpx_gt_i64_e64 s[4:5], v[5:6]
	s_cbranch_execz .LBB28_6
; %bb.5:
	s_load_b64 s[4:5], s[0:1], 0x60
	v_lshlrev_b64 v[3:4], 3, v[5:6]
	s_waitcnt lgkmcnt(0)
	s_delay_alu instid0(VALU_DEP_1) | instskip(NEXT) | instid1(VALU_DEP_2)
	v_add_co_u32 v3, vcc_lo, s4, v3
	v_add_co_ci_u32_e32 v4, vcc_lo, s5, v4, vcc_lo
	global_load_b64 v[3:4], v[3:4], off
	s_waitcnt vmcnt(0)
	v_sub_co_u32 v3, vcc_lo, v3, s17
	v_subrev_co_ci_u32_e32 v4, vcc_lo, 0, v4, vcc_lo
.LBB28_6:
	s_or_b32 exec_lo, exec_lo, s3
	v_cmp_lt_i64_e64 s3, s[6:7], 1
	s_delay_alu instid0(VALU_DEP_1)
	s_and_b32 vcc_lo, exec_lo, s3
	s_cbranch_vccnz .LBB28_25
; %bb.7:
	v_mbcnt_lo_u32_b32 v18, -1, 0
	s_clause 0x4
	s_load_b64 s[4:5], s[0:1], 0x68
	s_load_b64 s[14:15], s[0:1], 0x58
	;; [unrolled: 1-line block ×4, first 2 shown]
	s_load_b32 s0, s[0:1], 0x0
	s_mov_b32 s1, 0
	s_mul_i32 s20, s8, s8
	v_xor_b32_e32 v15, 2, v18
	v_xor_b32_e32 v19, 1, v18
	v_mov_b32_e32 v33, 1
	s_delay_alu instid0(VALU_DEP_3) | instskip(SKIP_1) | instid1(VALU_DEP_1)
	v_cmp_gt_i32_e32 vcc_lo, 32, v15
	v_and_b32_e32 v5, 3, v0
	v_mad_u64_u32 v[9:10], null, v5, s8, 0
	s_delay_alu instid0(VALU_DEP_1) | instskip(NEXT) | instid1(VALU_DEP_1)
	v_dual_mov_b32 v6, v10 :: v_dual_lshlrev_b32 v17, 2, v8
	v_and_or_b32 v0, 0x3f0, v0, v17
	v_dual_cndmask_b32 v10, v18, v15 :: v_dual_mov_b32 v7, 0
	v_cmp_gt_i32_e32 vcc_lo, 32, v19
	s_delay_alu instid0(VALU_DEP_3) | instskip(NEXT) | instid1(VALU_DEP_3)
	v_or_b32_e32 v11, v0, v5
	v_lshlrev_b32_e32 v26, 2, v10
	s_delay_alu instid0(VALU_DEP_4) | instskip(NEXT) | instid1(VALU_DEP_3)
	v_mad_u64_u32 v[15:16], null, v5, s9, v[6:7]
	v_dual_mov_b32 v6, v7 :: v_dual_lshlrev_b32 v25, 2, v11
	v_mad_u64_u32 v[11:12], null, v8, s8, 0
	v_cndmask_b32_e32 v19, v18, v19, vcc_lo
	s_delay_alu instid0(VALU_DEP_3) | instskip(SKIP_1) | instid1(VALU_DEP_4)
	v_cmp_gt_i64_e32 vcc_lo, s[8:9], v[5:6]
	v_mov_b32_e32 v10, v15
	v_mad_u64_u32 v[15:16], null, v8, s9, v[12:13]
	s_delay_alu instid0(VALU_DEP_2)
	v_lshlrev_b64 v[8:9], 2, v[9:10]
	s_and_b32 s18, s2, vcc_lo
	s_waitcnt lgkmcnt(0)
	s_cmp_eq_u32 s0, 0
	s_mul_i32 s0, s8, s9
	s_mul_hi_u32 s2, s8, s8
	s_delay_alu instid0(VALU_DEP_2) | instskip(SKIP_2) | instid1(VALU_DEP_3)
	v_mov_b32_e32 v12, v15
	v_add_co_u32 v10, vcc_lo, s14, v8
	v_add_co_ci_u32_e32 v15, vcc_lo, s15, v9, vcc_lo
	v_lshlrev_b64 v[8:9], 2, v[11:12]
	s_delay_alu instid0(VALU_DEP_3) | instskip(NEXT) | instid1(VALU_DEP_3)
	v_add_co_u32 v10, vcc_lo, v10, v17
	v_add_co_ci_u32_e32 v11, vcc_lo, 0, v15, vcc_lo
	v_lshlrev_b32_e32 v12, 2, v5
	s_delay_alu instid0(VALU_DEP_4) | instskip(SKIP_2) | instid1(VALU_DEP_3)
	v_add_co_u32 v8, vcc_lo, s14, v8
	v_add_co_ci_u32_e32 v9, vcc_lo, s15, v9, vcc_lo
	v_xor_b32_e32 v15, 8, v18
	v_add_co_u32 v8, vcc_lo, v8, v12
	s_delay_alu instid0(VALU_DEP_3) | instskip(SKIP_1) | instid1(VALU_DEP_4)
	v_add_co_ci_u32_e32 v9, vcc_lo, 0, v9, vcc_lo
	v_xor_b32_e32 v17, 4, v18
	v_cmp_gt_i32_e32 vcc_lo, 32, v15
	v_cndmask_b32_e32 v12, v18, v15, vcc_lo
	s_delay_alu instid0(VALU_DEP_3) | instskip(SKIP_1) | instid1(VALU_DEP_3)
	v_cmp_gt_i32_e32 vcc_lo, 32, v17
	v_lshlrev_b32_e32 v6, 2, v19
	v_dual_cndmask_b32 v15, v18, v17 :: v_dual_lshlrev_b32 v28, 2, v12
	s_cselect_b32 vcc_lo, -1, 0
	v_dual_cndmask_b32 v31, v11, v9 :: v_dual_lshlrev_b32 v16, 2, v18
	v_dual_cndmask_b32 v32, v10, v8 :: v_dual_mov_b32 v9, 0
	s_delay_alu instid0(VALU_DEP_3) | instskip(NEXT) | instid1(VALU_DEP_3)
	v_lshlrev_b32_e32 v29, 2, v15
	v_or_b32_e32 v27, 12, v16
	v_or_b32_e32 v30, 60, v16
	v_mov_b32_e32 v10, 0
	s_add_i32 s2, s2, s0
	s_sub_i32 s21, 0, s8
	s_add_i32 s19, s2, s0
	s_ashr_i32 s2, s9, 31
	s_branch .LBB28_10
.LBB28_8:                               ;   in Loop: Header=BB28_10 Depth=1
	s_or_b32 exec_lo, exec_lo, s3
	v_mov_b32_e32 v15, 1
	v_mov_b32_e32 v16, 0
.LBB28_9:                               ;   in Loop: Header=BB28_10 Depth=1
	s_or_b32 exec_lo, exec_lo, s0
	ds_bpermute_b32 v8, v28, v11
	ds_bpermute_b32 v9, v28, v12
	v_add_co_u32 v3, s0, v15, v3
	s_delay_alu instid0(VALU_DEP_1)
	v_add_co_ci_u32_e64 v4, s0, v16, v4, s0
	s_waitcnt lgkmcnt(0)
	s_waitcnt_vscnt null, 0x0
	buffer_gl0_inv
	buffer_gl0_inv
	v_cmp_lt_i64_e32 vcc_lo, v[8:9], v[11:12]
	v_dual_cndmask_b32 v9, v12, v9 :: v_dual_cndmask_b32 v8, v11, v8
	ds_bpermute_b32 v11, v29, v9
	ds_bpermute_b32 v10, v29, v8
	s_waitcnt lgkmcnt(0)
	v_cmp_lt_i64_e32 vcc_lo, v[10:11], v[8:9]
	v_dual_cndmask_b32 v9, v9, v11 :: v_dual_cndmask_b32 v8, v8, v10
	ds_bpermute_b32 v11, v26, v9
	ds_bpermute_b32 v10, v26, v8
	s_waitcnt lgkmcnt(0)
	;; [unrolled: 5-line block ×4, first 2 shown]
	v_cmp_le_i64_e32 vcc_lo, s[6:7], v[9:10]
	s_or_b32 s1, vcc_lo, s1
	s_delay_alu instid0(SALU_CYCLE_1)
	s_and_not1_b32 exec_lo, exec_lo, s1
	s_cbranch_execz .LBB28_25
.LBB28_10:                              ; =>This Loop Header: Depth=1
                                        ;     Child Loop BB28_13 Depth 2
	v_add_co_u32 v13, vcc_lo, v13, v5
	v_add_co_ci_u32_e32 v14, vcc_lo, 0, v14, vcc_lo
	v_dual_mov_b32 v12, s7 :: v_dual_mov_b32 v11, s6
	v_dual_mov_b32 v23, v2 :: v_dual_mov_b32 v22, v1
	s_mov_b32 s22, exec_lo
	ds_store_b8 v24, v7 offset:1024
	ds_store_b32 v25, v7
	s_waitcnt lgkmcnt(0)
	buffer_gl0_inv
	v_cmpx_lt_i64_e64 v[13:14], v[1:2]
	s_cbranch_execz .LBB28_22
; %bb.11:                               ;   in Loop: Header=BB28_10 Depth=1
	v_lshlrev_b64 v[11:12], 2, v[13:14]
	v_lshlrev_b64 v[18:19], 3, v[13:14]
	v_mad_u64_u32 v[15:16], null, v9, s8, 0
	v_dual_mov_b32 v21, v2 :: v_dual_mov_b32 v20, v1
	s_delay_alu instid0(VALU_DEP_4)
	v_add_co_u32 v16, vcc_lo, s12, v11
	v_add_co_ci_u32_e32 v17, vcc_lo, s13, v12, vcc_lo
	v_add_co_u32 v18, vcc_lo, s10, v18
	v_add_co_ci_u32_e32 v19, vcc_lo, s11, v19, vcc_lo
	v_dual_mov_b32 v12, s7 :: v_dual_mov_b32 v11, s6
	s_mov_b32 s23, 0
	s_branch .LBB28_13
.LBB28_12:                              ;   in Loop: Header=BB28_13 Depth=2
	s_or_b32 exec_lo, exec_lo, s0
	v_add_co_u32 v13, s0, v13, 4
	s_delay_alu instid0(VALU_DEP_1) | instskip(SKIP_2) | instid1(VALU_DEP_2)
	v_add_co_ci_u32_e64 v14, s0, 0, v14, s0
	s_xor_b32 s3, vcc_lo, -1
	v_add_co_u32 v16, vcc_lo, v16, 16
	v_cmp_ge_i64_e64 s0, v[13:14], v[1:2]
	v_add_co_ci_u32_e32 v17, vcc_lo, 0, v17, vcc_lo
	v_add_co_u32 v18, vcc_lo, v18, 32
	v_add_co_ci_u32_e32 v19, vcc_lo, 0, v19, vcc_lo
	s_delay_alu instid0(VALU_DEP_4) | instskip(SKIP_2) | instid1(SALU_CYCLE_1)
	s_or_b32 s0, s3, s0
	v_dual_mov_b32 v20, v22 :: v_dual_mov_b32 v21, v23
	s_and_b32 s0, exec_lo, s0
	s_or_b32 s23, s0, s23
	s_delay_alu instid0(SALU_CYCLE_1)
	s_and_not1_b32 exec_lo, exec_lo, s23
	s_cbranch_execz .LBB28_21
.LBB28_13:                              ;   Parent Loop BB28_10 Depth=1
                                        ; =>  This Inner Loop Header: Depth=2
	global_load_b64 v[22:23], v[18:19], off
	s_mov_b32 s0, exec_lo
	s_waitcnt vmcnt(0)
	v_sub_co_u32 v34, vcc_lo, v22, s16
	v_subrev_co_ci_u32_e32 v35, vcc_lo, 0, v23, vcc_lo
                                        ; implicit-def: $vgpr22_vgpr23
	s_delay_alu instid0(VALU_DEP_1) | instskip(NEXT) | instid1(VALU_DEP_1)
	v_or_b32_e32 v8, s9, v35
	v_cmpx_ne_u64_e32 0, v[7:8]
	s_xor_b32 s24, exec_lo, s0
	s_cbranch_execz .LBB28_15
; %bb.14:                               ;   in Loop: Header=BB28_13 Depth=2
	s_add_u32 s14, s8, s2
	s_mov_b32 s3, s2
	s_addc_u32 s15, s9, s2
	s_delay_alu instid0(SALU_CYCLE_1) | instskip(NEXT) | instid1(SALU_CYCLE_1)
	s_xor_b64 s[14:15], s[14:15], s[2:3]
	v_cvt_f32_u32_e32 v8, s14
	v_cvt_f32_u32_e32 v22, s15
	s_sub_u32 s0, 0, s14
	s_subb_u32 s3, 0, s15
	s_delay_alu instid0(VALU_DEP_1) | instskip(NEXT) | instid1(VALU_DEP_1)
	v_fmac_f32_e32 v8, 0x4f800000, v22
	v_rcp_f32_e32 v8, v8
	s_waitcnt_depctr 0xfff
	v_mul_f32_e32 v8, 0x5f7ffffc, v8
	s_delay_alu instid0(VALU_DEP_1) | instskip(NEXT) | instid1(VALU_DEP_1)
	v_mul_f32_e32 v22, 0x2f800000, v8
	v_trunc_f32_e32 v22, v22
	s_delay_alu instid0(VALU_DEP_1) | instskip(SKIP_1) | instid1(VALU_DEP_2)
	v_fmac_f32_e32 v8, 0xcf800000, v22
	v_cvt_u32_f32_e32 v22, v22
	v_cvt_u32_f32_e32 v8, v8
	s_delay_alu instid0(VALU_DEP_2) | instskip(NEXT) | instid1(VALU_DEP_2)
	v_mul_lo_u32 v23, s0, v22
	v_mul_hi_u32 v36, s0, v8
	v_mul_lo_u32 v37, s3, v8
	s_delay_alu instid0(VALU_DEP_2) | instskip(SKIP_1) | instid1(VALU_DEP_2)
	v_add_nc_u32_e32 v23, v36, v23
	v_mul_lo_u32 v36, s0, v8
	v_add_nc_u32_e32 v23, v23, v37
	s_delay_alu instid0(VALU_DEP_2) | instskip(NEXT) | instid1(VALU_DEP_2)
	v_mul_hi_u32 v37, v8, v36
	v_mul_lo_u32 v38, v8, v23
	v_mul_hi_u32 v39, v8, v23
	v_mul_hi_u32 v40, v22, v36
	v_mul_lo_u32 v36, v22, v36
	v_mul_hi_u32 v41, v22, v23
	v_mul_lo_u32 v23, v22, v23
	v_add_co_u32 v37, vcc_lo, v37, v38
	v_add_co_ci_u32_e32 v38, vcc_lo, 0, v39, vcc_lo
	s_delay_alu instid0(VALU_DEP_2) | instskip(NEXT) | instid1(VALU_DEP_2)
	v_add_co_u32 v36, vcc_lo, v37, v36
	v_add_co_ci_u32_e32 v36, vcc_lo, v38, v40, vcc_lo
	v_add_co_ci_u32_e32 v37, vcc_lo, 0, v41, vcc_lo
	v_ashrrev_i32_e32 v40, 31, v35
	s_delay_alu instid0(VALU_DEP_3) | instskip(NEXT) | instid1(VALU_DEP_3)
	v_add_co_u32 v23, vcc_lo, v36, v23
	v_add_co_ci_u32_e32 v36, vcc_lo, 0, v37, vcc_lo
	s_delay_alu instid0(VALU_DEP_2) | instskip(NEXT) | instid1(VALU_DEP_2)
	v_add_co_u32 v8, vcc_lo, v8, v23
	v_add_co_ci_u32_e32 v22, vcc_lo, v22, v36, vcc_lo
	s_delay_alu instid0(VALU_DEP_2) | instskip(SKIP_1) | instid1(VALU_DEP_3)
	v_mul_hi_u32 v23, s0, v8
	v_mul_lo_u32 v37, s3, v8
	v_mul_lo_u32 v36, s0, v22
	s_delay_alu instid0(VALU_DEP_1) | instskip(SKIP_1) | instid1(VALU_DEP_2)
	v_add_nc_u32_e32 v23, v23, v36
	v_mul_lo_u32 v36, s0, v8
	v_add_nc_u32_e32 v23, v23, v37
	s_delay_alu instid0(VALU_DEP_2) | instskip(NEXT) | instid1(VALU_DEP_2)
	v_mul_hi_u32 v37, v8, v36
	v_mul_lo_u32 v38, v8, v23
	v_mul_hi_u32 v39, v8, v23
	v_mul_hi_u32 v41, v22, v36
	v_mul_lo_u32 v36, v22, v36
	v_mul_hi_u32 v42, v22, v23
	v_mul_lo_u32 v23, v22, v23
	v_add_co_u32 v37, vcc_lo, v37, v38
	v_add_co_ci_u32_e32 v38, vcc_lo, 0, v39, vcc_lo
	s_delay_alu instid0(VALU_DEP_2) | instskip(NEXT) | instid1(VALU_DEP_2)
	v_add_co_u32 v36, vcc_lo, v37, v36
	v_add_co_ci_u32_e32 v36, vcc_lo, v38, v41, vcc_lo
	v_add_co_ci_u32_e32 v37, vcc_lo, 0, v42, vcc_lo
	v_add_co_u32 v38, vcc_lo, v34, v40
	v_add_co_ci_u32_e32 v35, vcc_lo, v35, v40, vcc_lo
	s_delay_alu instid0(VALU_DEP_4) | instskip(NEXT) | instid1(VALU_DEP_4)
	v_add_co_u32 v23, vcc_lo, v36, v23
	v_add_co_ci_u32_e32 v36, vcc_lo, 0, v37, vcc_lo
	s_delay_alu instid0(VALU_DEP_4) | instskip(NEXT) | instid1(VALU_DEP_3)
	v_xor_b32_e32 v39, v38, v40
	v_add_co_u32 v8, vcc_lo, v8, v23
	s_delay_alu instid0(VALU_DEP_3) | instskip(SKIP_1) | instid1(VALU_DEP_3)
	v_add_co_ci_u32_e32 v41, vcc_lo, v22, v36, vcc_lo
	v_xor_b32_e32 v42, v35, v40
	v_mul_hi_u32 v43, v39, v8
	s_delay_alu instid0(VALU_DEP_3) | instskip(NEXT) | instid1(VALU_DEP_3)
	v_mad_u64_u32 v[22:23], null, v39, v41, 0
	v_mad_u64_u32 v[35:36], null, v42, v8, 0
	;; [unrolled: 1-line block ×3, first 2 shown]
	s_delay_alu instid0(VALU_DEP_3) | instskip(NEXT) | instid1(VALU_DEP_4)
	v_add_co_u32 v8, vcc_lo, v43, v22
	v_add_co_ci_u32_e32 v22, vcc_lo, 0, v23, vcc_lo
	s_delay_alu instid0(VALU_DEP_2) | instskip(NEXT) | instid1(VALU_DEP_2)
	v_add_co_u32 v8, vcc_lo, v8, v35
	v_add_co_ci_u32_e32 v8, vcc_lo, v22, v36, vcc_lo
	v_add_co_ci_u32_e32 v22, vcc_lo, 0, v38, vcc_lo
	s_delay_alu instid0(VALU_DEP_2) | instskip(NEXT) | instid1(VALU_DEP_2)
	v_add_co_u32 v8, vcc_lo, v8, v37
	v_add_co_ci_u32_e32 v35, vcc_lo, 0, v22, vcc_lo
	s_delay_alu instid0(VALU_DEP_2) | instskip(SKIP_1) | instid1(VALU_DEP_3)
	v_mul_lo_u32 v36, s15, v8
	v_mad_u64_u32 v[22:23], null, s14, v8, 0
	v_mul_lo_u32 v37, s14, v35
	s_delay_alu instid0(VALU_DEP_2) | instskip(NEXT) | instid1(VALU_DEP_2)
	v_sub_co_u32 v22, vcc_lo, v39, v22
	v_add3_u32 v23, v23, v37, v36
	s_delay_alu instid0(VALU_DEP_1) | instskip(NEXT) | instid1(VALU_DEP_1)
	v_sub_nc_u32_e32 v36, v42, v23
	v_subrev_co_ci_u32_e64 v36, s0, s15, v36, vcc_lo
	v_add_co_u32 v37, s0, v8, 2
	s_delay_alu instid0(VALU_DEP_1) | instskip(SKIP_3) | instid1(VALU_DEP_3)
	v_add_co_ci_u32_e64 v38, s0, 0, v35, s0
	v_sub_co_u32 v39, s0, v22, s14
	v_sub_co_ci_u32_e32 v23, vcc_lo, v42, v23, vcc_lo
	v_subrev_co_ci_u32_e64 v36, s0, 0, v36, s0
	v_cmp_le_u32_e32 vcc_lo, s14, v39
	s_delay_alu instid0(VALU_DEP_3) | instskip(SKIP_1) | instid1(VALU_DEP_4)
	v_cmp_eq_u32_e64 s0, s15, v23
	v_cndmask_b32_e64 v39, 0, -1, vcc_lo
	v_cmp_le_u32_e32 vcc_lo, s15, v36
	v_cndmask_b32_e64 v41, 0, -1, vcc_lo
	v_cmp_le_u32_e32 vcc_lo, s14, v22
	;; [unrolled: 2-line block ×3, first 2 shown]
	v_cndmask_b32_e64 v42, 0, -1, vcc_lo
	v_cmp_eq_u32_e32 vcc_lo, s15, v36
	s_delay_alu instid0(VALU_DEP_2) | instskip(SKIP_3) | instid1(VALU_DEP_3)
	v_cndmask_b32_e64 v22, v42, v22, s0
	v_cndmask_b32_e32 v36, v41, v39, vcc_lo
	v_add_co_u32 v39, vcc_lo, v8, 1
	v_add_co_ci_u32_e32 v41, vcc_lo, 0, v35, vcc_lo
	v_cmp_ne_u32_e32 vcc_lo, 0, v36
	s_delay_alu instid0(VALU_DEP_2) | instskip(SKIP_2) | instid1(VALU_DEP_3)
	v_dual_cndmask_b32 v23, v41, v38 :: v_dual_cndmask_b32 v36, v39, v37
	v_cmp_ne_u32_e32 vcc_lo, 0, v22
	v_xor_b32_e32 v37, s2, v40
	v_cndmask_b32_e32 v8, v8, v36, vcc_lo
	s_delay_alu instid0(VALU_DEP_4) | instskip(NEXT) | instid1(VALU_DEP_2)
	v_cndmask_b32_e32 v22, v35, v23, vcc_lo
	v_xor_b32_e32 v8, v8, v37
	s_delay_alu instid0(VALU_DEP_2) | instskip(NEXT) | instid1(VALU_DEP_2)
	v_xor_b32_e32 v23, v22, v37
	v_sub_co_u32 v22, vcc_lo, v8, v37
	s_delay_alu instid0(VALU_DEP_2)
	v_sub_co_ci_u32_e32 v23, vcc_lo, v23, v37, vcc_lo
.LBB28_15:                              ;   in Loop: Header=BB28_13 Depth=2
	s_and_not1_saveexec_b32 s0, s24
	s_cbranch_execz .LBB28_17
; %bb.16:                               ;   in Loop: Header=BB28_13 Depth=2
	v_cvt_f32_u32_e32 v8, s8
	s_delay_alu instid0(VALU_DEP_1) | instskip(SKIP_2) | instid1(VALU_DEP_1)
	v_rcp_iflag_f32_e32 v8, v8
	s_waitcnt_depctr 0xfff
	v_mul_f32_e32 v8, 0x4f7ffffe, v8
	v_cvt_u32_f32_e32 v8, v8
	s_delay_alu instid0(VALU_DEP_1) | instskip(NEXT) | instid1(VALU_DEP_1)
	v_mul_lo_u32 v22, s21, v8
	v_mul_hi_u32 v22, v8, v22
	s_delay_alu instid0(VALU_DEP_1) | instskip(NEXT) | instid1(VALU_DEP_1)
	v_add_nc_u32_e32 v8, v8, v22
	v_mul_hi_u32 v8, v34, v8
	s_delay_alu instid0(VALU_DEP_1) | instskip(NEXT) | instid1(VALU_DEP_1)
	v_mul_lo_u32 v22, v8, s8
	v_sub_nc_u32_e32 v22, v34, v22
	s_delay_alu instid0(VALU_DEP_1) | instskip(SKIP_1) | instid1(VALU_DEP_2)
	v_subrev_nc_u32_e32 v35, s8, v22
	v_cmp_le_u32_e32 vcc_lo, s8, v22
	v_dual_cndmask_b32 v22, v22, v35 :: v_dual_add_nc_u32 v23, 1, v8
	s_delay_alu instid0(VALU_DEP_1) | instskip(NEXT) | instid1(VALU_DEP_2)
	v_cndmask_b32_e32 v8, v8, v23, vcc_lo
	v_cmp_le_u32_e32 vcc_lo, s8, v22
	s_delay_alu instid0(VALU_DEP_2) | instskip(NEXT) | instid1(VALU_DEP_1)
	v_add_nc_u32_e32 v23, 1, v8
	v_dual_cndmask_b32 v22, v8, v23 :: v_dual_mov_b32 v23, v7
.LBB28_17:                              ;   in Loop: Header=BB28_13 Depth=2
	s_or_b32 exec_lo, exec_lo, s0
	s_delay_alu instid0(VALU_DEP_1)
	v_cmp_eq_u64_e32 vcc_lo, v[22:23], v[9:10]
	s_mov_b32 s3, exec_lo
	v_cmpx_ne_u64_e64 v[22:23], v[9:10]
	s_xor_b32 s3, exec_lo, s3
; %bb.18:                               ;   in Loop: Header=BB28_13 Depth=2
	v_cmp_lt_i64_e64 s0, v[22:23], v[11:12]
                                        ; implicit-def: $vgpr34
                                        ; implicit-def: $vgpr20_vgpr21
	s_delay_alu instid0(VALU_DEP_1)
	v_cndmask_b32_e64 v12, v12, v23, s0
	v_cndmask_b32_e64 v11, v11, v22, s0
; %bb.19:                               ;   in Loop: Header=BB28_13 Depth=2
	s_or_saveexec_b32 s0, s3
	v_dual_mov_b32 v23, v14 :: v_dual_mov_b32 v22, v13
	s_xor_b32 exec_lo, exec_lo, s0
	s_cbranch_execz .LBB28_12
; %bb.20:                               ;   in Loop: Header=BB28_13 Depth=2
	global_load_b32 v8, v[16:17], off
	v_sub_nc_u32_e32 v22, v34, v15
	s_delay_alu instid0(VALU_DEP_1)
	v_add_lshl_u32 v34, v0, v22, 2
	v_dual_mov_b32 v23, v21 :: v_dual_mov_b32 v22, v20
	ds_store_b8 v24, v33 offset:1024
	s_waitcnt vmcnt(0)
	ds_store_b32 v34, v8
	s_branch .LBB28_12
.LBB28_21:                              ;   in Loop: Header=BB28_10 Depth=1
	s_or_b32 exec_lo, exec_lo, s23
.LBB28_22:                              ;   in Loop: Header=BB28_10 Depth=1
	s_delay_alu instid0(SALU_CYCLE_1)
	s_or_b32 exec_lo, exec_lo, s22
	ds_bpermute_b32 v13, v26, v22
	ds_bpermute_b32 v14, v26, v23
	s_waitcnt lgkmcnt(0)
	buffer_gl0_inv
	ds_load_u8 v8, v24 offset:1024
	s_mov_b32 s0, exec_lo
	v_cmp_lt_i64_e32 vcc_lo, v[13:14], v[22:23]
	s_waitcnt lgkmcnt(0)
	v_and_b32_e32 v8, 1, v8
	v_dual_cndmask_b32 v14, v23, v14 :: v_dual_cndmask_b32 v13, v22, v13
	ds_bpermute_b32 v16, v6, v14
	ds_bpermute_b32 v15, v6, v13
	s_waitcnt lgkmcnt(0)
	v_cmp_lt_i64_e32 vcc_lo, v[15:16], v[13:14]
	v_dual_cndmask_b32 v14, v14, v16 :: v_dual_cndmask_b32 v13, v13, v15
	v_mov_b32_e32 v15, 0
	v_mov_b32_e32 v16, 0
	ds_bpermute_b32 v14, v27, v14
	ds_bpermute_b32 v13, v27, v13
	v_cmpx_eq_u32_e32 1, v8
	s_cbranch_execz .LBB28_9
; %bb.23:                               ;   in Loop: Header=BB28_10 Depth=1
	v_lshlrev_b64 v[15:16], 3, v[3:4]
	v_add_co_u32 v8, vcc_lo, v9, s17
	v_add_co_ci_u32_e32 v9, vcc_lo, 0, v10, vcc_lo
	s_delay_alu instid0(VALU_DEP_3) | instskip(NEXT) | instid1(VALU_DEP_4)
	v_add_co_u32 v15, vcc_lo, s4, v15
	v_add_co_ci_u32_e32 v16, vcc_lo, s5, v16, vcc_lo
	global_store_b64 v[15:16], v[8:9], off
	s_and_saveexec_b32 s3, s18
	s_cbranch_execz .LBB28_8
; %bb.24:                               ;   in Loop: Header=BB28_10 Depth=1
	v_mul_lo_u32 v10, s19, v3
	v_mul_lo_u32 v15, s20, v4
	v_mad_u64_u32 v[8:9], null, s20, v3, 0
	ds_load_b32 v16, v25
	v_add3_u32 v9, v9, v15, v10
	s_delay_alu instid0(VALU_DEP_1) | instskip(NEXT) | instid1(VALU_DEP_1)
	v_lshlrev_b64 v[8:9], 2, v[8:9]
	v_add_co_u32 v8, vcc_lo, v32, v8
	s_delay_alu instid0(VALU_DEP_2)
	v_add_co_ci_u32_e32 v9, vcc_lo, v31, v9, vcc_lo
	s_waitcnt lgkmcnt(0)
	global_store_b32 v[8:9], v16, off
	s_branch .LBB28_8
.LBB28_25:
	s_endpgm
	.section	.rodata,"a",@progbits
	.p2align	6, 0x0
	.amdhsa_kernel _ZN9rocsparseL42csr2bsr_wavefront_per_row_multipass_kernelILj256ELj16ELj4EillEEv20rocsparse_direction_T4_S2_S2_S2_S2_21rocsparse_index_base_PKT2_PKT3_PKS2_S3_PS4_PS7_PS2_
		.amdhsa_group_segment_fixed_size 1040
		.amdhsa_private_segment_fixed_size 0
		.amdhsa_kernarg_size 112
		.amdhsa_user_sgpr_count 15
		.amdhsa_user_sgpr_dispatch_ptr 0
		.amdhsa_user_sgpr_queue_ptr 0
		.amdhsa_user_sgpr_kernarg_segment_ptr 1
		.amdhsa_user_sgpr_dispatch_id 0
		.amdhsa_user_sgpr_private_segment_size 0
		.amdhsa_wavefront_size32 1
		.amdhsa_uses_dynamic_stack 0
		.amdhsa_enable_private_segment 0
		.amdhsa_system_sgpr_workgroup_id_x 1
		.amdhsa_system_sgpr_workgroup_id_y 0
		.amdhsa_system_sgpr_workgroup_id_z 0
		.amdhsa_system_sgpr_workgroup_info 0
		.amdhsa_system_vgpr_workitem_id 0
		.amdhsa_next_free_vgpr 44
		.amdhsa_next_free_sgpr 25
		.amdhsa_reserve_vcc 1
		.amdhsa_float_round_mode_32 0
		.amdhsa_float_round_mode_16_64 0
		.amdhsa_float_denorm_mode_32 3
		.amdhsa_float_denorm_mode_16_64 3
		.amdhsa_dx10_clamp 1
		.amdhsa_ieee_mode 1
		.amdhsa_fp16_overflow 0
		.amdhsa_workgroup_processor_mode 1
		.amdhsa_memory_ordered 1
		.amdhsa_forward_progress 0
		.amdhsa_shared_vgpr_count 0
		.amdhsa_exception_fp_ieee_invalid_op 0
		.amdhsa_exception_fp_denorm_src 0
		.amdhsa_exception_fp_ieee_div_zero 0
		.amdhsa_exception_fp_ieee_overflow 0
		.amdhsa_exception_fp_ieee_underflow 0
		.amdhsa_exception_fp_ieee_inexact 0
		.amdhsa_exception_int_div_zero 0
	.end_amdhsa_kernel
	.section	.text._ZN9rocsparseL42csr2bsr_wavefront_per_row_multipass_kernelILj256ELj16ELj4EillEEv20rocsparse_direction_T4_S2_S2_S2_S2_21rocsparse_index_base_PKT2_PKT3_PKS2_S3_PS4_PS7_PS2_,"axG",@progbits,_ZN9rocsparseL42csr2bsr_wavefront_per_row_multipass_kernelILj256ELj16ELj4EillEEv20rocsparse_direction_T4_S2_S2_S2_S2_21rocsparse_index_base_PKT2_PKT3_PKS2_S3_PS4_PS7_PS2_,comdat
.Lfunc_end28:
	.size	_ZN9rocsparseL42csr2bsr_wavefront_per_row_multipass_kernelILj256ELj16ELj4EillEEv20rocsparse_direction_T4_S2_S2_S2_S2_21rocsparse_index_base_PKT2_PKT3_PKS2_S3_PS4_PS7_PS2_, .Lfunc_end28-_ZN9rocsparseL42csr2bsr_wavefront_per_row_multipass_kernelILj256ELj16ELj4EillEEv20rocsparse_direction_T4_S2_S2_S2_S2_21rocsparse_index_base_PKT2_PKT3_PKS2_S3_PS4_PS7_PS2_
                                        ; -- End function
	.section	.AMDGPU.csdata,"",@progbits
; Kernel info:
; codeLenInByte = 2688
; NumSgprs: 27
; NumVgprs: 44
; ScratchSize: 0
; MemoryBound: 0
; FloatMode: 240
; IeeeMode: 1
; LDSByteSize: 1040 bytes/workgroup (compile time only)
; SGPRBlocks: 3
; VGPRBlocks: 5
; NumSGPRsForWavesPerEU: 27
; NumVGPRsForWavesPerEU: 44
; Occupancy: 16
; WaveLimiterHint : 0
; COMPUTE_PGM_RSRC2:SCRATCH_EN: 0
; COMPUTE_PGM_RSRC2:USER_SGPR: 15
; COMPUTE_PGM_RSRC2:TRAP_HANDLER: 0
; COMPUTE_PGM_RSRC2:TGID_X_EN: 1
; COMPUTE_PGM_RSRC2:TGID_Y_EN: 0
; COMPUTE_PGM_RSRC2:TGID_Z_EN: 0
; COMPUTE_PGM_RSRC2:TIDIG_COMP_CNT: 0
	.section	.text._ZN9rocsparseL42csr2bsr_wavefront_per_row_multipass_kernelILj256ELj64ELj8EillEEv20rocsparse_direction_T4_S2_S2_S2_S2_21rocsparse_index_base_PKT2_PKT3_PKS2_S3_PS4_PS7_PS2_,"axG",@progbits,_ZN9rocsparseL42csr2bsr_wavefront_per_row_multipass_kernelILj256ELj64ELj8EillEEv20rocsparse_direction_T4_S2_S2_S2_S2_21rocsparse_index_base_PKT2_PKT3_PKS2_S3_PS4_PS7_PS2_,comdat
	.globl	_ZN9rocsparseL42csr2bsr_wavefront_per_row_multipass_kernelILj256ELj64ELj8EillEEv20rocsparse_direction_T4_S2_S2_S2_S2_21rocsparse_index_base_PKT2_PKT3_PKS2_S3_PS4_PS7_PS2_ ; -- Begin function _ZN9rocsparseL42csr2bsr_wavefront_per_row_multipass_kernelILj256ELj64ELj8EillEEv20rocsparse_direction_T4_S2_S2_S2_S2_21rocsparse_index_base_PKT2_PKT3_PKS2_S3_PS4_PS7_PS2_
	.p2align	8
	.type	_ZN9rocsparseL42csr2bsr_wavefront_per_row_multipass_kernelILj256ELj64ELj8EillEEv20rocsparse_direction_T4_S2_S2_S2_S2_21rocsparse_index_base_PKT2_PKT3_PKS2_S3_PS4_PS7_PS2_,@function
_ZN9rocsparseL42csr2bsr_wavefront_per_row_multipass_kernelILj256ELj64ELj8EillEEv20rocsparse_direction_T4_S2_S2_S2_S2_21rocsparse_index_base_PKT2_PKT3_PKS2_S3_PS4_PS7_PS2_: ; @_ZN9rocsparseL42csr2bsr_wavefront_per_row_multipass_kernelILj256ELj64ELj8EillEEv20rocsparse_direction_T4_S2_S2_S2_S2_21rocsparse_index_base_PKT2_PKT3_PKS2_S3_PS4_PS7_PS2_
; %bb.0:
	s_load_b64 s[8:9], s[0:1], 0x28
	v_lshrrev_b32_e32 v24, 6, v0
	s_mov_b32 s10, s15
	s_ashr_i32 s11, s15, 31
	s_clause 0x1
	s_load_b64 s[14:15], s[0:1], 0x8
	s_load_b128 s[4:7], s[0:1], 0x18
	s_lshl_b64 s[2:3], s[10:11], 2
	v_mov_b32_e32 v9, 0
	v_or_b32_e32 v1, s2, v24
	v_bfe_u32 v8, v0, 3, 3
	s_clause 0x1
	s_load_b32 s16, s[0:1], 0x30
	s_load_b64 s[12:13], s[0:1], 0x40
	s_waitcnt lgkmcnt(0)
	v_mul_lo_u32 v2, v1, s9
	v_mad_u64_u32 v[3:4], null, v1, s8, v[8:9]
	s_mul_i32 s2, s3, s8
	s_delay_alu instid0(VALU_DEP_1) | instid1(SALU_CYCLE_1)
	v_add3_u32 v4, s2, v4, v2
	v_mov_b32_e32 v1, 0
	v_mov_b32_e32 v2, 0
	v_cmp_gt_i64_e64 s2, s[8:9], v[8:9]
	s_delay_alu instid0(VALU_DEP_4) | instskip(NEXT) | instid1(VALU_DEP_3)
	v_cmp_gt_i64_e32 vcc_lo, s[14:15], v[3:4]
	v_dual_mov_b32 v14, v2 :: v_dual_mov_b32 v13, v1
	s_delay_alu instid0(VALU_DEP_3) | instskip(NEXT) | instid1(SALU_CYCLE_1)
	s_and_b32 s3, s2, vcc_lo
	s_and_saveexec_b32 s11, s3
	s_cbranch_execz .LBB29_2
; %bb.1:
	v_lshlrev_b64 v[5:6], 3, v[3:4]
	s_delay_alu instid0(VALU_DEP_1) | instskip(NEXT) | instid1(VALU_DEP_2)
	v_add_co_u32 v5, vcc_lo, s12, v5
	v_add_co_ci_u32_e32 v6, vcc_lo, s13, v6, vcc_lo
	global_load_b64 v[5:6], v[5:6], off
	s_waitcnt vmcnt(0)
	v_sub_co_u32 v13, vcc_lo, v5, s16
	v_subrev_co_ci_u32_e32 v14, vcc_lo, 0, v6, vcc_lo
.LBB29_2:
	s_or_b32 exec_lo, exec_lo, s11
	s_and_saveexec_b32 s11, s3
	s_cbranch_execz .LBB29_4
; %bb.3:
	v_lshlrev_b64 v[1:2], 3, v[3:4]
	s_delay_alu instid0(VALU_DEP_1) | instskip(NEXT) | instid1(VALU_DEP_2)
	v_add_co_u32 v1, vcc_lo, s12, v1
	v_add_co_ci_u32_e32 v2, vcc_lo, s13, v2, vcc_lo
	global_load_b64 v[1:2], v[1:2], off offset:8
	s_waitcnt vmcnt(0)
	v_sub_co_u32 v1, vcc_lo, v1, s16
	v_subrev_co_ci_u32_e32 v2, vcc_lo, 0, v2, vcc_lo
.LBB29_4:
	s_or_b32 exec_lo, exec_lo, s11
	s_load_b32 s17, s[0:1], 0x50
	v_dual_mov_b32 v6, 0 :: v_dual_mov_b32 v3, 0
	v_lshl_or_b32 v5, s10, 2, v24
	v_mov_b32_e32 v4, 0
	s_mov_b32 s3, exec_lo
	s_delay_alu instid0(VALU_DEP_2)
	v_cmpx_gt_i64_e64 s[4:5], v[5:6]
	s_cbranch_execz .LBB29_6
; %bb.5:
	s_load_b64 s[4:5], s[0:1], 0x60
	v_lshlrev_b64 v[3:4], 3, v[5:6]
	s_waitcnt lgkmcnt(0)
	s_delay_alu instid0(VALU_DEP_1) | instskip(NEXT) | instid1(VALU_DEP_2)
	v_add_co_u32 v3, vcc_lo, s4, v3
	v_add_co_ci_u32_e32 v4, vcc_lo, s5, v4, vcc_lo
	global_load_b64 v[3:4], v[3:4], off
	s_waitcnt vmcnt(0)
	v_sub_co_u32 v3, vcc_lo, v3, s17
	v_subrev_co_ci_u32_e32 v4, vcc_lo, 0, v4, vcc_lo
.LBB29_6:
	s_or_b32 exec_lo, exec_lo, s3
	v_cmp_lt_i64_e64 s3, s[6:7], 1
	s_delay_alu instid0(VALU_DEP_1)
	s_and_b32 vcc_lo, exec_lo, s3
	s_cbranch_vccnz .LBB29_25
; %bb.7:
	v_dual_mov_b32 v7, 0 :: v_dual_and_b32 v6, 0x3c0, v0
	v_mbcnt_lo_u32_b32 v18, -1, 0
	v_and_b32_e32 v5, 7, v0
	v_mad_u64_u32 v[11:12], null, v8, s8, 0
	s_delay_alu instid0(VALU_DEP_4) | instskip(NEXT) | instid1(VALU_DEP_4)
	v_lshl_or_b32 v0, v8, 3, v6
	v_xor_b32_e32 v15, 4, v18
	v_xor_b32_e32 v20, 2, v18
	s_clause 0x4
	s_load_b64 s[4:5], s[0:1], 0x68
	s_load_b64 s[14:15], s[0:1], 0x58
	;; [unrolled: 1-line block ×4, first 2 shown]
	s_load_b32 s0, s[0:1], 0x0
	v_or_b32_e32 v6, v0, v5
	v_cmp_gt_i32_e32 vcc_lo, 32, v15
	v_lshl_or_b32 v28, v18, 2, 28
	v_bfrev_b32_e32 v32, 0.5
	s_mov_b32 s1, 0
	s_mul_i32 s20, s8, s8
	v_cndmask_b32_e32 v19, v18, v15, vcc_lo
	v_cmp_gt_i32_e32 vcc_lo, 32, v20
	v_dual_mov_b32 v6, v7 :: v_dual_lshlrev_b32 v25, 2, v6
	v_mad_u64_u32 v[9:10], null, v5, s8, 0
	v_mov_b32_e32 v35, 1
	s_delay_alu instid0(VALU_DEP_2) | instskip(SKIP_4) | instid1(VALU_DEP_4)
	v_mad_u64_u32 v[15:16], null, v5, s9, v[10:11]
	v_xor_b32_e32 v10, 1, v18
	v_mad_u64_u32 v[16:17], null, v8, s9, v[12:13]
	v_cndmask_b32_e32 v12, v18, v20, vcc_lo
	v_lshlrev_b32_e32 v8, 2, v8
	v_cmp_gt_i32_e32 vcc_lo, 32, v10
	s_delay_alu instid0(VALU_DEP_3) | instskip(SKIP_3) | instid1(VALU_DEP_4)
	v_dual_cndmask_b32 v17, v18, v10 :: v_dual_lshlrev_b32 v26, 2, v12
	v_mov_b32_e32 v10, v15
	v_cmp_gt_i64_e32 vcc_lo, s[8:9], v[5:6]
	v_lshlrev_b32_e32 v6, 2, v19
	v_dual_mov_b32 v12, v16 :: v_dual_lshlrev_b32 v27, 2, v17
	s_delay_alu instid0(VALU_DEP_4) | instskip(SKIP_2) | instid1(VALU_DEP_3)
	v_lshlrev_b64 v[9:10], 2, v[9:10]
	v_xor_b32_e32 v16, 8, v18
	s_and_b32 s18, s2, vcc_lo
	v_lshlrev_b64 v[11:12], 2, v[11:12]
	s_waitcnt lgkmcnt(0)
	s_cmp_eq_u32 s0, 0
	s_mul_i32 s2, s8, s9
	v_add_co_u32 v9, vcc_lo, s14, v9
	v_add_co_ci_u32_e32 v10, vcc_lo, s15, v10, vcc_lo
	v_add_co_u32 v11, vcc_lo, s14, v11
	v_add_co_ci_u32_e32 v12, vcc_lo, s15, v12, vcc_lo
	s_delay_alu instid0(VALU_DEP_4) | instskip(SKIP_3) | instid1(VALU_DEP_2)
	v_add_co_u32 v8, vcc_lo, v9, v8
	v_lshlrev_b32_e32 v15, 2, v5
	v_add_co_ci_u32_e32 v9, vcc_lo, 0, v10, vcc_lo
	s_mul_hi_u32 s0, s8, s8
	v_add_co_u32 v10, vcc_lo, v11, v15
	v_add_co_ci_u32_e32 v11, vcc_lo, 0, v12, vcc_lo
	v_or_b32_e32 v12, 32, v18
	s_cselect_b32 vcc_lo, -1, 0
	v_xor_b32_e32 v15, 16, v18
	v_cndmask_b32_e32 v34, v8, v10, vcc_lo
	s_add_i32 s3, s0, s2
	v_cmp_gt_i32_e64 s0, 32, v12
	v_cndmask_b32_e32 v33, v9, v11, vcc_lo
	v_mov_b32_e32 v9, 0
	v_mov_b32_e32 v10, 0
	s_add_i32 s19, s3, s2
	v_cndmask_b32_e64 v12, v18, v12, s0
	v_cmp_gt_i32_e64 s0, 32, v15
	s_ashr_i32 s2, s9, 31
	s_sub_i32 s21, 0, s8
	s_delay_alu instid0(VALU_DEP_2) | instskip(NEXT) | instid1(VALU_DEP_2)
	v_lshlrev_b32_e32 v29, 2, v12
	v_cndmask_b32_e64 v15, v18, v15, s0
	v_cmp_gt_i32_e64 s0, 32, v16
	s_delay_alu instid0(VALU_DEP_2) | instskip(NEXT) | instid1(VALU_DEP_2)
	v_lshlrev_b32_e32 v30, 2, v15
	v_cndmask_b32_e64 v16, v18, v16, s0
	s_delay_alu instid0(VALU_DEP_1)
	v_lshlrev_b32_e32 v31, 2, v16
	s_branch .LBB29_10
.LBB29_8:                               ;   in Loop: Header=BB29_10 Depth=1
	s_or_b32 exec_lo, exec_lo, s3
	v_mov_b32_e32 v15, 1
	v_mov_b32_e32 v16, 0
.LBB29_9:                               ;   in Loop: Header=BB29_10 Depth=1
	s_or_b32 exec_lo, exec_lo, s0
	ds_bpermute_b32 v8, v29, v11
	ds_bpermute_b32 v9, v29, v12
	v_add_co_u32 v3, s0, v15, v3
	s_delay_alu instid0(VALU_DEP_1)
	v_add_co_ci_u32_e64 v4, s0, v16, v4, s0
	s_waitcnt lgkmcnt(0)
	s_waitcnt_vscnt null, 0x0
	buffer_gl0_inv
	buffer_gl0_inv
	v_cmp_lt_i64_e32 vcc_lo, v[8:9], v[11:12]
	v_dual_cndmask_b32 v9, v12, v9 :: v_dual_cndmask_b32 v8, v11, v8
	ds_bpermute_b32 v11, v30, v9
	ds_bpermute_b32 v10, v30, v8
	s_waitcnt lgkmcnt(0)
	v_cmp_lt_i64_e32 vcc_lo, v[10:11], v[8:9]
	v_dual_cndmask_b32 v9, v9, v11 :: v_dual_cndmask_b32 v8, v8, v10
	ds_bpermute_b32 v11, v31, v9
	ds_bpermute_b32 v10, v31, v8
	s_waitcnt lgkmcnt(0)
	;; [unrolled: 5-line block ×6, first 2 shown]
	v_cmp_le_i64_e32 vcc_lo, s[6:7], v[9:10]
	s_or_b32 s1, vcc_lo, s1
	s_delay_alu instid0(SALU_CYCLE_1)
	s_and_not1_b32 exec_lo, exec_lo, s1
	s_cbranch_execz .LBB29_25
.LBB29_10:                              ; =>This Loop Header: Depth=1
                                        ;     Child Loop BB29_13 Depth 2
	v_add_co_u32 v13, vcc_lo, v13, v5
	v_add_co_ci_u32_e32 v14, vcc_lo, 0, v14, vcc_lo
	v_dual_mov_b32 v12, s7 :: v_dual_mov_b32 v11, s6
	v_dual_mov_b32 v23, v2 :: v_dual_mov_b32 v22, v1
	s_mov_b32 s22, exec_lo
	ds_store_b8 v24, v7 offset:1024
	ds_store_b32 v25, v7
	s_waitcnt lgkmcnt(0)
	buffer_gl0_inv
	v_cmpx_lt_i64_e64 v[13:14], v[1:2]
	s_cbranch_execz .LBB29_22
; %bb.11:                               ;   in Loop: Header=BB29_10 Depth=1
	v_lshlrev_b64 v[11:12], 2, v[13:14]
	v_lshlrev_b64 v[18:19], 3, v[13:14]
	v_mad_u64_u32 v[15:16], null, v9, s8, 0
	v_dual_mov_b32 v21, v2 :: v_dual_mov_b32 v20, v1
	s_delay_alu instid0(VALU_DEP_4)
	v_add_co_u32 v16, vcc_lo, s12, v11
	v_add_co_ci_u32_e32 v17, vcc_lo, s13, v12, vcc_lo
	v_add_co_u32 v18, vcc_lo, s10, v18
	v_add_co_ci_u32_e32 v19, vcc_lo, s11, v19, vcc_lo
	v_dual_mov_b32 v12, s7 :: v_dual_mov_b32 v11, s6
	s_mov_b32 s23, 0
	s_branch .LBB29_13
.LBB29_12:                              ;   in Loop: Header=BB29_13 Depth=2
	s_or_b32 exec_lo, exec_lo, s0
	v_add_co_u32 v13, s0, v13, 8
	s_delay_alu instid0(VALU_DEP_1) | instskip(SKIP_2) | instid1(VALU_DEP_2)
	v_add_co_ci_u32_e64 v14, s0, 0, v14, s0
	s_xor_b32 s3, vcc_lo, -1
	v_add_co_u32 v16, vcc_lo, v16, 32
	v_cmp_ge_i64_e64 s0, v[13:14], v[1:2]
	v_add_co_ci_u32_e32 v17, vcc_lo, 0, v17, vcc_lo
	v_add_co_u32 v18, vcc_lo, v18, 64
	v_add_co_ci_u32_e32 v19, vcc_lo, 0, v19, vcc_lo
	s_delay_alu instid0(VALU_DEP_4) | instskip(SKIP_2) | instid1(SALU_CYCLE_1)
	s_or_b32 s0, s3, s0
	v_dual_mov_b32 v20, v22 :: v_dual_mov_b32 v21, v23
	s_and_b32 s0, exec_lo, s0
	s_or_b32 s23, s0, s23
	s_delay_alu instid0(SALU_CYCLE_1)
	s_and_not1_b32 exec_lo, exec_lo, s23
	s_cbranch_execz .LBB29_21
.LBB29_13:                              ;   Parent Loop BB29_10 Depth=1
                                        ; =>  This Inner Loop Header: Depth=2
	global_load_b64 v[22:23], v[18:19], off
	s_mov_b32 s0, exec_lo
	s_waitcnt vmcnt(0)
	v_sub_co_u32 v36, vcc_lo, v22, s16
	v_subrev_co_ci_u32_e32 v37, vcc_lo, 0, v23, vcc_lo
                                        ; implicit-def: $vgpr22_vgpr23
	s_delay_alu instid0(VALU_DEP_1) | instskip(NEXT) | instid1(VALU_DEP_1)
	v_or_b32_e32 v8, s9, v37
	v_cmpx_ne_u64_e32 0, v[7:8]
	s_xor_b32 s24, exec_lo, s0
	s_cbranch_execz .LBB29_15
; %bb.14:                               ;   in Loop: Header=BB29_13 Depth=2
	s_add_u32 s14, s8, s2
	s_mov_b32 s3, s2
	s_addc_u32 s15, s9, s2
	s_delay_alu instid0(SALU_CYCLE_1) | instskip(NEXT) | instid1(SALU_CYCLE_1)
	s_xor_b64 s[14:15], s[14:15], s[2:3]
	v_cvt_f32_u32_e32 v8, s14
	v_cvt_f32_u32_e32 v22, s15
	s_sub_u32 s0, 0, s14
	s_subb_u32 s3, 0, s15
	s_delay_alu instid0(VALU_DEP_1) | instskip(NEXT) | instid1(VALU_DEP_1)
	v_fmac_f32_e32 v8, 0x4f800000, v22
	v_rcp_f32_e32 v8, v8
	s_waitcnt_depctr 0xfff
	v_mul_f32_e32 v8, 0x5f7ffffc, v8
	s_delay_alu instid0(VALU_DEP_1) | instskip(NEXT) | instid1(VALU_DEP_1)
	v_mul_f32_e32 v22, 0x2f800000, v8
	v_trunc_f32_e32 v22, v22
	s_delay_alu instid0(VALU_DEP_1) | instskip(SKIP_1) | instid1(VALU_DEP_2)
	v_fmac_f32_e32 v8, 0xcf800000, v22
	v_cvt_u32_f32_e32 v22, v22
	v_cvt_u32_f32_e32 v8, v8
	s_delay_alu instid0(VALU_DEP_2) | instskip(NEXT) | instid1(VALU_DEP_2)
	v_mul_lo_u32 v23, s0, v22
	v_mul_hi_u32 v38, s0, v8
	v_mul_lo_u32 v39, s3, v8
	s_delay_alu instid0(VALU_DEP_2) | instskip(SKIP_1) | instid1(VALU_DEP_2)
	v_add_nc_u32_e32 v23, v38, v23
	v_mul_lo_u32 v38, s0, v8
	v_add_nc_u32_e32 v23, v23, v39
	s_delay_alu instid0(VALU_DEP_2) | instskip(NEXT) | instid1(VALU_DEP_2)
	v_mul_hi_u32 v39, v8, v38
	v_mul_lo_u32 v40, v8, v23
	v_mul_hi_u32 v41, v8, v23
	v_mul_hi_u32 v42, v22, v38
	v_mul_lo_u32 v38, v22, v38
	v_mul_hi_u32 v43, v22, v23
	v_mul_lo_u32 v23, v22, v23
	v_add_co_u32 v39, vcc_lo, v39, v40
	v_add_co_ci_u32_e32 v40, vcc_lo, 0, v41, vcc_lo
	s_delay_alu instid0(VALU_DEP_2) | instskip(NEXT) | instid1(VALU_DEP_2)
	v_add_co_u32 v38, vcc_lo, v39, v38
	v_add_co_ci_u32_e32 v38, vcc_lo, v40, v42, vcc_lo
	v_add_co_ci_u32_e32 v39, vcc_lo, 0, v43, vcc_lo
	v_ashrrev_i32_e32 v42, 31, v37
	s_delay_alu instid0(VALU_DEP_3) | instskip(NEXT) | instid1(VALU_DEP_3)
	v_add_co_u32 v23, vcc_lo, v38, v23
	v_add_co_ci_u32_e32 v38, vcc_lo, 0, v39, vcc_lo
	s_delay_alu instid0(VALU_DEP_2) | instskip(NEXT) | instid1(VALU_DEP_2)
	v_add_co_u32 v8, vcc_lo, v8, v23
	v_add_co_ci_u32_e32 v22, vcc_lo, v22, v38, vcc_lo
	s_delay_alu instid0(VALU_DEP_2) | instskip(SKIP_1) | instid1(VALU_DEP_3)
	v_mul_hi_u32 v23, s0, v8
	v_mul_lo_u32 v39, s3, v8
	v_mul_lo_u32 v38, s0, v22
	s_delay_alu instid0(VALU_DEP_1) | instskip(SKIP_1) | instid1(VALU_DEP_2)
	v_add_nc_u32_e32 v23, v23, v38
	v_mul_lo_u32 v38, s0, v8
	v_add_nc_u32_e32 v23, v23, v39
	s_delay_alu instid0(VALU_DEP_2) | instskip(NEXT) | instid1(VALU_DEP_2)
	v_mul_hi_u32 v39, v8, v38
	v_mul_lo_u32 v40, v8, v23
	v_mul_hi_u32 v41, v8, v23
	v_mul_hi_u32 v43, v22, v38
	v_mul_lo_u32 v38, v22, v38
	v_mul_hi_u32 v44, v22, v23
	v_mul_lo_u32 v23, v22, v23
	v_add_co_u32 v39, vcc_lo, v39, v40
	v_add_co_ci_u32_e32 v40, vcc_lo, 0, v41, vcc_lo
	s_delay_alu instid0(VALU_DEP_2) | instskip(NEXT) | instid1(VALU_DEP_2)
	v_add_co_u32 v38, vcc_lo, v39, v38
	v_add_co_ci_u32_e32 v38, vcc_lo, v40, v43, vcc_lo
	v_add_co_ci_u32_e32 v39, vcc_lo, 0, v44, vcc_lo
	v_add_co_u32 v40, vcc_lo, v36, v42
	v_add_co_ci_u32_e32 v37, vcc_lo, v37, v42, vcc_lo
	s_delay_alu instid0(VALU_DEP_4) | instskip(NEXT) | instid1(VALU_DEP_4)
	v_add_co_u32 v23, vcc_lo, v38, v23
	v_add_co_ci_u32_e32 v38, vcc_lo, 0, v39, vcc_lo
	s_delay_alu instid0(VALU_DEP_4) | instskip(NEXT) | instid1(VALU_DEP_3)
	v_xor_b32_e32 v41, v40, v42
	v_add_co_u32 v8, vcc_lo, v8, v23
	s_delay_alu instid0(VALU_DEP_3) | instskip(SKIP_1) | instid1(VALU_DEP_3)
	v_add_co_ci_u32_e32 v43, vcc_lo, v22, v38, vcc_lo
	v_xor_b32_e32 v44, v37, v42
	v_mul_hi_u32 v45, v41, v8
	s_delay_alu instid0(VALU_DEP_3) | instskip(NEXT) | instid1(VALU_DEP_3)
	v_mad_u64_u32 v[22:23], null, v41, v43, 0
	v_mad_u64_u32 v[37:38], null, v44, v8, 0
	;; [unrolled: 1-line block ×3, first 2 shown]
	s_delay_alu instid0(VALU_DEP_3) | instskip(NEXT) | instid1(VALU_DEP_4)
	v_add_co_u32 v8, vcc_lo, v45, v22
	v_add_co_ci_u32_e32 v22, vcc_lo, 0, v23, vcc_lo
	s_delay_alu instid0(VALU_DEP_2) | instskip(NEXT) | instid1(VALU_DEP_2)
	v_add_co_u32 v8, vcc_lo, v8, v37
	v_add_co_ci_u32_e32 v8, vcc_lo, v22, v38, vcc_lo
	v_add_co_ci_u32_e32 v22, vcc_lo, 0, v40, vcc_lo
	s_delay_alu instid0(VALU_DEP_2) | instskip(NEXT) | instid1(VALU_DEP_2)
	v_add_co_u32 v8, vcc_lo, v8, v39
	v_add_co_ci_u32_e32 v37, vcc_lo, 0, v22, vcc_lo
	s_delay_alu instid0(VALU_DEP_2) | instskip(SKIP_1) | instid1(VALU_DEP_3)
	v_mul_lo_u32 v38, s15, v8
	v_mad_u64_u32 v[22:23], null, s14, v8, 0
	v_mul_lo_u32 v39, s14, v37
	s_delay_alu instid0(VALU_DEP_2) | instskip(NEXT) | instid1(VALU_DEP_2)
	v_sub_co_u32 v22, vcc_lo, v41, v22
	v_add3_u32 v23, v23, v39, v38
	s_delay_alu instid0(VALU_DEP_1) | instskip(NEXT) | instid1(VALU_DEP_1)
	v_sub_nc_u32_e32 v38, v44, v23
	v_subrev_co_ci_u32_e64 v38, s0, s15, v38, vcc_lo
	v_add_co_u32 v39, s0, v8, 2
	s_delay_alu instid0(VALU_DEP_1) | instskip(SKIP_3) | instid1(VALU_DEP_3)
	v_add_co_ci_u32_e64 v40, s0, 0, v37, s0
	v_sub_co_u32 v41, s0, v22, s14
	v_sub_co_ci_u32_e32 v23, vcc_lo, v44, v23, vcc_lo
	v_subrev_co_ci_u32_e64 v38, s0, 0, v38, s0
	v_cmp_le_u32_e32 vcc_lo, s14, v41
	s_delay_alu instid0(VALU_DEP_3) | instskip(SKIP_1) | instid1(VALU_DEP_4)
	v_cmp_eq_u32_e64 s0, s15, v23
	v_cndmask_b32_e64 v41, 0, -1, vcc_lo
	v_cmp_le_u32_e32 vcc_lo, s15, v38
	v_cndmask_b32_e64 v43, 0, -1, vcc_lo
	v_cmp_le_u32_e32 vcc_lo, s14, v22
	;; [unrolled: 2-line block ×3, first 2 shown]
	v_cndmask_b32_e64 v44, 0, -1, vcc_lo
	v_cmp_eq_u32_e32 vcc_lo, s15, v38
	s_delay_alu instid0(VALU_DEP_2) | instskip(SKIP_3) | instid1(VALU_DEP_3)
	v_cndmask_b32_e64 v22, v44, v22, s0
	v_cndmask_b32_e32 v38, v43, v41, vcc_lo
	v_add_co_u32 v41, vcc_lo, v8, 1
	v_add_co_ci_u32_e32 v43, vcc_lo, 0, v37, vcc_lo
	v_cmp_ne_u32_e32 vcc_lo, 0, v38
	s_delay_alu instid0(VALU_DEP_2) | instskip(SKIP_2) | instid1(VALU_DEP_3)
	v_dual_cndmask_b32 v23, v43, v40 :: v_dual_cndmask_b32 v38, v41, v39
	v_cmp_ne_u32_e32 vcc_lo, 0, v22
	v_xor_b32_e32 v39, s2, v42
	v_cndmask_b32_e32 v8, v8, v38, vcc_lo
	s_delay_alu instid0(VALU_DEP_4) | instskip(NEXT) | instid1(VALU_DEP_2)
	v_cndmask_b32_e32 v22, v37, v23, vcc_lo
	v_xor_b32_e32 v8, v8, v39
	s_delay_alu instid0(VALU_DEP_2) | instskip(NEXT) | instid1(VALU_DEP_2)
	v_xor_b32_e32 v23, v22, v39
	v_sub_co_u32 v22, vcc_lo, v8, v39
	s_delay_alu instid0(VALU_DEP_2)
	v_sub_co_ci_u32_e32 v23, vcc_lo, v23, v39, vcc_lo
.LBB29_15:                              ;   in Loop: Header=BB29_13 Depth=2
	s_and_not1_saveexec_b32 s0, s24
	s_cbranch_execz .LBB29_17
; %bb.16:                               ;   in Loop: Header=BB29_13 Depth=2
	v_cvt_f32_u32_e32 v8, s8
	s_delay_alu instid0(VALU_DEP_1) | instskip(SKIP_2) | instid1(VALU_DEP_1)
	v_rcp_iflag_f32_e32 v8, v8
	s_waitcnt_depctr 0xfff
	v_mul_f32_e32 v8, 0x4f7ffffe, v8
	v_cvt_u32_f32_e32 v8, v8
	s_delay_alu instid0(VALU_DEP_1) | instskip(NEXT) | instid1(VALU_DEP_1)
	v_mul_lo_u32 v22, s21, v8
	v_mul_hi_u32 v22, v8, v22
	s_delay_alu instid0(VALU_DEP_1) | instskip(NEXT) | instid1(VALU_DEP_1)
	v_add_nc_u32_e32 v8, v8, v22
	v_mul_hi_u32 v8, v36, v8
	s_delay_alu instid0(VALU_DEP_1) | instskip(NEXT) | instid1(VALU_DEP_1)
	v_mul_lo_u32 v22, v8, s8
	v_sub_nc_u32_e32 v22, v36, v22
	s_delay_alu instid0(VALU_DEP_1) | instskip(SKIP_1) | instid1(VALU_DEP_2)
	v_subrev_nc_u32_e32 v37, s8, v22
	v_cmp_le_u32_e32 vcc_lo, s8, v22
	v_dual_cndmask_b32 v22, v22, v37 :: v_dual_add_nc_u32 v23, 1, v8
	s_delay_alu instid0(VALU_DEP_1) | instskip(NEXT) | instid1(VALU_DEP_2)
	v_cndmask_b32_e32 v8, v8, v23, vcc_lo
	v_cmp_le_u32_e32 vcc_lo, s8, v22
	s_delay_alu instid0(VALU_DEP_2) | instskip(NEXT) | instid1(VALU_DEP_1)
	v_add_nc_u32_e32 v23, 1, v8
	v_dual_cndmask_b32 v22, v8, v23 :: v_dual_mov_b32 v23, v7
.LBB29_17:                              ;   in Loop: Header=BB29_13 Depth=2
	s_or_b32 exec_lo, exec_lo, s0
	s_delay_alu instid0(VALU_DEP_1)
	v_cmp_eq_u64_e32 vcc_lo, v[22:23], v[9:10]
	s_mov_b32 s3, exec_lo
	v_cmpx_ne_u64_e64 v[22:23], v[9:10]
	s_xor_b32 s3, exec_lo, s3
; %bb.18:                               ;   in Loop: Header=BB29_13 Depth=2
	v_cmp_lt_i64_e64 s0, v[22:23], v[11:12]
                                        ; implicit-def: $vgpr36
                                        ; implicit-def: $vgpr20_vgpr21
	s_delay_alu instid0(VALU_DEP_1)
	v_cndmask_b32_e64 v12, v12, v23, s0
	v_cndmask_b32_e64 v11, v11, v22, s0
; %bb.19:                               ;   in Loop: Header=BB29_13 Depth=2
	s_or_saveexec_b32 s0, s3
	v_dual_mov_b32 v23, v14 :: v_dual_mov_b32 v22, v13
	s_xor_b32 exec_lo, exec_lo, s0
	s_cbranch_execz .LBB29_12
; %bb.20:                               ;   in Loop: Header=BB29_13 Depth=2
	global_load_b32 v8, v[16:17], off
	v_sub_nc_u32_e32 v22, v36, v15
	s_delay_alu instid0(VALU_DEP_1)
	v_add_lshl_u32 v36, v0, v22, 2
	v_dual_mov_b32 v23, v21 :: v_dual_mov_b32 v22, v20
	ds_store_b8 v24, v35 offset:1024
	s_waitcnt vmcnt(0)
	ds_store_b32 v36, v8
	s_branch .LBB29_12
.LBB29_21:                              ;   in Loop: Header=BB29_10 Depth=1
	s_or_b32 exec_lo, exec_lo, s23
.LBB29_22:                              ;   in Loop: Header=BB29_10 Depth=1
	s_delay_alu instid0(SALU_CYCLE_1)
	s_or_b32 exec_lo, exec_lo, s22
	ds_bpermute_b32 v13, v6, v22
	ds_bpermute_b32 v14, v6, v23
	s_waitcnt lgkmcnt(0)
	buffer_gl0_inv
	ds_load_u8 v8, v24 offset:1024
	s_mov_b32 s0, exec_lo
	v_cmp_lt_i64_e32 vcc_lo, v[13:14], v[22:23]
	s_waitcnt lgkmcnt(0)
	v_and_b32_e32 v8, 1, v8
	v_dual_cndmask_b32 v14, v23, v14 :: v_dual_cndmask_b32 v13, v22, v13
	ds_bpermute_b32 v16, v26, v14
	ds_bpermute_b32 v15, v26, v13
	s_waitcnt lgkmcnt(0)
	v_cmp_lt_i64_e32 vcc_lo, v[15:16], v[13:14]
	v_dual_cndmask_b32 v14, v14, v16 :: v_dual_cndmask_b32 v13, v13, v15
	ds_bpermute_b32 v16, v27, v14
	ds_bpermute_b32 v15, v27, v13
	s_waitcnt lgkmcnt(0)
	v_cmp_lt_i64_e32 vcc_lo, v[15:16], v[13:14]
	v_dual_cndmask_b32 v14, v14, v16 :: v_dual_cndmask_b32 v13, v13, v15
	v_mov_b32_e32 v15, 0
	v_mov_b32_e32 v16, 0
	ds_bpermute_b32 v14, v28, v14
	ds_bpermute_b32 v13, v28, v13
	v_cmpx_eq_u32_e32 1, v8
	s_cbranch_execz .LBB29_9
; %bb.23:                               ;   in Loop: Header=BB29_10 Depth=1
	v_lshlrev_b64 v[15:16], 3, v[3:4]
	v_add_co_u32 v8, vcc_lo, v9, s17
	v_add_co_ci_u32_e32 v9, vcc_lo, 0, v10, vcc_lo
	s_delay_alu instid0(VALU_DEP_3) | instskip(NEXT) | instid1(VALU_DEP_4)
	v_add_co_u32 v15, vcc_lo, s4, v15
	v_add_co_ci_u32_e32 v16, vcc_lo, s5, v16, vcc_lo
	global_store_b64 v[15:16], v[8:9], off
	s_and_saveexec_b32 s3, s18
	s_cbranch_execz .LBB29_8
; %bb.24:                               ;   in Loop: Header=BB29_10 Depth=1
	v_mul_lo_u32 v10, s19, v3
	v_mul_lo_u32 v15, s20, v4
	v_mad_u64_u32 v[8:9], null, s20, v3, 0
	ds_load_b32 v16, v25
	v_add3_u32 v9, v9, v15, v10
	s_delay_alu instid0(VALU_DEP_1) | instskip(NEXT) | instid1(VALU_DEP_1)
	v_lshlrev_b64 v[8:9], 2, v[8:9]
	v_add_co_u32 v8, vcc_lo, v34, v8
	s_delay_alu instid0(VALU_DEP_2)
	v_add_co_ci_u32_e32 v9, vcc_lo, v33, v9, vcc_lo
	s_waitcnt lgkmcnt(0)
	global_store_b32 v[8:9], v16, off
	s_branch .LBB29_8
.LBB29_25:
	s_endpgm
	.section	.rodata,"a",@progbits
	.p2align	6, 0x0
	.amdhsa_kernel _ZN9rocsparseL42csr2bsr_wavefront_per_row_multipass_kernelILj256ELj64ELj8EillEEv20rocsparse_direction_T4_S2_S2_S2_S2_21rocsparse_index_base_PKT2_PKT3_PKS2_S3_PS4_PS7_PS2_
		.amdhsa_group_segment_fixed_size 1028
		.amdhsa_private_segment_fixed_size 0
		.amdhsa_kernarg_size 112
		.amdhsa_user_sgpr_count 15
		.amdhsa_user_sgpr_dispatch_ptr 0
		.amdhsa_user_sgpr_queue_ptr 0
		.amdhsa_user_sgpr_kernarg_segment_ptr 1
		.amdhsa_user_sgpr_dispatch_id 0
		.amdhsa_user_sgpr_private_segment_size 0
		.amdhsa_wavefront_size32 1
		.amdhsa_uses_dynamic_stack 0
		.amdhsa_enable_private_segment 0
		.amdhsa_system_sgpr_workgroup_id_x 1
		.amdhsa_system_sgpr_workgroup_id_y 0
		.amdhsa_system_sgpr_workgroup_id_z 0
		.amdhsa_system_sgpr_workgroup_info 0
		.amdhsa_system_vgpr_workitem_id 0
		.amdhsa_next_free_vgpr 46
		.amdhsa_next_free_sgpr 25
		.amdhsa_reserve_vcc 1
		.amdhsa_float_round_mode_32 0
		.amdhsa_float_round_mode_16_64 0
		.amdhsa_float_denorm_mode_32 3
		.amdhsa_float_denorm_mode_16_64 3
		.amdhsa_dx10_clamp 1
		.amdhsa_ieee_mode 1
		.amdhsa_fp16_overflow 0
		.amdhsa_workgroup_processor_mode 1
		.amdhsa_memory_ordered 1
		.amdhsa_forward_progress 0
		.amdhsa_shared_vgpr_count 0
		.amdhsa_exception_fp_ieee_invalid_op 0
		.amdhsa_exception_fp_denorm_src 0
		.amdhsa_exception_fp_ieee_div_zero 0
		.amdhsa_exception_fp_ieee_overflow 0
		.amdhsa_exception_fp_ieee_underflow 0
		.amdhsa_exception_fp_ieee_inexact 0
		.amdhsa_exception_int_div_zero 0
	.end_amdhsa_kernel
	.section	.text._ZN9rocsparseL42csr2bsr_wavefront_per_row_multipass_kernelILj256ELj64ELj8EillEEv20rocsparse_direction_T4_S2_S2_S2_S2_21rocsparse_index_base_PKT2_PKT3_PKS2_S3_PS4_PS7_PS2_,"axG",@progbits,_ZN9rocsparseL42csr2bsr_wavefront_per_row_multipass_kernelILj256ELj64ELj8EillEEv20rocsparse_direction_T4_S2_S2_S2_S2_21rocsparse_index_base_PKT2_PKT3_PKS2_S3_PS4_PS7_PS2_,comdat
.Lfunc_end29:
	.size	_ZN9rocsparseL42csr2bsr_wavefront_per_row_multipass_kernelILj256ELj64ELj8EillEEv20rocsparse_direction_T4_S2_S2_S2_S2_21rocsparse_index_base_PKT2_PKT3_PKS2_S3_PS4_PS7_PS2_, .Lfunc_end29-_ZN9rocsparseL42csr2bsr_wavefront_per_row_multipass_kernelILj256ELj64ELj8EillEEv20rocsparse_direction_T4_S2_S2_S2_S2_21rocsparse_index_base_PKT2_PKT3_PKS2_S3_PS4_PS7_PS2_
                                        ; -- End function
	.section	.AMDGPU.csdata,"",@progbits
; Kernel info:
; codeLenInByte = 2824
; NumSgprs: 27
; NumVgprs: 46
; ScratchSize: 0
; MemoryBound: 0
; FloatMode: 240
; IeeeMode: 1
; LDSByteSize: 1028 bytes/workgroup (compile time only)
; SGPRBlocks: 3
; VGPRBlocks: 5
; NumSGPRsForWavesPerEU: 27
; NumVGPRsForWavesPerEU: 46
; Occupancy: 16
; WaveLimiterHint : 0
; COMPUTE_PGM_RSRC2:SCRATCH_EN: 0
; COMPUTE_PGM_RSRC2:USER_SGPR: 15
; COMPUTE_PGM_RSRC2:TRAP_HANDLER: 0
; COMPUTE_PGM_RSRC2:TGID_X_EN: 1
; COMPUTE_PGM_RSRC2:TGID_Y_EN: 0
; COMPUTE_PGM_RSRC2:TGID_Z_EN: 0
; COMPUTE_PGM_RSRC2:TIDIG_COMP_CNT: 0
	.section	.text._ZN9rocsparseL42csr2bsr_wavefront_per_row_multipass_kernelILj256ELj32ELj8EillEEv20rocsparse_direction_T4_S2_S2_S2_S2_21rocsparse_index_base_PKT2_PKT3_PKS2_S3_PS4_PS7_PS2_,"axG",@progbits,_ZN9rocsparseL42csr2bsr_wavefront_per_row_multipass_kernelILj256ELj32ELj8EillEEv20rocsparse_direction_T4_S2_S2_S2_S2_21rocsparse_index_base_PKT2_PKT3_PKS2_S3_PS4_PS7_PS2_,comdat
	.globl	_ZN9rocsparseL42csr2bsr_wavefront_per_row_multipass_kernelILj256ELj32ELj8EillEEv20rocsparse_direction_T4_S2_S2_S2_S2_21rocsparse_index_base_PKT2_PKT3_PKS2_S3_PS4_PS7_PS2_ ; -- Begin function _ZN9rocsparseL42csr2bsr_wavefront_per_row_multipass_kernelILj256ELj32ELj8EillEEv20rocsparse_direction_T4_S2_S2_S2_S2_21rocsparse_index_base_PKT2_PKT3_PKS2_S3_PS4_PS7_PS2_
	.p2align	8
	.type	_ZN9rocsparseL42csr2bsr_wavefront_per_row_multipass_kernelILj256ELj32ELj8EillEEv20rocsparse_direction_T4_S2_S2_S2_S2_21rocsparse_index_base_PKT2_PKT3_PKS2_S3_PS4_PS7_PS2_,@function
_ZN9rocsparseL42csr2bsr_wavefront_per_row_multipass_kernelILj256ELj32ELj8EillEEv20rocsparse_direction_T4_S2_S2_S2_S2_21rocsparse_index_base_PKT2_PKT3_PKS2_S3_PS4_PS7_PS2_: ; @_ZN9rocsparseL42csr2bsr_wavefront_per_row_multipass_kernelILj256ELj32ELj8EillEEv20rocsparse_direction_T4_S2_S2_S2_S2_21rocsparse_index_base_PKT2_PKT3_PKS2_S3_PS4_PS7_PS2_
; %bb.0:
	s_load_b64 s[8:9], s[0:1], 0x28
	v_lshrrev_b32_e32 v27, 5, v0
	s_mov_b32 s10, s15
	s_ashr_i32 s11, s15, 31
	s_clause 0x1
	s_load_b64 s[14:15], s[0:1], 0x8
	s_load_b128 s[4:7], s[0:1], 0x18
	s_lshl_b64 s[2:3], s[10:11], 3
	v_mov_b32_e32 v7, 0
	v_or_b32_e32 v1, s2, v27
	v_bfe_u32 v6, v0, 2, 3
	s_clause 0x1
	s_load_b32 s16, s[0:1], 0x30
	s_load_b64 s[12:13], s[0:1], 0x40
	s_waitcnt lgkmcnt(0)
	v_mul_lo_u32 v2, v1, s9
	v_mad_u64_u32 v[3:4], null, v1, s8, v[6:7]
	s_mul_i32 s2, s3, s8
	s_delay_alu instid0(VALU_DEP_1) | instid1(SALU_CYCLE_1)
	v_add3_u32 v4, s2, v4, v2
	v_mov_b32_e32 v1, 0
	v_mov_b32_e32 v2, 0
	v_cmp_gt_i64_e64 s2, s[8:9], v[6:7]
	s_delay_alu instid0(VALU_DEP_4) | instskip(NEXT) | instid1(VALU_DEP_3)
	v_cmp_gt_i64_e32 vcc_lo, s[14:15], v[3:4]
	v_dual_mov_b32 v17, v2 :: v_dual_mov_b32 v16, v1
	s_delay_alu instid0(VALU_DEP_3) | instskip(NEXT) | instid1(SALU_CYCLE_1)
	s_and_b32 s3, s2, vcc_lo
	s_and_saveexec_b32 s11, s3
	s_cbranch_execz .LBB30_2
; %bb.1:
	v_lshlrev_b64 v[7:8], 3, v[3:4]
	s_delay_alu instid0(VALU_DEP_1) | instskip(NEXT) | instid1(VALU_DEP_2)
	v_add_co_u32 v7, vcc_lo, s12, v7
	v_add_co_ci_u32_e32 v8, vcc_lo, s13, v8, vcc_lo
	global_load_b64 v[7:8], v[7:8], off
	s_waitcnt vmcnt(0)
	v_sub_co_u32 v16, vcc_lo, v7, s16
	v_subrev_co_ci_u32_e32 v17, vcc_lo, 0, v8, vcc_lo
.LBB30_2:
	s_or_b32 exec_lo, exec_lo, s11
	s_and_saveexec_b32 s11, s3
	s_cbranch_execz .LBB30_4
; %bb.3:
	v_lshlrev_b64 v[1:2], 3, v[3:4]
	s_delay_alu instid0(VALU_DEP_1) | instskip(NEXT) | instid1(VALU_DEP_2)
	v_add_co_u32 v1, vcc_lo, s12, v1
	v_add_co_ci_u32_e32 v2, vcc_lo, s13, v2, vcc_lo
	global_load_b64 v[1:2], v[1:2], off offset:8
	s_waitcnt vmcnt(0)
	v_sub_co_u32 v1, vcc_lo, v1, s16
	v_subrev_co_ci_u32_e32 v2, vcc_lo, 0, v2, vcc_lo
.LBB30_4:
	s_or_b32 exec_lo, exec_lo, s11
	s_load_b32 s17, s[0:1], 0x50
	v_dual_mov_b32 v8, 0 :: v_dual_mov_b32 v3, 0
	v_lshl_or_b32 v7, s10, 3, v27
	v_mov_b32_e32 v4, 0
	s_mov_b32 s3, exec_lo
	s_delay_alu instid0(VALU_DEP_2)
	v_cmpx_gt_i64_e64 s[4:5], v[7:8]
	s_cbranch_execz .LBB30_6
; %bb.5:
	s_load_b64 s[4:5], s[0:1], 0x60
	v_lshlrev_b64 v[3:4], 3, v[7:8]
	s_waitcnt lgkmcnt(0)
	s_delay_alu instid0(VALU_DEP_1) | instskip(NEXT) | instid1(VALU_DEP_2)
	v_add_co_u32 v3, vcc_lo, s4, v3
	v_add_co_ci_u32_e32 v4, vcc_lo, s5, v4, vcc_lo
	global_load_b64 v[3:4], v[3:4], off
	s_waitcnt vmcnt(0)
	v_sub_co_u32 v3, vcc_lo, v3, s17
	v_subrev_co_ci_u32_e32 v4, vcc_lo, 0, v4, vcc_lo
.LBB30_6:
	s_or_b32 exec_lo, exec_lo, s3
	v_cmp_lt_i64_e64 s3, s[6:7], 1
	s_delay_alu instid0(VALU_DEP_1)
	s_and_b32 vcc_lo, exec_lo, s3
	s_cbranch_vccnz .LBB30_34
; %bb.7:
	v_mbcnt_lo_u32_b32 v12, -1, 0
	s_clause 0x1
	s_load_b64 s[14:15], s[0:1], 0x58
	s_load_b64 s[4:5], s[0:1], 0x68
	v_mad_u64_u32 v[9:10], null, v6, s8, 0
	s_mul_i32 s3, s8, s9
	v_xor_b32_e32 v8, 2, v12
	s_mul_hi_u32 s20, s8, s8
	s_clause 0x2
	s_load_b64 s[10:11], s[0:1], 0x48
	s_load_b64 s[12:13], s[0:1], 0x38
	s_load_b32 s0, s[0:1], 0x0
	s_add_i32 s1, s20, s3
	v_lshlrev_b32_e32 v13, 6, v27
	v_cmp_gt_i32_e32 vcc_lo, 32, v8
	s_add_i32 s20, s1, s3
	v_xor_b32_e32 v14, 1, v12
	v_lshl_or_b32 v32, v12, 2, 12
	s_mul_i32 s18, s8, s8
	v_cndmask_b32_e32 v15, v12, v8, vcc_lo
	v_mov_b32_e32 v5, 0
	v_cmp_gt_i32_e32 vcc_lo, 32, v14
	s_mov_b32 s19, 0
	v_mov_b32_e32 v40, 1
	v_lshlrev_b32_e32 v30, 2, v15
	v_dual_mov_b32 v38, 0x7c :: v_dual_lshlrev_b32 v7, 2, v6
	s_waitcnt lgkmcnt(0)
	s_delay_alu instid0(VALU_DEP_1) | instskip(SKIP_4) | instid1(VALU_DEP_2)
	v_add_co_u32 v28, s1, s14, v7
	v_mov_b32_e32 v7, v10
	s_cmp_lg_u32 s0, 0
	v_add_co_ci_u32_e64 v29, null, s15, 0, s1
	s_cselect_b32 s21, -1, 0
	v_mad_u64_u32 v[10:11], null, v6, s9, v[7:8]
	v_and_b32_e32 v7, 3, v0
	v_lshl_or_b32 v0, v6, 3, v13
	v_xor_b32_e32 v6, 16, v12
	v_cndmask_b32_e32 v11, v12, v14, vcc_lo
	v_xor_b32_e32 v13, 8, v12
	v_mov_b32_e32 v8, v5
	v_lshlrev_b64 v[9:10], 2, v[9:10]
	v_cmp_gt_i32_e32 vcc_lo, 32, v6
	s_sub_i32 s24, 0, s8
	v_cndmask_b32_e32 v6, v12, v6, vcc_lo
	v_cmp_gt_i32_e32 vcc_lo, 32, v13
	s_delay_alu instid0(VALU_DEP_2) | instskip(SKIP_4) | instid1(VALU_DEP_4)
	v_lshlrev_b32_e32 v35, 2, v6
	v_cndmask_b32_e32 v13, v12, v13, vcc_lo
	v_add_co_u32 v33, vcc_lo, s14, v9
	v_add_co_ci_u32_e32 v34, vcc_lo, s15, v10, vcc_lo
	v_xor_b32_e32 v10, 4, v12
	v_lshlrev_b32_e32 v36, 2, v13
	s_delay_alu instid0(VALU_DEP_2)
	v_cmp_gt_i32_e32 vcc_lo, 32, v10
	v_cndmask_b32_e32 v10, v12, v10, vcc_lo
	v_dual_mov_b32 v12, v5 :: v_dual_lshlrev_b32 v31, 2, v11
	v_or_b32_e32 v11, 4, v7
	v_mad_u64_u32 v[18:19], null, v7, s8, 0
	v_cmp_gt_u64_e32 vcc_lo, s[8:9], v[7:8]
	v_lshlrev_b32_e32 v37, 2, v10
	s_delay_alu instid0(VALU_DEP_4) | instskip(SKIP_3) | instid1(VALU_DEP_3)
	v_mad_u64_u32 v[20:21], null, v11, s8, 0
	v_cmp_gt_u64_e64 s0, s[8:9], v[11:12]
	v_mov_b32_e32 v6, v19
	s_and_b32 s22, s2, vcc_lo
	v_mov_b32_e32 v9, v21
	s_delay_alu instid0(VALU_DEP_2) | instskip(SKIP_2) | instid1(VALU_DEP_3)
	v_mad_u64_u32 v[13:14], null, v7, s9, v[6:7]
	v_or_b32_e32 v6, v0, v7
	s_and_b32 s23, s2, s0
	v_mad_u64_u32 v[14:15], null, v11, s9, v[9:10]
	s_ashr_i32 s2, s9, 31
	s_delay_alu instid0(VALU_DEP_2) | instskip(NEXT) | instid1(VALU_DEP_4)
	v_lshlrev_b32_e32 v39, 2, v6
	v_mov_b32_e32 v19, v13
	s_delay_alu instid0(VALU_DEP_3) | instskip(NEXT) | instid1(VALU_DEP_2)
	v_dual_mov_b32 v21, v14 :: v_dual_mov_b32 v14, 0
	v_lshlrev_b64 v[8:9], 2, v[18:19]
	v_mov_b32_e32 v15, 0
	s_delay_alu instid0(VALU_DEP_3)
	v_lshlrev_b64 v[10:11], 2, v[20:21]
	s_branch .LBB30_11
.LBB30_8:                               ;   in Loop: Header=BB30_11 Depth=1
	v_dual_mov_b32 v19, s1 :: v_dual_mov_b32 v18, s0
.LBB30_9:                               ;   in Loop: Header=BB30_11 Depth=1
	s_or_b32 exec_lo, exec_lo, s14
.LBB30_10:                              ;   in Loop: Header=BB30_11 Depth=1
	s_delay_alu instid0(SALU_CYCLE_1) | instskip(SKIP_3) | instid1(VALU_DEP_1)
	s_or_b32 exec_lo, exec_lo, s3
	ds_bpermute_b32 v14, v35, v12
	ds_bpermute_b32 v15, v35, v13
	v_add_co_u32 v3, s0, v18, v3
	v_add_co_ci_u32_e64 v4, s0, v19, v4, s0
	s_waitcnt lgkmcnt(0)
	s_waitcnt_vscnt null, 0x0
	buffer_gl0_inv
	buffer_gl0_inv
	v_cmp_lt_i64_e32 vcc_lo, v[14:15], v[12:13]
	v_dual_cndmask_b32 v13, v13, v15 :: v_dual_cndmask_b32 v12, v12, v14
	ds_bpermute_b32 v15, v36, v13
	ds_bpermute_b32 v14, v36, v12
	s_waitcnt lgkmcnt(0)
	v_cmp_lt_i64_e32 vcc_lo, v[14:15], v[12:13]
	v_dual_cndmask_b32 v13, v13, v15 :: v_dual_cndmask_b32 v12, v12, v14
	ds_bpermute_b32 v15, v37, v13
	ds_bpermute_b32 v14, v37, v12
	s_waitcnt lgkmcnt(0)
	;; [unrolled: 5-line block ×4, first 2 shown]
	v_cmp_lt_i64_e32 vcc_lo, v[14:15], v[12:13]
	v_cndmask_b32_e32 v6, v13, v15, vcc_lo
	v_cndmask_b32_e32 v12, v12, v14, vcc_lo
	ds_bpermute_b32 v15, v38, v6
	ds_bpermute_b32 v14, v38, v12
	s_waitcnt lgkmcnt(0)
	v_cmp_le_i64_e32 vcc_lo, s[6:7], v[14:15]
	s_or_b32 s19, vcc_lo, s19
	s_delay_alu instid0(SALU_CYCLE_1)
	s_and_not1_b32 exec_lo, exec_lo, s19
	s_cbranch_execz .LBB30_34
.LBB30_11:                              ; =>This Loop Header: Depth=1
                                        ;     Child Loop BB30_14 Depth 2
	v_add_co_u32 v16, vcc_lo, v16, v7
	v_add_co_ci_u32_e32 v17, vcc_lo, 0, v17, vcc_lo
	v_dual_mov_b32 v13, s7 :: v_dual_mov_b32 v12, s6
	v_dual_mov_b32 v26, v2 :: v_dual_mov_b32 v25, v1
	s_mov_b32 s1, exec_lo
	ds_store_b8 v27, v5 offset:2048
	ds_store_2addr_b32 v39, v5, v5 offset1:4
	s_waitcnt lgkmcnt(0)
	buffer_gl0_inv
	v_cmpx_lt_i64_e64 v[16:17], v[1:2]
	s_cbranch_execz .LBB30_23
; %bb.12:                               ;   in Loop: Header=BB30_11 Depth=1
	v_lshlrev_b64 v[12:13], 2, v[16:17]
	v_lshlrev_b64 v[21:22], 3, v[16:17]
	v_mad_u64_u32 v[18:19], null, v14, s8, 0
	v_dual_mov_b32 v24, v2 :: v_dual_mov_b32 v23, v1
	s_delay_alu instid0(VALU_DEP_4)
	v_add_co_u32 v19, vcc_lo, s12, v12
	v_add_co_ci_u32_e32 v20, vcc_lo, s13, v13, vcc_lo
	v_add_co_u32 v21, vcc_lo, s10, v21
	v_add_co_ci_u32_e32 v22, vcc_lo, s11, v22, vcc_lo
	v_dual_mov_b32 v13, s7 :: v_dual_mov_b32 v12, s6
	s_mov_b32 s25, 0
	s_branch .LBB30_14
.LBB30_13:                              ;   in Loop: Header=BB30_14 Depth=2
	s_or_b32 exec_lo, exec_lo, s0
	v_add_co_u32 v16, s0, v16, 4
	s_delay_alu instid0(VALU_DEP_1) | instskip(SKIP_2) | instid1(VALU_DEP_2)
	v_add_co_ci_u32_e64 v17, s0, 0, v17, s0
	s_xor_b32 s3, vcc_lo, -1
	v_add_co_u32 v19, vcc_lo, v19, 16
	v_cmp_ge_i64_e64 s0, v[16:17], v[1:2]
	v_add_co_ci_u32_e32 v20, vcc_lo, 0, v20, vcc_lo
	v_add_co_u32 v21, vcc_lo, v21, 32
	v_add_co_ci_u32_e32 v22, vcc_lo, 0, v22, vcc_lo
	s_delay_alu instid0(VALU_DEP_4) | instskip(SKIP_2) | instid1(SALU_CYCLE_1)
	s_or_b32 s0, s3, s0
	v_dual_mov_b32 v23, v25 :: v_dual_mov_b32 v24, v26
	s_and_b32 s0, exec_lo, s0
	s_or_b32 s25, s0, s25
	s_delay_alu instid0(SALU_CYCLE_1)
	s_and_not1_b32 exec_lo, exec_lo, s25
	s_cbranch_execz .LBB30_22
.LBB30_14:                              ;   Parent Loop BB30_11 Depth=1
                                        ; =>  This Inner Loop Header: Depth=2
	global_load_b64 v[25:26], v[21:22], off
	s_mov_b32 s0, exec_lo
	s_waitcnt vmcnt(0)
	v_sub_co_u32 v41, vcc_lo, v25, s16
	v_subrev_co_ci_u32_e32 v42, vcc_lo, 0, v26, vcc_lo
                                        ; implicit-def: $vgpr25_vgpr26
	s_delay_alu instid0(VALU_DEP_1) | instskip(NEXT) | instid1(VALU_DEP_1)
	v_or_b32_e32 v6, s9, v42
	v_cmpx_ne_u64_e32 0, v[5:6]
	s_xor_b32 s26, exec_lo, s0
	s_cbranch_execz .LBB30_16
; %bb.15:                               ;   in Loop: Header=BB30_14 Depth=2
	s_add_u32 s14, s8, s2
	s_mov_b32 s3, s2
	s_addc_u32 s15, s9, s2
	s_delay_alu instid0(SALU_CYCLE_1) | instskip(NEXT) | instid1(SALU_CYCLE_1)
	s_xor_b64 s[14:15], s[14:15], s[2:3]
	v_cvt_f32_u32_e32 v6, s14
	v_cvt_f32_u32_e32 v25, s15
	s_sub_u32 s0, 0, s14
	s_subb_u32 s3, 0, s15
	s_delay_alu instid0(VALU_DEP_1) | instskip(NEXT) | instid1(VALU_DEP_1)
	v_fmac_f32_e32 v6, 0x4f800000, v25
	v_rcp_f32_e32 v6, v6
	s_waitcnt_depctr 0xfff
	v_mul_f32_e32 v6, 0x5f7ffffc, v6
	s_delay_alu instid0(VALU_DEP_1) | instskip(NEXT) | instid1(VALU_DEP_1)
	v_mul_f32_e32 v25, 0x2f800000, v6
	v_trunc_f32_e32 v25, v25
	s_delay_alu instid0(VALU_DEP_1) | instskip(SKIP_1) | instid1(VALU_DEP_2)
	v_fmac_f32_e32 v6, 0xcf800000, v25
	v_cvt_u32_f32_e32 v25, v25
	v_cvt_u32_f32_e32 v6, v6
	s_delay_alu instid0(VALU_DEP_2) | instskip(NEXT) | instid1(VALU_DEP_2)
	v_mul_lo_u32 v26, s0, v25
	v_mul_hi_u32 v43, s0, v6
	v_mul_lo_u32 v44, s3, v6
	s_delay_alu instid0(VALU_DEP_2) | instskip(SKIP_1) | instid1(VALU_DEP_2)
	v_add_nc_u32_e32 v26, v43, v26
	v_mul_lo_u32 v43, s0, v6
	v_add_nc_u32_e32 v26, v26, v44
	s_delay_alu instid0(VALU_DEP_2) | instskip(NEXT) | instid1(VALU_DEP_2)
	v_mul_hi_u32 v44, v6, v43
	v_mul_lo_u32 v45, v6, v26
	v_mul_hi_u32 v46, v6, v26
	v_mul_hi_u32 v47, v25, v43
	v_mul_lo_u32 v43, v25, v43
	v_mul_hi_u32 v48, v25, v26
	v_mul_lo_u32 v26, v25, v26
	v_add_co_u32 v44, vcc_lo, v44, v45
	v_add_co_ci_u32_e32 v45, vcc_lo, 0, v46, vcc_lo
	s_delay_alu instid0(VALU_DEP_2) | instskip(NEXT) | instid1(VALU_DEP_2)
	v_add_co_u32 v43, vcc_lo, v44, v43
	v_add_co_ci_u32_e32 v43, vcc_lo, v45, v47, vcc_lo
	v_add_co_ci_u32_e32 v44, vcc_lo, 0, v48, vcc_lo
	v_ashrrev_i32_e32 v47, 31, v42
	s_delay_alu instid0(VALU_DEP_3) | instskip(NEXT) | instid1(VALU_DEP_3)
	v_add_co_u32 v26, vcc_lo, v43, v26
	v_add_co_ci_u32_e32 v43, vcc_lo, 0, v44, vcc_lo
	s_delay_alu instid0(VALU_DEP_2) | instskip(NEXT) | instid1(VALU_DEP_2)
	v_add_co_u32 v6, vcc_lo, v6, v26
	v_add_co_ci_u32_e32 v25, vcc_lo, v25, v43, vcc_lo
	s_delay_alu instid0(VALU_DEP_2) | instskip(SKIP_1) | instid1(VALU_DEP_3)
	v_mul_hi_u32 v26, s0, v6
	v_mul_lo_u32 v44, s3, v6
	v_mul_lo_u32 v43, s0, v25
	s_delay_alu instid0(VALU_DEP_1) | instskip(SKIP_1) | instid1(VALU_DEP_2)
	v_add_nc_u32_e32 v26, v26, v43
	v_mul_lo_u32 v43, s0, v6
	v_add_nc_u32_e32 v26, v26, v44
	s_delay_alu instid0(VALU_DEP_2) | instskip(NEXT) | instid1(VALU_DEP_2)
	v_mul_hi_u32 v44, v6, v43
	v_mul_lo_u32 v45, v6, v26
	v_mul_hi_u32 v46, v6, v26
	v_mul_hi_u32 v48, v25, v43
	v_mul_lo_u32 v43, v25, v43
	v_mul_hi_u32 v49, v25, v26
	v_mul_lo_u32 v26, v25, v26
	v_add_co_u32 v44, vcc_lo, v44, v45
	v_add_co_ci_u32_e32 v45, vcc_lo, 0, v46, vcc_lo
	s_delay_alu instid0(VALU_DEP_2) | instskip(NEXT) | instid1(VALU_DEP_2)
	v_add_co_u32 v43, vcc_lo, v44, v43
	v_add_co_ci_u32_e32 v43, vcc_lo, v45, v48, vcc_lo
	v_add_co_ci_u32_e32 v44, vcc_lo, 0, v49, vcc_lo
	v_add_co_u32 v45, vcc_lo, v41, v47
	v_add_co_ci_u32_e32 v42, vcc_lo, v42, v47, vcc_lo
	s_delay_alu instid0(VALU_DEP_4) | instskip(NEXT) | instid1(VALU_DEP_4)
	v_add_co_u32 v26, vcc_lo, v43, v26
	v_add_co_ci_u32_e32 v43, vcc_lo, 0, v44, vcc_lo
	s_delay_alu instid0(VALU_DEP_4) | instskip(NEXT) | instid1(VALU_DEP_3)
	v_xor_b32_e32 v46, v45, v47
	v_add_co_u32 v6, vcc_lo, v6, v26
	s_delay_alu instid0(VALU_DEP_3) | instskip(SKIP_1) | instid1(VALU_DEP_3)
	v_add_co_ci_u32_e32 v48, vcc_lo, v25, v43, vcc_lo
	v_xor_b32_e32 v49, v42, v47
	v_mul_hi_u32 v50, v46, v6
	s_delay_alu instid0(VALU_DEP_3) | instskip(NEXT) | instid1(VALU_DEP_3)
	v_mad_u64_u32 v[25:26], null, v46, v48, 0
	v_mad_u64_u32 v[42:43], null, v49, v6, 0
	;; [unrolled: 1-line block ×3, first 2 shown]
	s_delay_alu instid0(VALU_DEP_3) | instskip(NEXT) | instid1(VALU_DEP_4)
	v_add_co_u32 v6, vcc_lo, v50, v25
	v_add_co_ci_u32_e32 v25, vcc_lo, 0, v26, vcc_lo
	s_delay_alu instid0(VALU_DEP_2) | instskip(NEXT) | instid1(VALU_DEP_2)
	v_add_co_u32 v6, vcc_lo, v6, v42
	v_add_co_ci_u32_e32 v6, vcc_lo, v25, v43, vcc_lo
	v_add_co_ci_u32_e32 v25, vcc_lo, 0, v45, vcc_lo
	s_delay_alu instid0(VALU_DEP_2) | instskip(NEXT) | instid1(VALU_DEP_2)
	v_add_co_u32 v6, vcc_lo, v6, v44
	v_add_co_ci_u32_e32 v42, vcc_lo, 0, v25, vcc_lo
	s_delay_alu instid0(VALU_DEP_2) | instskip(SKIP_1) | instid1(VALU_DEP_3)
	v_mul_lo_u32 v43, s15, v6
	v_mad_u64_u32 v[25:26], null, s14, v6, 0
	v_mul_lo_u32 v44, s14, v42
	s_delay_alu instid0(VALU_DEP_2) | instskip(NEXT) | instid1(VALU_DEP_2)
	v_sub_co_u32 v25, vcc_lo, v46, v25
	v_add3_u32 v26, v26, v44, v43
	s_delay_alu instid0(VALU_DEP_1) | instskip(NEXT) | instid1(VALU_DEP_1)
	v_sub_nc_u32_e32 v43, v49, v26
	v_subrev_co_ci_u32_e64 v43, s0, s15, v43, vcc_lo
	v_add_co_u32 v44, s0, v6, 2
	s_delay_alu instid0(VALU_DEP_1) | instskip(SKIP_3) | instid1(VALU_DEP_3)
	v_add_co_ci_u32_e64 v45, s0, 0, v42, s0
	v_sub_co_u32 v46, s0, v25, s14
	v_sub_co_ci_u32_e32 v26, vcc_lo, v49, v26, vcc_lo
	v_subrev_co_ci_u32_e64 v43, s0, 0, v43, s0
	v_cmp_le_u32_e32 vcc_lo, s14, v46
	s_delay_alu instid0(VALU_DEP_3) | instskip(SKIP_1) | instid1(VALU_DEP_4)
	v_cmp_eq_u32_e64 s0, s15, v26
	v_cndmask_b32_e64 v46, 0, -1, vcc_lo
	v_cmp_le_u32_e32 vcc_lo, s15, v43
	v_cndmask_b32_e64 v48, 0, -1, vcc_lo
	v_cmp_le_u32_e32 vcc_lo, s14, v25
	;; [unrolled: 2-line block ×3, first 2 shown]
	v_cndmask_b32_e64 v49, 0, -1, vcc_lo
	v_cmp_eq_u32_e32 vcc_lo, s15, v43
	s_delay_alu instid0(VALU_DEP_2) | instskip(SKIP_3) | instid1(VALU_DEP_3)
	v_cndmask_b32_e64 v25, v49, v25, s0
	v_cndmask_b32_e32 v43, v48, v46, vcc_lo
	v_add_co_u32 v46, vcc_lo, v6, 1
	v_add_co_ci_u32_e32 v48, vcc_lo, 0, v42, vcc_lo
	v_cmp_ne_u32_e32 vcc_lo, 0, v43
	s_delay_alu instid0(VALU_DEP_2) | instskip(SKIP_2) | instid1(VALU_DEP_3)
	v_dual_cndmask_b32 v26, v48, v45 :: v_dual_cndmask_b32 v43, v46, v44
	v_cmp_ne_u32_e32 vcc_lo, 0, v25
	v_xor_b32_e32 v44, s2, v47
	v_cndmask_b32_e32 v25, v42, v26, vcc_lo
	s_delay_alu instid0(VALU_DEP_4) | instskip(NEXT) | instid1(VALU_DEP_2)
	v_cndmask_b32_e32 v6, v6, v43, vcc_lo
	v_xor_b32_e32 v26, v25, v44
	s_delay_alu instid0(VALU_DEP_2) | instskip(NEXT) | instid1(VALU_DEP_1)
	v_xor_b32_e32 v6, v6, v44
	v_sub_co_u32 v25, vcc_lo, v6, v44
	s_delay_alu instid0(VALU_DEP_3)
	v_sub_co_ci_u32_e32 v26, vcc_lo, v26, v44, vcc_lo
.LBB30_16:                              ;   in Loop: Header=BB30_14 Depth=2
	s_and_not1_saveexec_b32 s0, s26
	s_cbranch_execz .LBB30_18
; %bb.17:                               ;   in Loop: Header=BB30_14 Depth=2
	v_cvt_f32_u32_e32 v6, s8
	s_delay_alu instid0(VALU_DEP_1) | instskip(SKIP_2) | instid1(VALU_DEP_1)
	v_rcp_iflag_f32_e32 v6, v6
	s_waitcnt_depctr 0xfff
	v_mul_f32_e32 v6, 0x4f7ffffe, v6
	v_cvt_u32_f32_e32 v6, v6
	s_delay_alu instid0(VALU_DEP_1) | instskip(NEXT) | instid1(VALU_DEP_1)
	v_mul_lo_u32 v25, s24, v6
	v_mul_hi_u32 v25, v6, v25
	s_delay_alu instid0(VALU_DEP_1) | instskip(NEXT) | instid1(VALU_DEP_1)
	v_add_nc_u32_e32 v6, v6, v25
	v_mul_hi_u32 v6, v41, v6
	s_delay_alu instid0(VALU_DEP_1) | instskip(SKIP_1) | instid1(VALU_DEP_2)
	v_mul_lo_u32 v25, v6, s8
	v_add_nc_u32_e32 v26, 1, v6
	v_sub_nc_u32_e32 v25, v41, v25
	s_delay_alu instid0(VALU_DEP_1) | instskip(SKIP_1) | instid1(VALU_DEP_2)
	v_subrev_nc_u32_e32 v42, s8, v25
	v_cmp_le_u32_e32 vcc_lo, s8, v25
	v_cndmask_b32_e32 v25, v25, v42, vcc_lo
	v_cndmask_b32_e32 v6, v6, v26, vcc_lo
	s_delay_alu instid0(VALU_DEP_2) | instskip(NEXT) | instid1(VALU_DEP_2)
	v_cmp_le_u32_e32 vcc_lo, s8, v25
	v_add_nc_u32_e32 v26, 1, v6
	s_delay_alu instid0(VALU_DEP_1)
	v_dual_cndmask_b32 v25, v6, v26 :: v_dual_mov_b32 v26, v5
.LBB30_18:                              ;   in Loop: Header=BB30_14 Depth=2
	s_or_b32 exec_lo, exec_lo, s0
	s_delay_alu instid0(VALU_DEP_1)
	v_cmp_eq_u64_e32 vcc_lo, v[25:26], v[14:15]
	s_mov_b32 s3, exec_lo
	v_cmpx_ne_u64_e64 v[25:26], v[14:15]
	s_xor_b32 s3, exec_lo, s3
; %bb.19:                               ;   in Loop: Header=BB30_14 Depth=2
	v_cmp_lt_i64_e64 s0, v[25:26], v[12:13]
                                        ; implicit-def: $vgpr41
                                        ; implicit-def: $vgpr23_vgpr24
	s_delay_alu instid0(VALU_DEP_1)
	v_cndmask_b32_e64 v13, v13, v26, s0
	v_cndmask_b32_e64 v12, v12, v25, s0
; %bb.20:                               ;   in Loop: Header=BB30_14 Depth=2
	s_or_saveexec_b32 s0, s3
	v_dual_mov_b32 v26, v17 :: v_dual_mov_b32 v25, v16
	s_xor_b32 exec_lo, exec_lo, s0
	s_cbranch_execz .LBB30_13
; %bb.21:                               ;   in Loop: Header=BB30_14 Depth=2
	global_load_b32 v6, v[19:20], off
	v_sub_nc_u32_e32 v25, v41, v18
	s_delay_alu instid0(VALU_DEP_1)
	v_add_lshl_u32 v41, v0, v25, 2
	v_dual_mov_b32 v26, v24 :: v_dual_mov_b32 v25, v23
	ds_store_b8 v27, v40 offset:2048
	s_waitcnt vmcnt(0)
	ds_store_b32 v41, v6
	s_branch .LBB30_13
.LBB30_22:                              ;   in Loop: Header=BB30_11 Depth=1
	s_or_b32 exec_lo, exec_lo, s25
.LBB30_23:                              ;   in Loop: Header=BB30_11 Depth=1
	s_delay_alu instid0(SALU_CYCLE_1)
	s_or_b32 exec_lo, exec_lo, s1
	ds_bpermute_b32 v16, v30, v25
	ds_bpermute_b32 v17, v30, v26
	s_waitcnt lgkmcnt(0)
	buffer_gl0_inv
	ds_load_u8 v6, v27 offset:2048
	s_mov_b32 s3, exec_lo
	v_cmp_lt_i64_e32 vcc_lo, v[16:17], v[25:26]
	s_waitcnt lgkmcnt(0)
	v_dual_cndmask_b32 v17, v26, v17 :: v_dual_and_b32 v6, 1, v6
	v_cndmask_b32_e32 v16, v25, v16, vcc_lo
	ds_bpermute_b32 v19, v31, v17
	ds_bpermute_b32 v18, v31, v16
	s_waitcnt lgkmcnt(0)
	v_cmp_lt_i64_e32 vcc_lo, v[18:19], v[16:17]
	v_dual_cndmask_b32 v17, v17, v19 :: v_dual_cndmask_b32 v16, v16, v18
	v_mov_b32_e32 v18, 0
	v_mov_b32_e32 v19, 0
	ds_bpermute_b32 v17, v32, v17
	ds_bpermute_b32 v16, v32, v16
	v_cmpx_eq_u32_e32 1, v6
	s_cbranch_execz .LBB30_10
; %bb.24:                               ;   in Loop: Header=BB30_11 Depth=1
	v_mul_lo_u32 v6, s20, v3
	v_mul_lo_u32 v22, s18, v4
	v_mad_u64_u32 v[18:19], null, s18, v3, 0
	v_lshlrev_b64 v[20:21], 3, v[3:4]
	s_delay_alu instid0(VALU_DEP_2) | instskip(SKIP_2) | instid1(VALU_DEP_3)
	v_add3_u32 v19, v19, v22, v6
	v_add_co_u32 v22, vcc_lo, v14, s17
	v_add_co_ci_u32_e32 v23, vcc_lo, 0, v15, vcc_lo
	v_lshlrev_b64 v[18:19], 2, v[18:19]
	v_add_co_u32 v24, vcc_lo, s4, v20
	v_add_co_ci_u32_e32 v25, vcc_lo, s5, v21, vcc_lo
	s_delay_alu instid0(VALU_DEP_3) | instskip(NEXT) | instid1(VALU_DEP_4)
	v_add_co_u32 v15, vcc_lo, v28, v18
	v_add_co_ci_u32_e32 v20, vcc_lo, v29, v19, vcc_lo
	v_add_co_u32 v6, vcc_lo, v33, v18
	v_add_co_ci_u32_e32 v14, vcc_lo, v34, v19, vcc_lo
	global_store_b64 v[24:25], v[22:23], off
	s_and_saveexec_b32 s0, s22
	s_cbranch_execz .LBB30_28
; %bb.25:                               ;   in Loop: Header=BB30_11 Depth=1
	s_and_b32 vcc_lo, exec_lo, s21
	s_cbranch_vccz .LBB30_31
; %bb.26:                               ;   in Loop: Header=BB30_11 Depth=1
	ds_load_b32 v21, v39
	v_add_co_u32 v18, vcc_lo, v15, v8
	v_add_co_ci_u32_e32 v19, vcc_lo, v20, v9, vcc_lo
	s_waitcnt lgkmcnt(0)
	global_store_b32 v[18:19], v21, off
	s_cbranch_execnz .LBB30_28
.LBB30_27:                              ;   in Loop: Header=BB30_11 Depth=1
	ds_load_b32 v21, v39
	v_lshlrev_b32_e32 v18, 2, v7
	s_delay_alu instid0(VALU_DEP_1)
	v_add_co_u32 v18, vcc_lo, v6, v18
	v_add_co_ci_u32_e32 v19, vcc_lo, 0, v14, vcc_lo
	s_waitcnt lgkmcnt(0)
	global_store_b32 v[18:19], v21, off
.LBB30_28:                              ;   in Loop: Header=BB30_11 Depth=1
	s_or_b32 exec_lo, exec_lo, s0
	v_mov_b32_e32 v18, 1
	v_mov_b32_e32 v19, 0
	s_and_saveexec_b32 s14, s23
	s_cbranch_execz .LBB30_9
; %bb.29:                               ;   in Loop: Header=BB30_11 Depth=1
	s_and_not1_b32 vcc_lo, exec_lo, s21
	s_cbranch_vccnz .LBB30_32
; %bb.30:                               ;   in Loop: Header=BB30_11 Depth=1
	ds_load_b32 v21, v39 offset:16
	v_add_co_u32 v18, vcc_lo, v15, v10
	v_add_co_ci_u32_e32 v19, vcc_lo, v20, v11, vcc_lo
	s_mov_b64 s[0:1], 1
	s_waitcnt lgkmcnt(0)
	global_store_b32 v[18:19], v21, off
	s_cbranch_execnz .LBB30_8
	s_branch .LBB30_33
.LBB30_31:                              ;   in Loop: Header=BB30_11 Depth=1
	s_branch .LBB30_27
.LBB30_32:                              ;   in Loop: Header=BB30_11 Depth=1
                                        ; implicit-def: $sgpr0_sgpr1
.LBB30_33:                              ;   in Loop: Header=BB30_11 Depth=1
	ds_load_b32 v15, v39 offset:16
	v_lshlrev_b32_e32 v18, 2, v7
	s_mov_b64 s[0:1], 1
	s_delay_alu instid0(VALU_DEP_1)
	v_add_co_u32 v18, vcc_lo, v6, v18
	v_add_co_ci_u32_e32 v19, vcc_lo, 0, v14, vcc_lo
	s_waitcnt lgkmcnt(0)
	global_store_b32 v[18:19], v15, off offset:16
	s_branch .LBB30_8
.LBB30_34:
	s_endpgm
	.section	.rodata,"a",@progbits
	.p2align	6, 0x0
	.amdhsa_kernel _ZN9rocsparseL42csr2bsr_wavefront_per_row_multipass_kernelILj256ELj32ELj8EillEEv20rocsparse_direction_T4_S2_S2_S2_S2_21rocsparse_index_base_PKT2_PKT3_PKS2_S3_PS4_PS7_PS2_
		.amdhsa_group_segment_fixed_size 2056
		.amdhsa_private_segment_fixed_size 0
		.amdhsa_kernarg_size 112
		.amdhsa_user_sgpr_count 15
		.amdhsa_user_sgpr_dispatch_ptr 0
		.amdhsa_user_sgpr_queue_ptr 0
		.amdhsa_user_sgpr_kernarg_segment_ptr 1
		.amdhsa_user_sgpr_dispatch_id 0
		.amdhsa_user_sgpr_private_segment_size 0
		.amdhsa_wavefront_size32 1
		.amdhsa_uses_dynamic_stack 0
		.amdhsa_enable_private_segment 0
		.amdhsa_system_sgpr_workgroup_id_x 1
		.amdhsa_system_sgpr_workgroup_id_y 0
		.amdhsa_system_sgpr_workgroup_id_z 0
		.amdhsa_system_sgpr_workgroup_info 0
		.amdhsa_system_vgpr_workitem_id 0
		.amdhsa_next_free_vgpr 51
		.amdhsa_next_free_sgpr 27
		.amdhsa_reserve_vcc 1
		.amdhsa_float_round_mode_32 0
		.amdhsa_float_round_mode_16_64 0
		.amdhsa_float_denorm_mode_32 3
		.amdhsa_float_denorm_mode_16_64 3
		.amdhsa_dx10_clamp 1
		.amdhsa_ieee_mode 1
		.amdhsa_fp16_overflow 0
		.amdhsa_workgroup_processor_mode 1
		.amdhsa_memory_ordered 1
		.amdhsa_forward_progress 0
		.amdhsa_shared_vgpr_count 0
		.amdhsa_exception_fp_ieee_invalid_op 0
		.amdhsa_exception_fp_denorm_src 0
		.amdhsa_exception_fp_ieee_div_zero 0
		.amdhsa_exception_fp_ieee_overflow 0
		.amdhsa_exception_fp_ieee_underflow 0
		.amdhsa_exception_fp_ieee_inexact 0
		.amdhsa_exception_int_div_zero 0
	.end_amdhsa_kernel
	.section	.text._ZN9rocsparseL42csr2bsr_wavefront_per_row_multipass_kernelILj256ELj32ELj8EillEEv20rocsparse_direction_T4_S2_S2_S2_S2_21rocsparse_index_base_PKT2_PKT3_PKS2_S3_PS4_PS7_PS2_,"axG",@progbits,_ZN9rocsparseL42csr2bsr_wavefront_per_row_multipass_kernelILj256ELj32ELj8EillEEv20rocsparse_direction_T4_S2_S2_S2_S2_21rocsparse_index_base_PKT2_PKT3_PKS2_S3_PS4_PS7_PS2_,comdat
.Lfunc_end30:
	.size	_ZN9rocsparseL42csr2bsr_wavefront_per_row_multipass_kernelILj256ELj32ELj8EillEEv20rocsparse_direction_T4_S2_S2_S2_S2_21rocsparse_index_base_PKT2_PKT3_PKS2_S3_PS4_PS7_PS2_, .Lfunc_end30-_ZN9rocsparseL42csr2bsr_wavefront_per_row_multipass_kernelILj256ELj32ELj8EillEEv20rocsparse_direction_T4_S2_S2_S2_S2_21rocsparse_index_base_PKT2_PKT3_PKS2_S3_PS4_PS7_PS2_
                                        ; -- End function
	.section	.AMDGPU.csdata,"",@progbits
; Kernel info:
; codeLenInByte = 2940
; NumSgprs: 29
; NumVgprs: 51
; ScratchSize: 0
; MemoryBound: 0
; FloatMode: 240
; IeeeMode: 1
; LDSByteSize: 2056 bytes/workgroup (compile time only)
; SGPRBlocks: 3
; VGPRBlocks: 6
; NumSGPRsForWavesPerEU: 29
; NumVGPRsForWavesPerEU: 51
; Occupancy: 16
; WaveLimiterHint : 0
; COMPUTE_PGM_RSRC2:SCRATCH_EN: 0
; COMPUTE_PGM_RSRC2:USER_SGPR: 15
; COMPUTE_PGM_RSRC2:TRAP_HANDLER: 0
; COMPUTE_PGM_RSRC2:TGID_X_EN: 1
; COMPUTE_PGM_RSRC2:TGID_Y_EN: 0
; COMPUTE_PGM_RSRC2:TGID_Z_EN: 0
; COMPUTE_PGM_RSRC2:TIDIG_COMP_CNT: 0
	.section	.text._ZN9rocsparseL42csr2bsr_wavefront_per_row_multipass_kernelILj256ELj64ELj16EillEEv20rocsparse_direction_T4_S2_S2_S2_S2_21rocsparse_index_base_PKT2_PKT3_PKS2_S3_PS4_PS7_PS2_,"axG",@progbits,_ZN9rocsparseL42csr2bsr_wavefront_per_row_multipass_kernelILj256ELj64ELj16EillEEv20rocsparse_direction_T4_S2_S2_S2_S2_21rocsparse_index_base_PKT2_PKT3_PKS2_S3_PS4_PS7_PS2_,comdat
	.globl	_ZN9rocsparseL42csr2bsr_wavefront_per_row_multipass_kernelILj256ELj64ELj16EillEEv20rocsparse_direction_T4_S2_S2_S2_S2_21rocsparse_index_base_PKT2_PKT3_PKS2_S3_PS4_PS7_PS2_ ; -- Begin function _ZN9rocsparseL42csr2bsr_wavefront_per_row_multipass_kernelILj256ELj64ELj16EillEEv20rocsparse_direction_T4_S2_S2_S2_S2_21rocsparse_index_base_PKT2_PKT3_PKS2_S3_PS4_PS7_PS2_
	.p2align	8
	.type	_ZN9rocsparseL42csr2bsr_wavefront_per_row_multipass_kernelILj256ELj64ELj16EillEEv20rocsparse_direction_T4_S2_S2_S2_S2_21rocsparse_index_base_PKT2_PKT3_PKS2_S3_PS4_PS7_PS2_,@function
_ZN9rocsparseL42csr2bsr_wavefront_per_row_multipass_kernelILj256ELj64ELj16EillEEv20rocsparse_direction_T4_S2_S2_S2_S2_21rocsparse_index_base_PKT2_PKT3_PKS2_S3_PS4_PS7_PS2_: ; @_ZN9rocsparseL42csr2bsr_wavefront_per_row_multipass_kernelILj256ELj64ELj16EillEEv20rocsparse_direction_T4_S2_S2_S2_S2_21rocsparse_index_base_PKT2_PKT3_PKS2_S3_PS4_PS7_PS2_
; %bb.0:
	s_load_b64 s[8:9], s[0:1], 0x28
	v_lshrrev_b32_e32 v31, 6, v0
	s_mov_b32 s10, s15
	s_ashr_i32 s11, s15, 31
	s_clause 0x1
	s_load_b64 s[14:15], s[0:1], 0x8
	s_load_b128 s[4:7], s[0:1], 0x18
	s_lshl_b64 s[2:3], s[10:11], 2
	v_mov_b32_e32 v7, 0
	v_or_b32_e32 v1, s2, v31
	v_bfe_u32 v6, v0, 2, 4
	s_clause 0x1
	s_load_b32 s16, s[0:1], 0x30
	s_load_b64 s[12:13], s[0:1], 0x40
	s_waitcnt lgkmcnt(0)
	v_mul_lo_u32 v2, v1, s9
	v_mad_u64_u32 v[3:4], null, v1, s8, v[6:7]
	s_mul_i32 s2, s3, s8
	s_delay_alu instid0(VALU_DEP_1) | instid1(SALU_CYCLE_1)
	v_add3_u32 v4, s2, v4, v2
	v_mov_b32_e32 v1, 0
	v_mov_b32_e32 v2, 0
	v_cmp_gt_i64_e64 s2, s[8:9], v[6:7]
	s_delay_alu instid0(VALU_DEP_4) | instskip(NEXT) | instid1(VALU_DEP_3)
	v_cmp_gt_i64_e32 vcc_lo, s[14:15], v[3:4]
	v_dual_mov_b32 v19, v2 :: v_dual_mov_b32 v18, v1
	s_delay_alu instid0(VALU_DEP_3) | instskip(NEXT) | instid1(SALU_CYCLE_1)
	s_and_b32 s3, s2, vcc_lo
	s_and_saveexec_b32 s11, s3
	s_cbranch_execz .LBB31_2
; %bb.1:
	v_lshlrev_b64 v[7:8], 3, v[3:4]
	s_delay_alu instid0(VALU_DEP_1) | instskip(NEXT) | instid1(VALU_DEP_2)
	v_add_co_u32 v7, vcc_lo, s12, v7
	v_add_co_ci_u32_e32 v8, vcc_lo, s13, v8, vcc_lo
	global_load_b64 v[7:8], v[7:8], off
	s_waitcnt vmcnt(0)
	v_sub_co_u32 v18, vcc_lo, v7, s16
	v_subrev_co_ci_u32_e32 v19, vcc_lo, 0, v8, vcc_lo
.LBB31_2:
	s_or_b32 exec_lo, exec_lo, s11
	s_and_saveexec_b32 s11, s3
	s_cbranch_execz .LBB31_4
; %bb.3:
	v_lshlrev_b64 v[1:2], 3, v[3:4]
	s_delay_alu instid0(VALU_DEP_1) | instskip(NEXT) | instid1(VALU_DEP_2)
	v_add_co_u32 v1, vcc_lo, s12, v1
	v_add_co_ci_u32_e32 v2, vcc_lo, s13, v2, vcc_lo
	global_load_b64 v[1:2], v[1:2], off offset:8
	s_waitcnt vmcnt(0)
	v_sub_co_u32 v1, vcc_lo, v1, s16
	v_subrev_co_ci_u32_e32 v2, vcc_lo, 0, v2, vcc_lo
.LBB31_4:
	s_or_b32 exec_lo, exec_lo, s11
	s_load_b32 s17, s[0:1], 0x50
	v_dual_mov_b32 v8, 0 :: v_dual_mov_b32 v3, 0
	v_lshl_or_b32 v7, s10, 2, v31
	v_mov_b32_e32 v4, 0
	s_mov_b32 s3, exec_lo
	s_delay_alu instid0(VALU_DEP_2)
	v_cmpx_gt_i64_e64 s[4:5], v[7:8]
	s_cbranch_execz .LBB31_6
; %bb.5:
	s_load_b64 s[4:5], s[0:1], 0x60
	v_lshlrev_b64 v[3:4], 3, v[7:8]
	s_waitcnt lgkmcnt(0)
	s_delay_alu instid0(VALU_DEP_1) | instskip(NEXT) | instid1(VALU_DEP_2)
	v_add_co_u32 v3, vcc_lo, s4, v3
	v_add_co_ci_u32_e32 v4, vcc_lo, s5, v4, vcc_lo
	global_load_b64 v[3:4], v[3:4], off
	s_waitcnt vmcnt(0)
	v_sub_co_u32 v3, vcc_lo, v3, s17
	v_subrev_co_ci_u32_e32 v4, vcc_lo, 0, v4, vcc_lo
.LBB31_6:
	s_or_b32 exec_lo, exec_lo, s3
	v_cmp_lt_i64_e64 s3, s[6:7], 1
	s_delay_alu instid0(VALU_DEP_1)
	s_and_b32 vcc_lo, exec_lo, s3
	s_cbranch_vccnz .LBB31_44
; %bb.7:
	s_clause 0x1
	s_load_b64 s[14:15], s[0:1], 0x58
	s_load_b64 s[4:5], s[0:1], 0x68
	v_mad_u64_u32 v[9:10], null, v6, s8, 0
	v_dual_mov_b32 v5, 0 :: v_dual_lshlrev_b32 v8, 2, v6
	v_mbcnt_lo_u32_b32 v12, -1, 0
	s_mul_i32 s3, s8, s9
	s_mul_hi_u32 s20, s8, s8
	s_clause 0x2
	s_load_b64 s[10:11], s[0:1], 0x48
	s_load_b64 s[12:13], s[0:1], 0x38
	s_load_b32 s0, s[0:1], 0x0
	s_add_i32 s1, s20, s3
	v_mov_b32_e32 v7, v10
	s_add_i32 s20, s1, s3
	v_lshl_or_b32 v36, v12, 2, 12
	v_dual_mov_b32 v14, v5 :: v_dual_mov_b32 v45, 1
	v_bfrev_b32_e32 v43, 0.5
	s_mul_i32 s18, s8, s8
	s_mov_b32 s19, 0
	v_mov_b32_e32 v21, v5
	s_waitcnt lgkmcnt(0)
	v_add_co_u32 v32, s1, s14, v8
	v_xor_b32_e32 v8, 2, v12
	v_add_co_ci_u32_e64 v33, null, s15, 0, s1
	s_delay_alu instid0(VALU_DEP_2)
	v_mad_u64_u32 v[10:11], null, v6, s9, v[7:8]
	v_xor_b32_e32 v11, 1, v12
	v_cmp_gt_i32_e32 vcc_lo, 32, v8
	v_and_b32_e32 v7, 3, v0
	v_lshlrev_b32_e32 v0, 8, v31
	s_cmp_lg_u32 s0, 0
	v_lshlrev_b64 v[9:10], 2, v[9:10]
	v_cndmask_b32_e32 v13, v12, v8, vcc_lo
	v_cmp_gt_i32_e32 vcc_lo, 32, v11
	v_lshl_or_b32 v0, v6, 4, v0
	v_or_b32_e32 v6, 32, v12
	v_mov_b32_e32 v8, v5
	v_or_b32_e32 v20, 12, v7
	v_cndmask_b32_e32 v11, v12, v11, vcc_lo
	v_add_co_u32 v37, vcc_lo, s14, v9
	v_add_co_ci_u32_e32 v38, vcc_lo, s15, v10, vcc_lo
	v_xor_b32_e32 v9, 16, v12
	v_cmp_gt_i32_e32 vcc_lo, 32, v6
	v_xor_b32_e32 v10, 8, v12
	v_mad_u64_u32 v[24:25], null, v20, s8, 0
	v_cmp_gt_u64_e64 s3, s[8:9], v[20:21]
	v_cndmask_b32_e32 v6, v12, v6, vcc_lo
	v_cmp_gt_i32_e32 vcc_lo, 32, v9
	s_cselect_b32 s21, -1, 0
	s_sub_i32 s26, 0, s8
	s_delay_alu instid0(VALU_DEP_2) | instskip(SKIP_4) | instid1(VALU_DEP_3)
	v_lshlrev_b32_e32 v39, 2, v6
	v_cndmask_b32_e32 v9, v12, v9, vcc_lo
	v_cmp_gt_i32_e32 vcc_lo, 32, v10
	v_or_b32_e32 v6, v0, v7
	s_and_b32 s25, s2, s3
	v_lshlrev_b32_e32 v40, 2, v9
	v_lshlrev_b32_e32 v34, 2, v13
	v_dual_cndmask_b32 v10, v12, v10 :: v_dual_lshlrev_b32 v35, 2, v11
	v_xor_b32_e32 v11, 4, v12
	v_or_b32_e32 v9, 4, v7
	v_lshlrev_b32_e32 v44, 2, v6
	v_or_b32_e32 v13, 8, v7
	s_delay_alu instid0(VALU_DEP_4) | instskip(NEXT) | instid1(VALU_DEP_4)
	v_cmp_gt_i32_e32 vcc_lo, 32, v11
	v_mad_u64_u32 v[15:16], null, v9, s8, 0
	s_delay_alu instid0(VALU_DEP_3)
	v_mad_u64_u32 v[22:23], null, v13, s8, 0
	v_cndmask_b32_e32 v11, v12, v11, vcc_lo
	v_lshlrev_b32_e32 v41, 2, v10
	v_cmp_gt_u64_e32 vcc_lo, s[8:9], v[7:8]
	v_cmp_gt_u64_e64 s1, s[8:9], v[13:14]
	v_mov_b32_e32 v8, v16
	v_lshlrev_b32_e32 v42, 2, v11
	v_mad_u64_u32 v[11:12], null, v7, s8, 0
	s_and_b32 s22, s2, vcc_lo
	s_delay_alu instid0(VALU_DEP_3) | instskip(SKIP_2) | instid1(VALU_DEP_3)
	v_mad_u64_u32 v[26:27], null, v9, s9, v[8:9]
	v_mov_b32_e32 v8, v25
	s_and_b32 s24, s2, s1
	v_mov_b32_e32 v6, v12
	s_delay_alu instid0(VALU_DEP_1) | instskip(SKIP_1) | instid1(VALU_DEP_1)
	v_mad_u64_u32 v[16:17], null, v7, s9, v[6:7]
	v_mov_b32_e32 v6, v23
	v_mad_u64_u32 v[27:28], null, v13, s9, v[6:7]
	v_mad_u64_u32 v[28:29], null, v20, s9, v[8:9]
	v_mov_b32_e32 v10, v5
	v_mov_b32_e32 v12, v16
	;; [unrolled: 1-line block ×3, first 2 shown]
	v_dual_mov_b32 v20, 0 :: v_dual_mov_b32 v23, v27
	s_delay_alu instid0(VALU_DEP_4)
	v_cmp_gt_u64_e64 s0, s[8:9], v[9:10]
	v_mov_b32_e32 v25, v28
	v_lshlrev_b64 v[8:9], 2, v[11:12]
	v_lshlrev_b64 v[10:11], 2, v[15:16]
	;; [unrolled: 1-line block ×3, first 2 shown]
	v_mov_b32_e32 v21, 0
	v_lshlrev_b64 v[14:15], 2, v[24:25]
	s_and_b32 s23, s2, s0
	s_ashr_i32 s2, s9, 31
	s_branch .LBB31_11
.LBB31_8:                               ;   in Loop: Header=BB31_11 Depth=1
	v_dual_mov_b32 v23, s1 :: v_dual_mov_b32 v22, s0
.LBB31_9:                               ;   in Loop: Header=BB31_11 Depth=1
	s_or_b32 exec_lo, exec_lo, s14
.LBB31_10:                              ;   in Loop: Header=BB31_11 Depth=1
	s_delay_alu instid0(SALU_CYCLE_1) | instskip(SKIP_3) | instid1(VALU_DEP_1)
	s_or_b32 exec_lo, exec_lo, s3
	ds_bpermute_b32 v20, v39, v16
	ds_bpermute_b32 v21, v39, v17
	v_add_co_u32 v3, s0, v22, v3
	v_add_co_ci_u32_e64 v4, s0, v23, v4, s0
	s_waitcnt lgkmcnt(0)
	s_waitcnt_vscnt null, 0x0
	buffer_gl0_inv
	buffer_gl0_inv
	v_cmp_lt_i64_e32 vcc_lo, v[20:21], v[16:17]
	v_dual_cndmask_b32 v17, v17, v21 :: v_dual_cndmask_b32 v16, v16, v20
	ds_bpermute_b32 v21, v40, v17
	ds_bpermute_b32 v20, v40, v16
	s_waitcnt lgkmcnt(0)
	v_cmp_lt_i64_e32 vcc_lo, v[20:21], v[16:17]
	v_dual_cndmask_b32 v17, v17, v21 :: v_dual_cndmask_b32 v16, v16, v20
	ds_bpermute_b32 v21, v41, v17
	ds_bpermute_b32 v20, v41, v16
	s_waitcnt lgkmcnt(0)
	;; [unrolled: 5-line block ×5, first 2 shown]
	v_cmp_lt_i64_e32 vcc_lo, v[20:21], v[16:17]
	v_cndmask_b32_e32 v6, v17, v21, vcc_lo
	v_cndmask_b32_e32 v16, v16, v20, vcc_lo
	ds_bpermute_b32 v21, v43, v6
	ds_bpermute_b32 v20, v43, v16
	s_waitcnt lgkmcnt(0)
	v_cmp_le_i64_e32 vcc_lo, s[6:7], v[20:21]
	s_or_b32 s19, vcc_lo, s19
	s_delay_alu instid0(SALU_CYCLE_1)
	s_and_not1_b32 exec_lo, exec_lo, s19
	s_cbranch_execz .LBB31_44
.LBB31_11:                              ; =>This Loop Header: Depth=1
                                        ;     Child Loop BB31_14 Depth 2
	v_add_co_u32 v18, vcc_lo, v18, v7
	v_add_co_ci_u32_e32 v19, vcc_lo, 0, v19, vcc_lo
	v_dual_mov_b32 v17, s7 :: v_dual_mov_b32 v16, s6
	v_dual_mov_b32 v30, v2 :: v_dual_mov_b32 v29, v1
	s_mov_b32 s1, exec_lo
	ds_store_b8 v31, v5 offset:4096
	ds_store_2addr_b32 v44, v5, v5 offset1:4
	ds_store_2addr_b32 v44, v5, v5 offset0:8 offset1:12
	s_waitcnt lgkmcnt(0)
	buffer_gl0_inv
	v_cmpx_lt_i64_e64 v[18:19], v[1:2]
	s_cbranch_execz .LBB31_23
; %bb.12:                               ;   in Loop: Header=BB31_11 Depth=1
	v_lshlrev_b64 v[16:17], 2, v[18:19]
	v_lshlrev_b64 v[25:26], 3, v[18:19]
	v_mad_u64_u32 v[22:23], null, v20, s8, 0
	v_dual_mov_b32 v28, v2 :: v_dual_mov_b32 v27, v1
	s_delay_alu instid0(VALU_DEP_4)
	v_add_co_u32 v23, vcc_lo, s12, v16
	v_add_co_ci_u32_e32 v24, vcc_lo, s13, v17, vcc_lo
	v_add_co_u32 v25, vcc_lo, s10, v25
	v_add_co_ci_u32_e32 v26, vcc_lo, s11, v26, vcc_lo
	v_dual_mov_b32 v17, s7 :: v_dual_mov_b32 v16, s6
	s_mov_b32 s27, 0
	s_branch .LBB31_14
.LBB31_13:                              ;   in Loop: Header=BB31_14 Depth=2
	s_or_b32 exec_lo, exec_lo, s0
	v_add_co_u32 v18, s0, v18, 4
	s_delay_alu instid0(VALU_DEP_1) | instskip(SKIP_2) | instid1(VALU_DEP_2)
	v_add_co_ci_u32_e64 v19, s0, 0, v19, s0
	s_xor_b32 s3, vcc_lo, -1
	v_add_co_u32 v23, vcc_lo, v23, 16
	v_cmp_ge_i64_e64 s0, v[18:19], v[1:2]
	v_add_co_ci_u32_e32 v24, vcc_lo, 0, v24, vcc_lo
	v_add_co_u32 v25, vcc_lo, v25, 32
	v_add_co_ci_u32_e32 v26, vcc_lo, 0, v26, vcc_lo
	s_delay_alu instid0(VALU_DEP_4) | instskip(SKIP_2) | instid1(SALU_CYCLE_1)
	s_or_b32 s0, s3, s0
	v_dual_mov_b32 v27, v29 :: v_dual_mov_b32 v28, v30
	s_and_b32 s0, exec_lo, s0
	s_or_b32 s27, s0, s27
	s_delay_alu instid0(SALU_CYCLE_1)
	s_and_not1_b32 exec_lo, exec_lo, s27
	s_cbranch_execz .LBB31_22
.LBB31_14:                              ;   Parent Loop BB31_11 Depth=1
                                        ; =>  This Inner Loop Header: Depth=2
	global_load_b64 v[29:30], v[25:26], off
	s_mov_b32 s0, exec_lo
	s_waitcnt vmcnt(0)
	v_sub_co_u32 v46, vcc_lo, v29, s16
	v_subrev_co_ci_u32_e32 v47, vcc_lo, 0, v30, vcc_lo
                                        ; implicit-def: $vgpr29_vgpr30
	s_delay_alu instid0(VALU_DEP_1) | instskip(NEXT) | instid1(VALU_DEP_1)
	v_or_b32_e32 v6, s9, v47
	v_cmpx_ne_u64_e32 0, v[5:6]
	s_xor_b32 s28, exec_lo, s0
	s_cbranch_execz .LBB31_16
; %bb.15:                               ;   in Loop: Header=BB31_14 Depth=2
	s_add_u32 s14, s8, s2
	s_mov_b32 s3, s2
	s_addc_u32 s15, s9, s2
	s_delay_alu instid0(SALU_CYCLE_1) | instskip(NEXT) | instid1(SALU_CYCLE_1)
	s_xor_b64 s[14:15], s[14:15], s[2:3]
	v_cvt_f32_u32_e32 v6, s14
	v_cvt_f32_u32_e32 v29, s15
	s_sub_u32 s0, 0, s14
	s_subb_u32 s3, 0, s15
	s_delay_alu instid0(VALU_DEP_1) | instskip(NEXT) | instid1(VALU_DEP_1)
	v_fmac_f32_e32 v6, 0x4f800000, v29
	v_rcp_f32_e32 v6, v6
	s_waitcnt_depctr 0xfff
	v_mul_f32_e32 v6, 0x5f7ffffc, v6
	s_delay_alu instid0(VALU_DEP_1) | instskip(NEXT) | instid1(VALU_DEP_1)
	v_mul_f32_e32 v29, 0x2f800000, v6
	v_trunc_f32_e32 v29, v29
	s_delay_alu instid0(VALU_DEP_1) | instskip(SKIP_1) | instid1(VALU_DEP_2)
	v_fmac_f32_e32 v6, 0xcf800000, v29
	v_cvt_u32_f32_e32 v29, v29
	v_cvt_u32_f32_e32 v6, v6
	s_delay_alu instid0(VALU_DEP_2) | instskip(NEXT) | instid1(VALU_DEP_2)
	v_mul_lo_u32 v30, s0, v29
	v_mul_hi_u32 v48, s0, v6
	v_mul_lo_u32 v49, s3, v6
	s_delay_alu instid0(VALU_DEP_2) | instskip(SKIP_1) | instid1(VALU_DEP_2)
	v_add_nc_u32_e32 v30, v48, v30
	v_mul_lo_u32 v48, s0, v6
	v_add_nc_u32_e32 v30, v30, v49
	s_delay_alu instid0(VALU_DEP_2) | instskip(NEXT) | instid1(VALU_DEP_2)
	v_mul_hi_u32 v49, v6, v48
	v_mul_lo_u32 v50, v6, v30
	v_mul_hi_u32 v51, v6, v30
	v_mul_hi_u32 v52, v29, v48
	v_mul_lo_u32 v48, v29, v48
	v_mul_hi_u32 v53, v29, v30
	v_mul_lo_u32 v30, v29, v30
	v_add_co_u32 v49, vcc_lo, v49, v50
	v_add_co_ci_u32_e32 v50, vcc_lo, 0, v51, vcc_lo
	s_delay_alu instid0(VALU_DEP_2) | instskip(NEXT) | instid1(VALU_DEP_2)
	v_add_co_u32 v48, vcc_lo, v49, v48
	v_add_co_ci_u32_e32 v48, vcc_lo, v50, v52, vcc_lo
	v_add_co_ci_u32_e32 v49, vcc_lo, 0, v53, vcc_lo
	v_ashrrev_i32_e32 v52, 31, v47
	s_delay_alu instid0(VALU_DEP_3) | instskip(NEXT) | instid1(VALU_DEP_3)
	v_add_co_u32 v30, vcc_lo, v48, v30
	v_add_co_ci_u32_e32 v48, vcc_lo, 0, v49, vcc_lo
	s_delay_alu instid0(VALU_DEP_2) | instskip(NEXT) | instid1(VALU_DEP_2)
	v_add_co_u32 v6, vcc_lo, v6, v30
	v_add_co_ci_u32_e32 v29, vcc_lo, v29, v48, vcc_lo
	s_delay_alu instid0(VALU_DEP_2) | instskip(SKIP_1) | instid1(VALU_DEP_3)
	v_mul_hi_u32 v30, s0, v6
	v_mul_lo_u32 v49, s3, v6
	v_mul_lo_u32 v48, s0, v29
	s_delay_alu instid0(VALU_DEP_1) | instskip(SKIP_1) | instid1(VALU_DEP_2)
	v_add_nc_u32_e32 v30, v30, v48
	v_mul_lo_u32 v48, s0, v6
	v_add_nc_u32_e32 v30, v30, v49
	s_delay_alu instid0(VALU_DEP_2) | instskip(NEXT) | instid1(VALU_DEP_2)
	v_mul_hi_u32 v49, v6, v48
	v_mul_lo_u32 v50, v6, v30
	v_mul_hi_u32 v51, v6, v30
	v_mul_hi_u32 v53, v29, v48
	v_mul_lo_u32 v48, v29, v48
	v_mul_hi_u32 v54, v29, v30
	v_mul_lo_u32 v30, v29, v30
	v_add_co_u32 v49, vcc_lo, v49, v50
	v_add_co_ci_u32_e32 v50, vcc_lo, 0, v51, vcc_lo
	s_delay_alu instid0(VALU_DEP_2) | instskip(NEXT) | instid1(VALU_DEP_2)
	v_add_co_u32 v48, vcc_lo, v49, v48
	v_add_co_ci_u32_e32 v48, vcc_lo, v50, v53, vcc_lo
	v_add_co_ci_u32_e32 v49, vcc_lo, 0, v54, vcc_lo
	v_add_co_u32 v50, vcc_lo, v46, v52
	v_add_co_ci_u32_e32 v47, vcc_lo, v47, v52, vcc_lo
	s_delay_alu instid0(VALU_DEP_4) | instskip(NEXT) | instid1(VALU_DEP_4)
	v_add_co_u32 v30, vcc_lo, v48, v30
	v_add_co_ci_u32_e32 v48, vcc_lo, 0, v49, vcc_lo
	s_delay_alu instid0(VALU_DEP_4) | instskip(NEXT) | instid1(VALU_DEP_3)
	v_xor_b32_e32 v51, v50, v52
	v_add_co_u32 v6, vcc_lo, v6, v30
	s_delay_alu instid0(VALU_DEP_3) | instskip(SKIP_1) | instid1(VALU_DEP_3)
	v_add_co_ci_u32_e32 v53, vcc_lo, v29, v48, vcc_lo
	v_xor_b32_e32 v54, v47, v52
	v_mul_hi_u32 v55, v51, v6
	s_delay_alu instid0(VALU_DEP_3) | instskip(NEXT) | instid1(VALU_DEP_3)
	v_mad_u64_u32 v[29:30], null, v51, v53, 0
	v_mad_u64_u32 v[47:48], null, v54, v6, 0
	;; [unrolled: 1-line block ×3, first 2 shown]
	s_delay_alu instid0(VALU_DEP_3) | instskip(NEXT) | instid1(VALU_DEP_4)
	v_add_co_u32 v6, vcc_lo, v55, v29
	v_add_co_ci_u32_e32 v29, vcc_lo, 0, v30, vcc_lo
	s_delay_alu instid0(VALU_DEP_2) | instskip(NEXT) | instid1(VALU_DEP_2)
	v_add_co_u32 v6, vcc_lo, v6, v47
	v_add_co_ci_u32_e32 v6, vcc_lo, v29, v48, vcc_lo
	v_add_co_ci_u32_e32 v29, vcc_lo, 0, v50, vcc_lo
	s_delay_alu instid0(VALU_DEP_2) | instskip(NEXT) | instid1(VALU_DEP_2)
	v_add_co_u32 v6, vcc_lo, v6, v49
	v_add_co_ci_u32_e32 v47, vcc_lo, 0, v29, vcc_lo
	s_delay_alu instid0(VALU_DEP_2) | instskip(SKIP_1) | instid1(VALU_DEP_3)
	v_mul_lo_u32 v48, s15, v6
	v_mad_u64_u32 v[29:30], null, s14, v6, 0
	v_mul_lo_u32 v49, s14, v47
	s_delay_alu instid0(VALU_DEP_2) | instskip(NEXT) | instid1(VALU_DEP_2)
	v_sub_co_u32 v29, vcc_lo, v51, v29
	v_add3_u32 v30, v30, v49, v48
	s_delay_alu instid0(VALU_DEP_1) | instskip(NEXT) | instid1(VALU_DEP_1)
	v_sub_nc_u32_e32 v48, v54, v30
	v_subrev_co_ci_u32_e64 v48, s0, s15, v48, vcc_lo
	v_add_co_u32 v49, s0, v6, 2
	s_delay_alu instid0(VALU_DEP_1) | instskip(SKIP_3) | instid1(VALU_DEP_3)
	v_add_co_ci_u32_e64 v50, s0, 0, v47, s0
	v_sub_co_u32 v51, s0, v29, s14
	v_sub_co_ci_u32_e32 v30, vcc_lo, v54, v30, vcc_lo
	v_subrev_co_ci_u32_e64 v48, s0, 0, v48, s0
	v_cmp_le_u32_e32 vcc_lo, s14, v51
	s_delay_alu instid0(VALU_DEP_3) | instskip(SKIP_1) | instid1(VALU_DEP_4)
	v_cmp_eq_u32_e64 s0, s15, v30
	v_cndmask_b32_e64 v51, 0, -1, vcc_lo
	v_cmp_le_u32_e32 vcc_lo, s15, v48
	v_cndmask_b32_e64 v53, 0, -1, vcc_lo
	v_cmp_le_u32_e32 vcc_lo, s14, v29
	;; [unrolled: 2-line block ×3, first 2 shown]
	v_cndmask_b32_e64 v54, 0, -1, vcc_lo
	v_cmp_eq_u32_e32 vcc_lo, s15, v48
	s_delay_alu instid0(VALU_DEP_2) | instskip(SKIP_3) | instid1(VALU_DEP_3)
	v_cndmask_b32_e64 v29, v54, v29, s0
	v_cndmask_b32_e32 v48, v53, v51, vcc_lo
	v_add_co_u32 v51, vcc_lo, v6, 1
	v_add_co_ci_u32_e32 v53, vcc_lo, 0, v47, vcc_lo
	v_cmp_ne_u32_e32 vcc_lo, 0, v48
	s_delay_alu instid0(VALU_DEP_2) | instskip(NEXT) | instid1(VALU_DEP_4)
	v_cndmask_b32_e32 v30, v53, v50, vcc_lo
	v_cndmask_b32_e32 v48, v51, v49, vcc_lo
	v_cmp_ne_u32_e32 vcc_lo, 0, v29
	v_xor_b32_e32 v49, s2, v52
	s_delay_alu instid0(VALU_DEP_3) | instskip(NEXT) | instid1(VALU_DEP_1)
	v_dual_cndmask_b32 v6, v6, v48 :: v_dual_cndmask_b32 v29, v47, v30
	v_xor_b32_e32 v6, v6, v49
	s_delay_alu instid0(VALU_DEP_2) | instskip(NEXT) | instid1(VALU_DEP_2)
	v_xor_b32_e32 v30, v29, v49
	v_sub_co_u32 v29, vcc_lo, v6, v49
	s_delay_alu instid0(VALU_DEP_2)
	v_sub_co_ci_u32_e32 v30, vcc_lo, v30, v49, vcc_lo
.LBB31_16:                              ;   in Loop: Header=BB31_14 Depth=2
	s_and_not1_saveexec_b32 s0, s28
	s_cbranch_execz .LBB31_18
; %bb.17:                               ;   in Loop: Header=BB31_14 Depth=2
	v_cvt_f32_u32_e32 v6, s8
	s_delay_alu instid0(VALU_DEP_1) | instskip(SKIP_2) | instid1(VALU_DEP_1)
	v_rcp_iflag_f32_e32 v6, v6
	s_waitcnt_depctr 0xfff
	v_mul_f32_e32 v6, 0x4f7ffffe, v6
	v_cvt_u32_f32_e32 v6, v6
	s_delay_alu instid0(VALU_DEP_1) | instskip(NEXT) | instid1(VALU_DEP_1)
	v_mul_lo_u32 v29, s26, v6
	v_mul_hi_u32 v29, v6, v29
	s_delay_alu instid0(VALU_DEP_1) | instskip(NEXT) | instid1(VALU_DEP_1)
	v_add_nc_u32_e32 v6, v6, v29
	v_mul_hi_u32 v6, v46, v6
	s_delay_alu instid0(VALU_DEP_1) | instskip(SKIP_1) | instid1(VALU_DEP_2)
	v_mul_lo_u32 v29, v6, s8
	v_add_nc_u32_e32 v30, 1, v6
	v_sub_nc_u32_e32 v29, v46, v29
	s_delay_alu instid0(VALU_DEP_1) | instskip(SKIP_1) | instid1(VALU_DEP_2)
	v_subrev_nc_u32_e32 v47, s8, v29
	v_cmp_le_u32_e32 vcc_lo, s8, v29
	v_dual_cndmask_b32 v29, v29, v47 :: v_dual_cndmask_b32 v6, v6, v30
	s_delay_alu instid0(VALU_DEP_1) | instskip(NEXT) | instid1(VALU_DEP_2)
	v_cmp_le_u32_e32 vcc_lo, s8, v29
	v_add_nc_u32_e32 v30, 1, v6
	s_delay_alu instid0(VALU_DEP_1)
	v_dual_cndmask_b32 v29, v6, v30 :: v_dual_mov_b32 v30, v5
.LBB31_18:                              ;   in Loop: Header=BB31_14 Depth=2
	s_or_b32 exec_lo, exec_lo, s0
	s_delay_alu instid0(VALU_DEP_1)
	v_cmp_eq_u64_e32 vcc_lo, v[29:30], v[20:21]
	s_mov_b32 s3, exec_lo
	v_cmpx_ne_u64_e64 v[29:30], v[20:21]
	s_xor_b32 s3, exec_lo, s3
; %bb.19:                               ;   in Loop: Header=BB31_14 Depth=2
	v_cmp_lt_i64_e64 s0, v[29:30], v[16:17]
                                        ; implicit-def: $vgpr46
                                        ; implicit-def: $vgpr27_vgpr28
	s_delay_alu instid0(VALU_DEP_1)
	v_cndmask_b32_e64 v17, v17, v30, s0
	v_cndmask_b32_e64 v16, v16, v29, s0
; %bb.20:                               ;   in Loop: Header=BB31_14 Depth=2
	s_or_saveexec_b32 s0, s3
	v_dual_mov_b32 v30, v19 :: v_dual_mov_b32 v29, v18
	s_xor_b32 exec_lo, exec_lo, s0
	s_cbranch_execz .LBB31_13
; %bb.21:                               ;   in Loop: Header=BB31_14 Depth=2
	global_load_b32 v6, v[23:24], off
	v_sub_nc_u32_e32 v29, v46, v22
	s_delay_alu instid0(VALU_DEP_1)
	v_add_lshl_u32 v46, v0, v29, 2
	v_dual_mov_b32 v30, v28 :: v_dual_mov_b32 v29, v27
	ds_store_b8 v31, v45 offset:4096
	s_waitcnt vmcnt(0)
	ds_store_b32 v46, v6
	s_branch .LBB31_13
.LBB31_22:                              ;   in Loop: Header=BB31_11 Depth=1
	s_or_b32 exec_lo, exec_lo, s27
.LBB31_23:                              ;   in Loop: Header=BB31_11 Depth=1
	s_delay_alu instid0(SALU_CYCLE_1)
	s_or_b32 exec_lo, exec_lo, s1
	ds_bpermute_b32 v18, v34, v29
	ds_bpermute_b32 v19, v34, v30
	s_waitcnt lgkmcnt(0)
	buffer_gl0_inv
	ds_load_u8 v6, v31 offset:4096
	s_mov_b32 s3, exec_lo
	v_cmp_lt_i64_e32 vcc_lo, v[18:19], v[29:30]
	s_waitcnt lgkmcnt(0)
	v_dual_cndmask_b32 v19, v30, v19 :: v_dual_and_b32 v6, 1, v6
	v_cndmask_b32_e32 v18, v29, v18, vcc_lo
	ds_bpermute_b32 v23, v35, v19
	ds_bpermute_b32 v22, v35, v18
	s_waitcnt lgkmcnt(0)
	v_cmp_lt_i64_e32 vcc_lo, v[22:23], v[18:19]
	v_dual_cndmask_b32 v19, v19, v23 :: v_dual_cndmask_b32 v18, v18, v22
	v_mov_b32_e32 v22, 0
	v_mov_b32_e32 v23, 0
	ds_bpermute_b32 v19, v36, v19
	ds_bpermute_b32 v18, v36, v18
	v_cmpx_eq_u32_e32 1, v6
	s_cbranch_execz .LBB31_10
; %bb.24:                               ;   in Loop: Header=BB31_11 Depth=1
	v_mul_lo_u32 v6, s20, v3
	v_mul_lo_u32 v26, s18, v4
	v_mad_u64_u32 v[22:23], null, s18, v3, 0
	v_lshlrev_b64 v[24:25], 3, v[3:4]
	s_delay_alu instid0(VALU_DEP_2) | instskip(SKIP_2) | instid1(VALU_DEP_3)
	v_add3_u32 v23, v23, v26, v6
	v_add_co_u32 v26, vcc_lo, v20, s17
	v_add_co_ci_u32_e32 v27, vcc_lo, 0, v21, vcc_lo
	v_lshlrev_b64 v[22:23], 2, v[22:23]
	v_add_co_u32 v28, vcc_lo, s4, v24
	v_add_co_ci_u32_e32 v29, vcc_lo, s5, v25, vcc_lo
	s_delay_alu instid0(VALU_DEP_3) | instskip(NEXT) | instid1(VALU_DEP_4)
	v_add_co_u32 v21, vcc_lo, v32, v22
	v_add_co_ci_u32_e32 v24, vcc_lo, v33, v23, vcc_lo
	v_add_co_u32 v6, vcc_lo, v37, v22
	v_add_co_ci_u32_e32 v20, vcc_lo, v38, v23, vcc_lo
	global_store_b64 v[28:29], v[26:27], off
	s_and_saveexec_b32 s0, s22
	s_cbranch_execz .LBB31_28
; %bb.25:                               ;   in Loop: Header=BB31_11 Depth=1
	s_and_b32 vcc_lo, exec_lo, s21
	s_cbranch_vccz .LBB31_39
; %bb.26:                               ;   in Loop: Header=BB31_11 Depth=1
	ds_load_b32 v25, v44
	v_add_co_u32 v22, vcc_lo, v21, v8
	v_add_co_ci_u32_e32 v23, vcc_lo, v24, v9, vcc_lo
	s_waitcnt lgkmcnt(0)
	global_store_b32 v[22:23], v25, off
	s_cbranch_execnz .LBB31_28
.LBB31_27:                              ;   in Loop: Header=BB31_11 Depth=1
	ds_load_b32 v25, v44
	v_lshlrev_b32_e32 v22, 2, v7
	s_delay_alu instid0(VALU_DEP_1)
	v_add_co_u32 v22, vcc_lo, v6, v22
	v_add_co_ci_u32_e32 v23, vcc_lo, 0, v20, vcc_lo
	s_waitcnt lgkmcnt(0)
	global_store_b32 v[22:23], v25, off
.LBB31_28:                              ;   in Loop: Header=BB31_11 Depth=1
	s_or_b32 exec_lo, exec_lo, s0
	s_and_saveexec_b32 s0, s23
	s_cbranch_execz .LBB31_32
; %bb.29:                               ;   in Loop: Header=BB31_11 Depth=1
	s_and_not1_b32 vcc_lo, exec_lo, s21
	s_cbranch_vccnz .LBB31_40
; %bb.30:                               ;   in Loop: Header=BB31_11 Depth=1
	ds_load_b32 v25, v44 offset:16
	v_add_co_u32 v22, vcc_lo, v21, v10
	v_add_co_ci_u32_e32 v23, vcc_lo, v24, v11, vcc_lo
	s_waitcnt lgkmcnt(0)
	global_store_b32 v[22:23], v25, off
	s_cbranch_execnz .LBB31_32
.LBB31_31:                              ;   in Loop: Header=BB31_11 Depth=1
	ds_load_b32 v25, v44 offset:16
	v_lshlrev_b32_e32 v22, 2, v7
	s_delay_alu instid0(VALU_DEP_1)
	v_add_co_u32 v22, vcc_lo, v6, v22
	v_add_co_ci_u32_e32 v23, vcc_lo, 0, v20, vcc_lo
	s_waitcnt lgkmcnt(0)
	global_store_b32 v[22:23], v25, off offset:16
.LBB31_32:                              ;   in Loop: Header=BB31_11 Depth=1
	s_or_b32 exec_lo, exec_lo, s0
	s_and_saveexec_b32 s0, s24
	s_cbranch_execz .LBB31_36
; %bb.33:                               ;   in Loop: Header=BB31_11 Depth=1
	s_and_not1_b32 vcc_lo, exec_lo, s21
	s_cbranch_vccnz .LBB31_41
; %bb.34:                               ;   in Loop: Header=BB31_11 Depth=1
	ds_load_b32 v25, v44 offset:32
	v_add_co_u32 v22, vcc_lo, v21, v12
	v_add_co_ci_u32_e32 v23, vcc_lo, v24, v13, vcc_lo
	s_waitcnt lgkmcnt(0)
	global_store_b32 v[22:23], v25, off
	s_cbranch_execnz .LBB31_36
.LBB31_35:                              ;   in Loop: Header=BB31_11 Depth=1
	ds_load_b32 v25, v44 offset:32
	v_lshlrev_b32_e32 v22, 2, v7
	s_delay_alu instid0(VALU_DEP_1)
	v_add_co_u32 v22, vcc_lo, v6, v22
	v_add_co_ci_u32_e32 v23, vcc_lo, 0, v20, vcc_lo
	s_waitcnt lgkmcnt(0)
	global_store_b32 v[22:23], v25, off offset:32
.LBB31_36:                              ;   in Loop: Header=BB31_11 Depth=1
	s_or_b32 exec_lo, exec_lo, s0
	v_mov_b32_e32 v22, 1
	v_mov_b32_e32 v23, 0
	s_and_saveexec_b32 s14, s25
	s_cbranch_execz .LBB31_9
; %bb.37:                               ;   in Loop: Header=BB31_11 Depth=1
	s_and_not1_b32 vcc_lo, exec_lo, s21
	s_cbranch_vccnz .LBB31_42
; %bb.38:                               ;   in Loop: Header=BB31_11 Depth=1
	ds_load_b32 v23, v44 offset:48
	v_add_co_u32 v21, vcc_lo, v21, v14
	v_add_co_ci_u32_e32 v22, vcc_lo, v24, v15, vcc_lo
	s_mov_b64 s[0:1], 1
	s_waitcnt lgkmcnt(0)
	global_store_b32 v[21:22], v23, off
	s_cbranch_execnz .LBB31_8
	s_branch .LBB31_43
.LBB31_39:                              ;   in Loop: Header=BB31_11 Depth=1
	s_branch .LBB31_27
.LBB31_40:                              ;   in Loop: Header=BB31_11 Depth=1
	s_branch .LBB31_31
.LBB31_41:                              ;   in Loop: Header=BB31_11 Depth=1
	s_branch .LBB31_35
.LBB31_42:                              ;   in Loop: Header=BB31_11 Depth=1
                                        ; implicit-def: $sgpr0_sgpr1
.LBB31_43:                              ;   in Loop: Header=BB31_11 Depth=1
	ds_load_b32 v23, v44 offset:48
	v_lshlrev_b32_e32 v21, 2, v7
	s_mov_b64 s[0:1], 1
	s_delay_alu instid0(VALU_DEP_1)
	v_add_co_u32 v21, vcc_lo, v6, v21
	v_add_co_ci_u32_e32 v22, vcc_lo, 0, v20, vcc_lo
	s_waitcnt lgkmcnt(0)
	global_store_b32 v[21:22], v23, off offset:48
	s_branch .LBB31_8
.LBB31_44:
	s_endpgm
	.section	.rodata,"a",@progbits
	.p2align	6, 0x0
	.amdhsa_kernel _ZN9rocsparseL42csr2bsr_wavefront_per_row_multipass_kernelILj256ELj64ELj16EillEEv20rocsparse_direction_T4_S2_S2_S2_S2_21rocsparse_index_base_PKT2_PKT3_PKS2_S3_PS4_PS7_PS2_
		.amdhsa_group_segment_fixed_size 4100
		.amdhsa_private_segment_fixed_size 0
		.amdhsa_kernarg_size 112
		.amdhsa_user_sgpr_count 15
		.amdhsa_user_sgpr_dispatch_ptr 0
		.amdhsa_user_sgpr_queue_ptr 0
		.amdhsa_user_sgpr_kernarg_segment_ptr 1
		.amdhsa_user_sgpr_dispatch_id 0
		.amdhsa_user_sgpr_private_segment_size 0
		.amdhsa_wavefront_size32 1
		.amdhsa_uses_dynamic_stack 0
		.amdhsa_enable_private_segment 0
		.amdhsa_system_sgpr_workgroup_id_x 1
		.amdhsa_system_sgpr_workgroup_id_y 0
		.amdhsa_system_sgpr_workgroup_id_z 0
		.amdhsa_system_sgpr_workgroup_info 0
		.amdhsa_system_vgpr_workitem_id 0
		.amdhsa_next_free_vgpr 56
		.amdhsa_next_free_sgpr 29
		.amdhsa_reserve_vcc 1
		.amdhsa_float_round_mode_32 0
		.amdhsa_float_round_mode_16_64 0
		.amdhsa_float_denorm_mode_32 3
		.amdhsa_float_denorm_mode_16_64 3
		.amdhsa_dx10_clamp 1
		.amdhsa_ieee_mode 1
		.amdhsa_fp16_overflow 0
		.amdhsa_workgroup_processor_mode 1
		.amdhsa_memory_ordered 1
		.amdhsa_forward_progress 0
		.amdhsa_shared_vgpr_count 0
		.amdhsa_exception_fp_ieee_invalid_op 0
		.amdhsa_exception_fp_denorm_src 0
		.amdhsa_exception_fp_ieee_div_zero 0
		.amdhsa_exception_fp_ieee_overflow 0
		.amdhsa_exception_fp_ieee_underflow 0
		.amdhsa_exception_fp_ieee_inexact 0
		.amdhsa_exception_int_div_zero 0
	.end_amdhsa_kernel
	.section	.text._ZN9rocsparseL42csr2bsr_wavefront_per_row_multipass_kernelILj256ELj64ELj16EillEEv20rocsparse_direction_T4_S2_S2_S2_S2_21rocsparse_index_base_PKT2_PKT3_PKS2_S3_PS4_PS7_PS2_,"axG",@progbits,_ZN9rocsparseL42csr2bsr_wavefront_per_row_multipass_kernelILj256ELj64ELj16EillEEv20rocsparse_direction_T4_S2_S2_S2_S2_21rocsparse_index_base_PKT2_PKT3_PKS2_S3_PS4_PS7_PS2_,comdat
.Lfunc_end31:
	.size	_ZN9rocsparseL42csr2bsr_wavefront_per_row_multipass_kernelILj256ELj64ELj16EillEEv20rocsparse_direction_T4_S2_S2_S2_S2_21rocsparse_index_base_PKT2_PKT3_PKS2_S3_PS4_PS7_PS2_, .Lfunc_end31-_ZN9rocsparseL42csr2bsr_wavefront_per_row_multipass_kernelILj256ELj64ELj16EillEEv20rocsparse_direction_T4_S2_S2_S2_S2_21rocsparse_index_base_PKT2_PKT3_PKS2_S3_PS4_PS7_PS2_
                                        ; -- End function
	.section	.AMDGPU.csdata,"",@progbits
; Kernel info:
; codeLenInByte = 3292
; NumSgprs: 31
; NumVgprs: 56
; ScratchSize: 0
; MemoryBound: 0
; FloatMode: 240
; IeeeMode: 1
; LDSByteSize: 4100 bytes/workgroup (compile time only)
; SGPRBlocks: 3
; VGPRBlocks: 6
; NumSGPRsForWavesPerEU: 31
; NumVGPRsForWavesPerEU: 56
; Occupancy: 16
; WaveLimiterHint : 0
; COMPUTE_PGM_RSRC2:SCRATCH_EN: 0
; COMPUTE_PGM_RSRC2:USER_SGPR: 15
; COMPUTE_PGM_RSRC2:TRAP_HANDLER: 0
; COMPUTE_PGM_RSRC2:TGID_X_EN: 1
; COMPUTE_PGM_RSRC2:TGID_Y_EN: 0
; COMPUTE_PGM_RSRC2:TGID_Z_EN: 0
; COMPUTE_PGM_RSRC2:TIDIG_COMP_CNT: 0
	.section	.text._ZN9rocsparseL42csr2bsr_wavefront_per_row_multipass_kernelILj256ELj32ELj16EillEEv20rocsparse_direction_T4_S2_S2_S2_S2_21rocsparse_index_base_PKT2_PKT3_PKS2_S3_PS4_PS7_PS2_,"axG",@progbits,_ZN9rocsparseL42csr2bsr_wavefront_per_row_multipass_kernelILj256ELj32ELj16EillEEv20rocsparse_direction_T4_S2_S2_S2_S2_21rocsparse_index_base_PKT2_PKT3_PKS2_S3_PS4_PS7_PS2_,comdat
	.globl	_ZN9rocsparseL42csr2bsr_wavefront_per_row_multipass_kernelILj256ELj32ELj16EillEEv20rocsparse_direction_T4_S2_S2_S2_S2_21rocsparse_index_base_PKT2_PKT3_PKS2_S3_PS4_PS7_PS2_ ; -- Begin function _ZN9rocsparseL42csr2bsr_wavefront_per_row_multipass_kernelILj256ELj32ELj16EillEEv20rocsparse_direction_T4_S2_S2_S2_S2_21rocsparse_index_base_PKT2_PKT3_PKS2_S3_PS4_PS7_PS2_
	.p2align	8
	.type	_ZN9rocsparseL42csr2bsr_wavefront_per_row_multipass_kernelILj256ELj32ELj16EillEEv20rocsparse_direction_T4_S2_S2_S2_S2_21rocsparse_index_base_PKT2_PKT3_PKS2_S3_PS4_PS7_PS2_,@function
_ZN9rocsparseL42csr2bsr_wavefront_per_row_multipass_kernelILj256ELj32ELj16EillEEv20rocsparse_direction_T4_S2_S2_S2_S2_21rocsparse_index_base_PKT2_PKT3_PKS2_S3_PS4_PS7_PS2_: ; @_ZN9rocsparseL42csr2bsr_wavefront_per_row_multipass_kernelILj256ELj32ELj16EillEEv20rocsparse_direction_T4_S2_S2_S2_S2_21rocsparse_index_base_PKT2_PKT3_PKS2_S3_PS4_PS7_PS2_
; %bb.0:
	s_load_b64 s[12:13], s[0:1], 0x28
	v_lshrrev_b32_e32 v39, 5, v0
	s_mov_b32 s4, s15
	s_ashr_i32 s5, s15, 31
	s_clause 0x1
	s_load_b64 s[14:15], s[0:1], 0x8
	s_load_b128 s[8:11], s[0:1], 0x18
	s_lshl_b64 s[2:3], s[4:5], 3
	v_mov_b32_e32 v7, 0
	v_or_b32_e32 v1, s2, v39
	v_bfe_u32 v6, v0, 1, 4
	s_clause 0x1
	s_load_b32 s18, s[0:1], 0x30
	s_load_b64 s[6:7], s[0:1], 0x40
	s_waitcnt lgkmcnt(0)
	v_mul_lo_u32 v2, v1, s13
	v_mad_u64_u32 v[3:4], null, v1, s12, v[6:7]
	s_mul_i32 s2, s3, s12
	s_delay_alu instid0(VALU_DEP_1) | instid1(SALU_CYCLE_1)
	v_add3_u32 v4, s2, v4, v2
	v_mov_b32_e32 v1, 0
	v_mov_b32_e32 v2, 0
	v_cmp_gt_i64_e64 s2, s[12:13], v[6:7]
	s_delay_alu instid0(VALU_DEP_4) | instskip(NEXT) | instid1(VALU_DEP_3)
	v_cmp_gt_i64_e32 vcc_lo, s[14:15], v[3:4]
	v_dual_mov_b32 v25, v2 :: v_dual_mov_b32 v24, v1
	s_delay_alu instid0(VALU_DEP_3) | instskip(NEXT) | instid1(SALU_CYCLE_1)
	s_and_b32 s3, s2, vcc_lo
	s_and_saveexec_b32 s5, s3
	s_cbranch_execz .LBB32_2
; %bb.1:
	v_lshlrev_b64 v[7:8], 3, v[3:4]
	s_delay_alu instid0(VALU_DEP_1) | instskip(NEXT) | instid1(VALU_DEP_2)
	v_add_co_u32 v7, vcc_lo, s6, v7
	v_add_co_ci_u32_e32 v8, vcc_lo, s7, v8, vcc_lo
	global_load_b64 v[7:8], v[7:8], off
	s_waitcnt vmcnt(0)
	v_sub_co_u32 v24, vcc_lo, v7, s18
	v_subrev_co_ci_u32_e32 v25, vcc_lo, 0, v8, vcc_lo
.LBB32_2:
	s_or_b32 exec_lo, exec_lo, s5
	s_and_saveexec_b32 s5, s3
	s_cbranch_execz .LBB32_4
; %bb.3:
	v_lshlrev_b64 v[1:2], 3, v[3:4]
	s_delay_alu instid0(VALU_DEP_1) | instskip(NEXT) | instid1(VALU_DEP_2)
	v_add_co_u32 v1, vcc_lo, s6, v1
	v_add_co_ci_u32_e32 v2, vcc_lo, s7, v2, vcc_lo
	global_load_b64 v[1:2], v[1:2], off offset:8
	s_waitcnt vmcnt(0)
	v_sub_co_u32 v1, vcc_lo, v1, s18
	v_subrev_co_ci_u32_e32 v2, vcc_lo, 0, v2, vcc_lo
.LBB32_4:
	s_or_b32 exec_lo, exec_lo, s5
	s_load_b32 s19, s[0:1], 0x50
	v_dual_mov_b32 v8, 0 :: v_dual_mov_b32 v3, 0
	v_lshl_or_b32 v7, s4, 3, v39
	v_mov_b32_e32 v4, 0
	s_mov_b32 s3, exec_lo
	s_delay_alu instid0(VALU_DEP_2)
	v_cmpx_gt_i64_e64 s[8:9], v[7:8]
	s_cbranch_execz .LBB32_6
; %bb.5:
	s_load_b64 s[4:5], s[0:1], 0x60
	v_lshlrev_b64 v[3:4], 3, v[7:8]
	s_waitcnt lgkmcnt(0)
	s_delay_alu instid0(VALU_DEP_1) | instskip(NEXT) | instid1(VALU_DEP_2)
	v_add_co_u32 v3, vcc_lo, s4, v3
	v_add_co_ci_u32_e32 v4, vcc_lo, s5, v4, vcc_lo
	global_load_b64 v[3:4], v[3:4], off
	s_waitcnt vmcnt(0)
	v_sub_co_u32 v3, vcc_lo, v3, s19
	v_subrev_co_ci_u32_e32 v4, vcc_lo, 0, v4, vcc_lo
.LBB32_6:
	s_or_b32 exec_lo, exec_lo, s3
	v_cmp_lt_i64_e64 s3, s[10:11], 1
	s_delay_alu instid0(VALU_DEP_1)
	s_and_b32 vcc_lo, exec_lo, s3
	s_cbranch_vccnz .LBB32_64
; %bb.7:
	s_clause 0x1
	s_load_b64 s[4:5], s[0:1], 0x58
	s_load_b64 s[8:9], s[0:1], 0x68
	v_mad_u64_u32 v[9:10], null, v6, s12, 0
	v_lshlrev_b32_e32 v8, 2, v6
	v_mbcnt_lo_u32_b32 v12, -1, 0
	s_clause 0x2
	s_load_b64 s[14:15], s[0:1], 0x48
	s_load_b64 s[16:17], s[0:1], 0x38
	s_load_b32 s0, s[0:1], 0x0
	v_mov_b32_e32 v5, 0
	s_mul_i32 s3, s12, s13
	s_mul_hi_u32 s6, s12, s12
	v_mov_b32_e32 v7, v10
	v_xor_b32_e32 v13, 1, v12
	s_add_i32 s6, s6, s3
	v_lshl_or_b32 v43, v12, 2, 4
	s_add_i32 s20, s6, s3
	v_mad_u64_u32 v[10:11], null, v6, s13, v[7:8]
	v_cmp_gt_i32_e32 vcc_lo, 32, v13
	v_and_b32_e32 v7, 1, v0
	s_mul_i32 s21, s12, s12
	s_waitcnt lgkmcnt(0)
	v_add_co_u32 v40, s1, s4, v8
	v_lshlrev_b32_e32 v8, 8, v39
	v_lshlrev_b64 v[9:10], 2, v[9:10]
	v_dual_cndmask_b32 v11, v12, v13 :: v_dual_mov_b32 v16, v5
	s_cmp_lg_u32 s0, 0
	s_delay_alu instid0(VALU_DEP_3) | instskip(SKIP_1) | instid1(VALU_DEP_4)
	v_lshl_or_b32 v0, v6, 4, v8
	v_xor_b32_e32 v6, 16, v12
	v_add_co_u32 v44, vcc_lo, s4, v9
	v_add_co_ci_u32_e32 v45, vcc_lo, s5, v10, vcc_lo
	v_xor_b32_e32 v9, 8, v12
	s_delay_alu instid0(VALU_DEP_4)
	v_cmp_gt_i32_e32 vcc_lo, 32, v6
	v_xor_b32_e32 v10, 4, v12
	v_mov_b32_e32 v8, v5
	v_add_co_ci_u32_e64 v41, null, s5, 0, s1
	v_cndmask_b32_e32 v6, v12, v6, vcc_lo
	v_cmp_gt_i32_e32 vcc_lo, 32, v9
	v_lshlrev_b32_e32 v42, 2, v11
	v_xor_b32_e32 v11, 2, v12
	v_or_b32_e32 v15, 6, v7
	v_mul_lo_u32 v22, v7, s13
	v_cndmask_b32_e32 v9, v12, v9, vcc_lo
	v_cmp_gt_i32_e32 vcc_lo, 32, v10
	v_mul_lo_u32 v21, v7, s12
	v_mad_u64_u32 v[19:20], null, v15, s12, 0
	s_delay_alu instid0(VALU_DEP_4)
	v_dual_cndmask_b32 v10, v12, v10 :: v_dual_lshlrev_b32 v47, 2, v9
	v_cmp_gt_i32_e32 vcc_lo, 32, v11
	v_or_b32_e32 v9, 2, v7
	v_lshlrev_b32_e32 v46, 2, v6
	v_or_b32_e32 v6, v0, v7
	v_dual_cndmask_b32 v11, v12, v11 :: v_dual_lshlrev_b32 v48, 2, v10
	s_delay_alu instid0(VALU_DEP_4) | instskip(NEXT) | instid1(VALU_DEP_3)
	v_mad_u64_u32 v[13:14], null, v9, s12, 0
	v_lshlrev_b32_e32 v51, 2, v6
	v_cmp_gt_u64_e32 vcc_lo, s[12:13], v[7:8]
	s_delay_alu instid0(VALU_DEP_4)
	v_dual_mov_b32 v50, 0x7c :: v_dual_lshlrev_b32 v49, 2, v11
	v_or_b32_e32 v11, 4, v7
	v_mov_b32_e32 v10, v5
	v_mov_b32_e32 v6, v14
	v_cmp_gt_u64_e64 s3, s[12:13], v[15:16]
	s_mov_b32 s22, 0
	v_mad_u64_u32 v[17:18], null, v11, s12, 0
	s_delay_alu instid0(VALU_DEP_3)
	v_mad_u64_u32 v[26:27], null, v9, s13, v[6:7]
	v_mov_b32_e32 v6, v20
	v_cmp_gt_u64_e64 s0, s[12:13], v[9:10]
	v_or_b32_e32 v10, 10, v7
	s_cselect_b32 s23, -1, 0
	v_mov_b32_e32 v8, v18
	s_and_b32 s24, s2, vcc_lo
	v_mov_b32_e32 v14, v26
	v_mad_u64_u32 v[30:31], null, v10, s12, 0
	s_delay_alu instid0(VALU_DEP_3)
	v_mad_u64_u32 v[27:28], null, v11, s13, v[8:9]
	v_mad_u64_u32 v[28:29], null, v15, s13, v[6:7]
	v_or_b32_e32 v8, 8, v7
	v_or_b32_e32 v15, 12, v7
	v_mov_b32_e32 v9, v5
	v_dual_mov_b32 v29, v5 :: v_dual_mov_b32 v18, v27
	s_delay_alu instid0(VALU_DEP_4)
	v_mad_u64_u32 v[26:27], null, v8, s12, 0
	v_mov_b32_e32 v20, v28
	v_or_b32_e32 v28, 14, v7
	v_mad_u64_u32 v[32:33], null, v15, s12, 0
	v_cmp_gt_u64_e64 s4, s[12:13], v[8:9]
	v_mov_b32_e32 v9, v31
	s_delay_alu instid0(VALU_DEP_4)
	v_mad_u64_u32 v[34:35], null, v28, s12, 0
	v_mov_b32_e32 v6, v27
	v_cmp_gt_u64_e64 s7, s[12:13], v[28:29]
	s_and_b32 s25, s2, s0
	s_and_b32 s27, s2, s3
	;; [unrolled: 1-line block ×3, first 2 shown]
	v_mad_u64_u32 v[36:37], null, v8, s13, v[6:7]
	v_mov_b32_e32 v6, v33
	v_mov_b32_e32 v8, v35
	v_mad_u64_u32 v[37:38], null, v10, s13, v[9:10]
	v_mov_b32_e32 v12, v5
	s_delay_alu instid0(VALU_DEP_4) | instskip(SKIP_2) | instid1(VALU_DEP_4)
	v_mad_u64_u32 v[52:53], null, v15, s13, v[6:7]
	v_mov_b32_e32 v27, v36
	v_mad_u64_u32 v[53:54], null, v28, s13, v[8:9]
	v_cmp_gt_u64_e64 s1, s[12:13], v[11:12]
	v_mov_b32_e32 v11, v5
	v_mov_b32_e32 v31, v37
	;; [unrolled: 1-line block ×3, first 2 shown]
	v_cmp_gt_u64_e64 s6, s[12:13], v[15:16]
	v_dual_mov_b32 v28, 0 :: v_dual_mov_b32 v35, v53
	v_cmp_gt_u64_e64 s5, s[12:13], v[10:11]
	v_mov_b32_e32 v29, 0
	v_lshlrev_b64 v[8:9], 2, v[21:22]
	v_lshlrev_b64 v[10:11], 2, v[13:14]
	;; [unrolled: 1-line block ×8, first 2 shown]
	v_mov_b32_e32 v52, 1
	s_and_b32 s26, s2, s1
	s_and_b32 s29, s2, s5
	;; [unrolled: 1-line block ×4, first 2 shown]
	s_ashr_i32 s2, s13, 31
	s_sub_i32 s30, 0, s12
	s_branch .LBB32_11
.LBB32_8:                               ;   in Loop: Header=BB32_11 Depth=1
	v_dual_mov_b32 v31, s1 :: v_dual_mov_b32 v30, s0
.LBB32_9:                               ;   in Loop: Header=BB32_11 Depth=1
	s_or_b32 exec_lo, exec_lo, s4
.LBB32_10:                              ;   in Loop: Header=BB32_11 Depth=1
	s_delay_alu instid0(SALU_CYCLE_1) | instskip(SKIP_3) | instid1(VALU_DEP_1)
	s_or_b32 exec_lo, exec_lo, s3
	ds_bpermute_b32 v28, v46, v26
	ds_bpermute_b32 v29, v46, v27
	v_add_co_u32 v3, s0, v30, v3
	v_add_co_ci_u32_e64 v4, s0, v31, v4, s0
	s_waitcnt lgkmcnt(0)
	s_waitcnt_vscnt null, 0x0
	buffer_gl0_inv
	buffer_gl0_inv
	v_cmp_lt_i64_e32 vcc_lo, v[28:29], v[26:27]
	v_dual_cndmask_b32 v27, v27, v29 :: v_dual_cndmask_b32 v26, v26, v28
	ds_bpermute_b32 v29, v47, v27
	ds_bpermute_b32 v28, v47, v26
	s_waitcnt lgkmcnt(0)
	v_cmp_lt_i64_e32 vcc_lo, v[28:29], v[26:27]
	v_dual_cndmask_b32 v27, v27, v29 :: v_dual_cndmask_b32 v26, v26, v28
	ds_bpermute_b32 v29, v48, v27
	ds_bpermute_b32 v28, v48, v26
	s_waitcnt lgkmcnt(0)
	;; [unrolled: 5-line block ×4, first 2 shown]
	v_cmp_lt_i64_e32 vcc_lo, v[28:29], v[26:27]
	v_cndmask_b32_e32 v6, v27, v29, vcc_lo
	v_cndmask_b32_e32 v26, v26, v28, vcc_lo
	ds_bpermute_b32 v29, v50, v6
	ds_bpermute_b32 v28, v50, v26
	s_waitcnt lgkmcnt(0)
	v_cmp_le_i64_e32 vcc_lo, s[10:11], v[28:29]
	s_or_b32 s22, vcc_lo, s22
	s_delay_alu instid0(SALU_CYCLE_1)
	s_and_not1_b32 exec_lo, exec_lo, s22
	s_cbranch_execz .LBB32_64
.LBB32_11:                              ; =>This Loop Header: Depth=1
                                        ;     Child Loop BB32_14 Depth 2
	v_add_co_u32 v24, vcc_lo, v24, v7
	v_add_co_ci_u32_e32 v25, vcc_lo, 0, v25, vcc_lo
	v_dual_mov_b32 v27, s11 :: v_dual_mov_b32 v26, s10
	v_dual_mov_b32 v38, v2 :: v_dual_mov_b32 v37, v1
	s_mov_b32 s1, exec_lo
	ds_store_b8 v39, v5 offset:8192
	ds_store_2addr_b32 v51, v5, v5 offset1:2
	ds_store_2addr_b32 v51, v5, v5 offset0:4 offset1:6
	ds_store_2addr_b32 v51, v5, v5 offset0:8 offset1:10
	ds_store_2addr_b32 v51, v5, v5 offset0:12 offset1:14
	s_waitcnt lgkmcnt(0)
	buffer_gl0_inv
	v_cmpx_lt_i64_e64 v[24:25], v[1:2]
	s_cbranch_execz .LBB32_23
; %bb.12:                               ;   in Loop: Header=BB32_11 Depth=1
	v_lshlrev_b64 v[26:27], 2, v[24:25]
	v_lshlrev_b64 v[33:34], 3, v[24:25]
	v_mad_u64_u32 v[30:31], null, v28, s12, 0
	v_dual_mov_b32 v36, v2 :: v_dual_mov_b32 v35, v1
	s_delay_alu instid0(VALU_DEP_4)
	v_add_co_u32 v31, vcc_lo, s16, v26
	v_add_co_ci_u32_e32 v32, vcc_lo, s17, v27, vcc_lo
	v_add_co_u32 v33, vcc_lo, s14, v33
	v_add_co_ci_u32_e32 v34, vcc_lo, s15, v34, vcc_lo
	v_dual_mov_b32 v27, s11 :: v_dual_mov_b32 v26, s10
	s_mov_b32 s31, 0
	s_branch .LBB32_14
.LBB32_13:                              ;   in Loop: Header=BB32_14 Depth=2
	s_or_b32 exec_lo, exec_lo, s0
	v_add_co_u32 v24, s0, v24, 2
	s_delay_alu instid0(VALU_DEP_1) | instskip(SKIP_2) | instid1(VALU_DEP_2)
	v_add_co_ci_u32_e64 v25, s0, 0, v25, s0
	s_xor_b32 s3, vcc_lo, -1
	v_add_co_u32 v31, vcc_lo, v31, 8
	v_cmp_ge_i64_e64 s0, v[24:25], v[1:2]
	v_add_co_ci_u32_e32 v32, vcc_lo, 0, v32, vcc_lo
	v_add_co_u32 v33, vcc_lo, v33, 16
	v_add_co_ci_u32_e32 v34, vcc_lo, 0, v34, vcc_lo
	s_delay_alu instid0(VALU_DEP_4) | instskip(SKIP_2) | instid1(SALU_CYCLE_1)
	s_or_b32 s0, s3, s0
	v_dual_mov_b32 v35, v37 :: v_dual_mov_b32 v36, v38
	s_and_b32 s0, exec_lo, s0
	s_or_b32 s31, s0, s31
	s_delay_alu instid0(SALU_CYCLE_1)
	s_and_not1_b32 exec_lo, exec_lo, s31
	s_cbranch_execz .LBB32_22
.LBB32_14:                              ;   Parent Loop BB32_11 Depth=1
                                        ; =>  This Inner Loop Header: Depth=2
	global_load_b64 v[37:38], v[33:34], off
	s_mov_b32 s0, exec_lo
	s_waitcnt vmcnt(0)
	v_sub_co_u32 v53, vcc_lo, v37, s18
	v_subrev_co_ci_u32_e32 v54, vcc_lo, 0, v38, vcc_lo
                                        ; implicit-def: $vgpr37_vgpr38
	s_delay_alu instid0(VALU_DEP_1) | instskip(NEXT) | instid1(VALU_DEP_1)
	v_or_b32_e32 v6, s13, v54
	v_cmpx_ne_u64_e32 0, v[5:6]
	s_xor_b32 s33, exec_lo, s0
	s_cbranch_execz .LBB32_16
; %bb.15:                               ;   in Loop: Header=BB32_14 Depth=2
	s_add_u32 s4, s12, s2
	s_mov_b32 s3, s2
	s_addc_u32 s5, s13, s2
	s_delay_alu instid0(SALU_CYCLE_1) | instskip(NEXT) | instid1(SALU_CYCLE_1)
	s_xor_b64 s[4:5], s[4:5], s[2:3]
	v_cvt_f32_u32_e32 v6, s4
	v_cvt_f32_u32_e32 v37, s5
	s_sub_u32 s0, 0, s4
	s_subb_u32 s3, 0, s5
	s_delay_alu instid0(VALU_DEP_1) | instskip(NEXT) | instid1(VALU_DEP_1)
	v_fmac_f32_e32 v6, 0x4f800000, v37
	v_rcp_f32_e32 v6, v6
	s_waitcnt_depctr 0xfff
	v_mul_f32_e32 v6, 0x5f7ffffc, v6
	s_delay_alu instid0(VALU_DEP_1) | instskip(NEXT) | instid1(VALU_DEP_1)
	v_mul_f32_e32 v37, 0x2f800000, v6
	v_trunc_f32_e32 v37, v37
	s_delay_alu instid0(VALU_DEP_1) | instskip(SKIP_1) | instid1(VALU_DEP_2)
	v_fmac_f32_e32 v6, 0xcf800000, v37
	v_cvt_u32_f32_e32 v37, v37
	v_cvt_u32_f32_e32 v6, v6
	s_delay_alu instid0(VALU_DEP_2) | instskip(NEXT) | instid1(VALU_DEP_2)
	v_mul_lo_u32 v38, s0, v37
	v_mul_hi_u32 v55, s0, v6
	v_mul_lo_u32 v56, s3, v6
	s_delay_alu instid0(VALU_DEP_2) | instskip(SKIP_1) | instid1(VALU_DEP_2)
	v_add_nc_u32_e32 v38, v55, v38
	v_mul_lo_u32 v55, s0, v6
	v_add_nc_u32_e32 v38, v38, v56
	s_delay_alu instid0(VALU_DEP_2) | instskip(NEXT) | instid1(VALU_DEP_2)
	v_mul_hi_u32 v56, v6, v55
	v_mul_lo_u32 v57, v6, v38
	v_mul_hi_u32 v58, v6, v38
	v_mul_hi_u32 v59, v37, v55
	v_mul_lo_u32 v55, v37, v55
	v_mul_hi_u32 v60, v37, v38
	v_mul_lo_u32 v38, v37, v38
	v_add_co_u32 v56, vcc_lo, v56, v57
	v_add_co_ci_u32_e32 v57, vcc_lo, 0, v58, vcc_lo
	s_delay_alu instid0(VALU_DEP_2) | instskip(NEXT) | instid1(VALU_DEP_2)
	v_add_co_u32 v55, vcc_lo, v56, v55
	v_add_co_ci_u32_e32 v55, vcc_lo, v57, v59, vcc_lo
	v_add_co_ci_u32_e32 v56, vcc_lo, 0, v60, vcc_lo
	v_ashrrev_i32_e32 v59, 31, v54
	s_delay_alu instid0(VALU_DEP_3) | instskip(NEXT) | instid1(VALU_DEP_3)
	v_add_co_u32 v38, vcc_lo, v55, v38
	v_add_co_ci_u32_e32 v55, vcc_lo, 0, v56, vcc_lo
	s_delay_alu instid0(VALU_DEP_2) | instskip(NEXT) | instid1(VALU_DEP_2)
	v_add_co_u32 v6, vcc_lo, v6, v38
	v_add_co_ci_u32_e32 v37, vcc_lo, v37, v55, vcc_lo
	s_delay_alu instid0(VALU_DEP_2) | instskip(SKIP_1) | instid1(VALU_DEP_3)
	v_mul_hi_u32 v38, s0, v6
	v_mul_lo_u32 v56, s3, v6
	v_mul_lo_u32 v55, s0, v37
	s_delay_alu instid0(VALU_DEP_1) | instskip(SKIP_1) | instid1(VALU_DEP_2)
	v_add_nc_u32_e32 v38, v38, v55
	v_mul_lo_u32 v55, s0, v6
	v_add_nc_u32_e32 v38, v38, v56
	s_delay_alu instid0(VALU_DEP_2) | instskip(NEXT) | instid1(VALU_DEP_2)
	v_mul_hi_u32 v56, v6, v55
	v_mul_lo_u32 v57, v6, v38
	v_mul_hi_u32 v58, v6, v38
	v_mul_hi_u32 v60, v37, v55
	v_mul_lo_u32 v55, v37, v55
	v_mul_hi_u32 v61, v37, v38
	v_mul_lo_u32 v38, v37, v38
	v_add_co_u32 v56, vcc_lo, v56, v57
	v_add_co_ci_u32_e32 v57, vcc_lo, 0, v58, vcc_lo
	s_delay_alu instid0(VALU_DEP_2) | instskip(NEXT) | instid1(VALU_DEP_2)
	v_add_co_u32 v55, vcc_lo, v56, v55
	v_add_co_ci_u32_e32 v55, vcc_lo, v57, v60, vcc_lo
	v_add_co_ci_u32_e32 v56, vcc_lo, 0, v61, vcc_lo
	v_add_co_u32 v57, vcc_lo, v53, v59
	v_add_co_ci_u32_e32 v54, vcc_lo, v54, v59, vcc_lo
	s_delay_alu instid0(VALU_DEP_4) | instskip(NEXT) | instid1(VALU_DEP_4)
	v_add_co_u32 v38, vcc_lo, v55, v38
	v_add_co_ci_u32_e32 v55, vcc_lo, 0, v56, vcc_lo
	s_delay_alu instid0(VALU_DEP_4) | instskip(NEXT) | instid1(VALU_DEP_3)
	v_xor_b32_e32 v58, v57, v59
	v_add_co_u32 v6, vcc_lo, v6, v38
	s_delay_alu instid0(VALU_DEP_3) | instskip(SKIP_1) | instid1(VALU_DEP_3)
	v_add_co_ci_u32_e32 v60, vcc_lo, v37, v55, vcc_lo
	v_xor_b32_e32 v61, v54, v59
	v_mul_hi_u32 v62, v58, v6
	s_delay_alu instid0(VALU_DEP_3) | instskip(NEXT) | instid1(VALU_DEP_3)
	v_mad_u64_u32 v[37:38], null, v58, v60, 0
	v_mad_u64_u32 v[54:55], null, v61, v6, 0
	;; [unrolled: 1-line block ×3, first 2 shown]
	s_delay_alu instid0(VALU_DEP_3) | instskip(NEXT) | instid1(VALU_DEP_4)
	v_add_co_u32 v6, vcc_lo, v62, v37
	v_add_co_ci_u32_e32 v37, vcc_lo, 0, v38, vcc_lo
	s_delay_alu instid0(VALU_DEP_2) | instskip(NEXT) | instid1(VALU_DEP_2)
	v_add_co_u32 v6, vcc_lo, v6, v54
	v_add_co_ci_u32_e32 v6, vcc_lo, v37, v55, vcc_lo
	v_add_co_ci_u32_e32 v37, vcc_lo, 0, v57, vcc_lo
	s_delay_alu instid0(VALU_DEP_2) | instskip(NEXT) | instid1(VALU_DEP_2)
	v_add_co_u32 v6, vcc_lo, v6, v56
	v_add_co_ci_u32_e32 v54, vcc_lo, 0, v37, vcc_lo
	s_delay_alu instid0(VALU_DEP_2) | instskip(SKIP_1) | instid1(VALU_DEP_3)
	v_mul_lo_u32 v55, s5, v6
	v_mad_u64_u32 v[37:38], null, s4, v6, 0
	v_mul_lo_u32 v56, s4, v54
	s_delay_alu instid0(VALU_DEP_2) | instskip(NEXT) | instid1(VALU_DEP_2)
	v_sub_co_u32 v37, vcc_lo, v58, v37
	v_add3_u32 v38, v38, v56, v55
	s_delay_alu instid0(VALU_DEP_1) | instskip(NEXT) | instid1(VALU_DEP_1)
	v_sub_nc_u32_e32 v55, v61, v38
	v_subrev_co_ci_u32_e64 v55, s0, s5, v55, vcc_lo
	v_add_co_u32 v56, s0, v6, 2
	s_delay_alu instid0(VALU_DEP_1) | instskip(SKIP_3) | instid1(VALU_DEP_3)
	v_add_co_ci_u32_e64 v57, s0, 0, v54, s0
	v_sub_co_u32 v58, s0, v37, s4
	v_sub_co_ci_u32_e32 v38, vcc_lo, v61, v38, vcc_lo
	v_subrev_co_ci_u32_e64 v55, s0, 0, v55, s0
	v_cmp_le_u32_e32 vcc_lo, s4, v58
	s_delay_alu instid0(VALU_DEP_3) | instskip(SKIP_1) | instid1(VALU_DEP_4)
	v_cmp_eq_u32_e64 s0, s5, v38
	v_cndmask_b32_e64 v58, 0, -1, vcc_lo
	v_cmp_le_u32_e32 vcc_lo, s5, v55
	v_cndmask_b32_e64 v60, 0, -1, vcc_lo
	v_cmp_le_u32_e32 vcc_lo, s4, v37
	v_cndmask_b32_e64 v37, 0, -1, vcc_lo
	v_cmp_le_u32_e32 vcc_lo, s5, v38
	v_cndmask_b32_e64 v61, 0, -1, vcc_lo
	v_cmp_eq_u32_e32 vcc_lo, s5, v55
	s_delay_alu instid0(VALU_DEP_2) | instskip(SKIP_3) | instid1(VALU_DEP_3)
	v_cndmask_b32_e64 v37, v61, v37, s0
	v_cndmask_b32_e32 v55, v60, v58, vcc_lo
	v_add_co_u32 v58, vcc_lo, v6, 1
	v_add_co_ci_u32_e32 v60, vcc_lo, 0, v54, vcc_lo
	v_cmp_ne_u32_e32 vcc_lo, 0, v55
	s_delay_alu instid0(VALU_DEP_2) | instskip(SKIP_2) | instid1(VALU_DEP_3)
	v_dual_cndmask_b32 v38, v60, v57 :: v_dual_cndmask_b32 v55, v58, v56
	v_cmp_ne_u32_e32 vcc_lo, 0, v37
	v_xor_b32_e32 v56, s2, v59
	v_cndmask_b32_e32 v37, v54, v38, vcc_lo
	s_delay_alu instid0(VALU_DEP_4) | instskip(NEXT) | instid1(VALU_DEP_2)
	v_cndmask_b32_e32 v6, v6, v55, vcc_lo
	v_xor_b32_e32 v38, v37, v56
	s_delay_alu instid0(VALU_DEP_2) | instskip(NEXT) | instid1(VALU_DEP_1)
	v_xor_b32_e32 v6, v6, v56
	v_sub_co_u32 v37, vcc_lo, v6, v56
	s_delay_alu instid0(VALU_DEP_3)
	v_sub_co_ci_u32_e32 v38, vcc_lo, v38, v56, vcc_lo
.LBB32_16:                              ;   in Loop: Header=BB32_14 Depth=2
	s_and_not1_saveexec_b32 s0, s33
	s_cbranch_execz .LBB32_18
; %bb.17:                               ;   in Loop: Header=BB32_14 Depth=2
	v_cvt_f32_u32_e32 v6, s12
	s_delay_alu instid0(VALU_DEP_1) | instskip(SKIP_2) | instid1(VALU_DEP_1)
	v_rcp_iflag_f32_e32 v6, v6
	s_waitcnt_depctr 0xfff
	v_mul_f32_e32 v6, 0x4f7ffffe, v6
	v_cvt_u32_f32_e32 v6, v6
	s_delay_alu instid0(VALU_DEP_1) | instskip(NEXT) | instid1(VALU_DEP_1)
	v_mul_lo_u32 v37, s30, v6
	v_mul_hi_u32 v37, v6, v37
	s_delay_alu instid0(VALU_DEP_1) | instskip(NEXT) | instid1(VALU_DEP_1)
	v_add_nc_u32_e32 v6, v6, v37
	v_mul_hi_u32 v6, v53, v6
	s_delay_alu instid0(VALU_DEP_1) | instskip(SKIP_1) | instid1(VALU_DEP_2)
	v_mul_lo_u32 v37, v6, s12
	v_add_nc_u32_e32 v38, 1, v6
	v_sub_nc_u32_e32 v37, v53, v37
	s_delay_alu instid0(VALU_DEP_1) | instskip(SKIP_1) | instid1(VALU_DEP_2)
	v_subrev_nc_u32_e32 v54, s12, v37
	v_cmp_le_u32_e32 vcc_lo, s12, v37
	v_cndmask_b32_e32 v37, v37, v54, vcc_lo
	v_cndmask_b32_e32 v6, v6, v38, vcc_lo
	s_delay_alu instid0(VALU_DEP_2) | instskip(NEXT) | instid1(VALU_DEP_2)
	v_cmp_le_u32_e32 vcc_lo, s12, v37
	v_add_nc_u32_e32 v38, 1, v6
	s_delay_alu instid0(VALU_DEP_1)
	v_dual_cndmask_b32 v37, v6, v38 :: v_dual_mov_b32 v38, v5
.LBB32_18:                              ;   in Loop: Header=BB32_14 Depth=2
	s_or_b32 exec_lo, exec_lo, s0
	s_delay_alu instid0(VALU_DEP_1)
	v_cmp_eq_u64_e32 vcc_lo, v[37:38], v[28:29]
	s_mov_b32 s3, exec_lo
	v_cmpx_ne_u64_e64 v[37:38], v[28:29]
	s_xor_b32 s3, exec_lo, s3
; %bb.19:                               ;   in Loop: Header=BB32_14 Depth=2
	v_cmp_lt_i64_e64 s0, v[37:38], v[26:27]
                                        ; implicit-def: $vgpr53
                                        ; implicit-def: $vgpr35_vgpr36
	s_delay_alu instid0(VALU_DEP_1)
	v_cndmask_b32_e64 v27, v27, v38, s0
	v_cndmask_b32_e64 v26, v26, v37, s0
; %bb.20:                               ;   in Loop: Header=BB32_14 Depth=2
	s_or_saveexec_b32 s0, s3
	v_dual_mov_b32 v38, v25 :: v_dual_mov_b32 v37, v24
	s_xor_b32 exec_lo, exec_lo, s0
	s_cbranch_execz .LBB32_13
; %bb.21:                               ;   in Loop: Header=BB32_14 Depth=2
	global_load_b32 v6, v[31:32], off
	v_sub_nc_u32_e32 v37, v53, v30
	s_delay_alu instid0(VALU_DEP_1)
	v_add_lshl_u32 v53, v0, v37, 2
	v_dual_mov_b32 v38, v36 :: v_dual_mov_b32 v37, v35
	ds_store_b8 v39, v52 offset:8192
	s_waitcnt vmcnt(0)
	ds_store_b32 v53, v6
	s_branch .LBB32_13
.LBB32_22:                              ;   in Loop: Header=BB32_11 Depth=1
	s_or_b32 exec_lo, exec_lo, s31
.LBB32_23:                              ;   in Loop: Header=BB32_11 Depth=1
	s_delay_alu instid0(SALU_CYCLE_1)
	s_or_b32 exec_lo, exec_lo, s1
	ds_bpermute_b32 v24, v42, v37
	ds_bpermute_b32 v25, v42, v38
	s_waitcnt lgkmcnt(0)
	buffer_gl0_inv
	ds_load_u8 v6, v39 offset:8192
	v_mov_b32_e32 v30, 0
	s_mov_b32 s3, exec_lo
	v_mov_b32_e32 v31, 0
	v_cmp_lt_i64_e32 vcc_lo, v[24:25], v[37:38]
	s_waitcnt lgkmcnt(0)
	v_dual_cndmask_b32 v25, v38, v25 :: v_dual_and_b32 v6, 1, v6
	v_cndmask_b32_e32 v24, v37, v24, vcc_lo
	ds_bpermute_b32 v25, v43, v25
	ds_bpermute_b32 v24, v43, v24
	v_cmpx_eq_u32_e32 1, v6
	s_cbranch_execz .LBB32_10
; %bb.24:                               ;   in Loop: Header=BB32_11 Depth=1
	v_mul_lo_u32 v6, s20, v3
	v_mul_lo_u32 v34, s21, v4
	v_mad_u64_u32 v[30:31], null, s21, v3, 0
	v_lshlrev_b64 v[32:33], 3, v[3:4]
	s_delay_alu instid0(VALU_DEP_2) | instskip(SKIP_2) | instid1(VALU_DEP_3)
	v_add3_u32 v31, v31, v34, v6
	v_add_co_u32 v34, vcc_lo, v28, s19
	v_add_co_ci_u32_e32 v35, vcc_lo, 0, v29, vcc_lo
	v_lshlrev_b64 v[30:31], 2, v[30:31]
	v_add_co_u32 v36, vcc_lo, s8, v32
	v_add_co_ci_u32_e32 v37, vcc_lo, s9, v33, vcc_lo
	s_delay_alu instid0(VALU_DEP_3) | instskip(NEXT) | instid1(VALU_DEP_4)
	v_add_co_u32 v29, vcc_lo, v40, v30
	v_add_co_ci_u32_e32 v32, vcc_lo, v41, v31, vcc_lo
	v_add_co_u32 v6, vcc_lo, v44, v30
	v_add_co_ci_u32_e32 v28, vcc_lo, v45, v31, vcc_lo
	global_store_b64 v[36:37], v[34:35], off
	s_and_saveexec_b32 s0, s24
	s_cbranch_execz .LBB32_28
; %bb.25:                               ;   in Loop: Header=BB32_11 Depth=1
	s_and_b32 vcc_lo, exec_lo, s23
	s_cbranch_vccz .LBB32_55
; %bb.26:                               ;   in Loop: Header=BB32_11 Depth=1
	ds_load_b32 v33, v51
	v_add_co_u32 v30, vcc_lo, v29, v8
	v_add_co_ci_u32_e32 v31, vcc_lo, v32, v9, vcc_lo
	s_waitcnt lgkmcnt(0)
	global_store_b32 v[30:31], v33, off
	s_cbranch_execnz .LBB32_28
.LBB32_27:                              ;   in Loop: Header=BB32_11 Depth=1
	ds_load_b32 v33, v51
	v_lshlrev_b32_e32 v30, 2, v7
	s_delay_alu instid0(VALU_DEP_1)
	v_add_co_u32 v30, vcc_lo, v6, v30
	v_add_co_ci_u32_e32 v31, vcc_lo, 0, v28, vcc_lo
	s_waitcnt lgkmcnt(0)
	global_store_b32 v[30:31], v33, off
.LBB32_28:                              ;   in Loop: Header=BB32_11 Depth=1
	s_or_b32 exec_lo, exec_lo, s0
	s_and_saveexec_b32 s0, s25
	s_cbranch_execz .LBB32_32
; %bb.29:                               ;   in Loop: Header=BB32_11 Depth=1
	s_and_not1_b32 vcc_lo, exec_lo, s23
	s_cbranch_vccnz .LBB32_56
; %bb.30:                               ;   in Loop: Header=BB32_11 Depth=1
	ds_load_b32 v33, v51 offset:8
	v_add_co_u32 v30, vcc_lo, v29, v10
	v_add_co_ci_u32_e32 v31, vcc_lo, v32, v11, vcc_lo
	s_waitcnt lgkmcnt(0)
	global_store_b32 v[30:31], v33, off
	s_cbranch_execnz .LBB32_32
.LBB32_31:                              ;   in Loop: Header=BB32_11 Depth=1
	ds_load_b32 v33, v51 offset:8
	v_lshlrev_b32_e32 v30, 2, v7
	s_delay_alu instid0(VALU_DEP_1)
	v_add_co_u32 v30, vcc_lo, v6, v30
	v_add_co_ci_u32_e32 v31, vcc_lo, 0, v28, vcc_lo
	s_waitcnt lgkmcnt(0)
	global_store_b32 v[30:31], v33, off offset:8
.LBB32_32:                              ;   in Loop: Header=BB32_11 Depth=1
	s_or_b32 exec_lo, exec_lo, s0
	s_and_saveexec_b32 s0, s26
	s_cbranch_execz .LBB32_36
; %bb.33:                               ;   in Loop: Header=BB32_11 Depth=1
	s_and_not1_b32 vcc_lo, exec_lo, s23
	s_cbranch_vccnz .LBB32_57
; %bb.34:                               ;   in Loop: Header=BB32_11 Depth=1
	ds_load_b32 v33, v51 offset:16
	v_add_co_u32 v30, vcc_lo, v29, v12
	v_add_co_ci_u32_e32 v31, vcc_lo, v32, v13, vcc_lo
	s_waitcnt lgkmcnt(0)
	global_store_b32 v[30:31], v33, off
	s_cbranch_execnz .LBB32_36
.LBB32_35:                              ;   in Loop: Header=BB32_11 Depth=1
	ds_load_b32 v33, v51 offset:16
	v_lshlrev_b32_e32 v30, 2, v7
	s_delay_alu instid0(VALU_DEP_1)
	v_add_co_u32 v30, vcc_lo, v6, v30
	v_add_co_ci_u32_e32 v31, vcc_lo, 0, v28, vcc_lo
	s_waitcnt lgkmcnt(0)
	global_store_b32 v[30:31], v33, off offset:16
.LBB32_36:                              ;   in Loop: Header=BB32_11 Depth=1
	s_or_b32 exec_lo, exec_lo, s0
	s_and_saveexec_b32 s0, s27
	s_cbranch_execz .LBB32_40
; %bb.37:                               ;   in Loop: Header=BB32_11 Depth=1
	s_and_not1_b32 vcc_lo, exec_lo, s23
	s_cbranch_vccnz .LBB32_58
; %bb.38:                               ;   in Loop: Header=BB32_11 Depth=1
	ds_load_b32 v33, v51 offset:24
	v_add_co_u32 v30, vcc_lo, v29, v14
	v_add_co_ci_u32_e32 v31, vcc_lo, v32, v15, vcc_lo
	s_waitcnt lgkmcnt(0)
	global_store_b32 v[30:31], v33, off
	s_cbranch_execnz .LBB32_40
.LBB32_39:                              ;   in Loop: Header=BB32_11 Depth=1
	ds_load_b32 v33, v51 offset:24
	v_lshlrev_b32_e32 v30, 2, v7
	s_delay_alu instid0(VALU_DEP_1)
	v_add_co_u32 v30, vcc_lo, v6, v30
	v_add_co_ci_u32_e32 v31, vcc_lo, 0, v28, vcc_lo
	s_waitcnt lgkmcnt(0)
	global_store_b32 v[30:31], v33, off offset:24
.LBB32_40:                              ;   in Loop: Header=BB32_11 Depth=1
	s_or_b32 exec_lo, exec_lo, s0
	s_and_saveexec_b32 s0, s28
	s_cbranch_execz .LBB32_44
; %bb.41:                               ;   in Loop: Header=BB32_11 Depth=1
	s_and_not1_b32 vcc_lo, exec_lo, s23
	s_cbranch_vccnz .LBB32_59
; %bb.42:                               ;   in Loop: Header=BB32_11 Depth=1
	ds_load_b32 v33, v51 offset:32
	v_add_co_u32 v30, vcc_lo, v29, v16
	v_add_co_ci_u32_e32 v31, vcc_lo, v32, v17, vcc_lo
	s_waitcnt lgkmcnt(0)
	global_store_b32 v[30:31], v33, off
	s_cbranch_execnz .LBB32_44
.LBB32_43:                              ;   in Loop: Header=BB32_11 Depth=1
	ds_load_b32 v33, v51 offset:32
	v_lshlrev_b32_e32 v30, 2, v7
	s_delay_alu instid0(VALU_DEP_1)
	v_add_co_u32 v30, vcc_lo, v6, v30
	v_add_co_ci_u32_e32 v31, vcc_lo, 0, v28, vcc_lo
	s_waitcnt lgkmcnt(0)
	global_store_b32 v[30:31], v33, off offset:32
.LBB32_44:                              ;   in Loop: Header=BB32_11 Depth=1
	s_or_b32 exec_lo, exec_lo, s0
	s_and_saveexec_b32 s0, s29
	s_cbranch_execz .LBB32_48
; %bb.45:                               ;   in Loop: Header=BB32_11 Depth=1
	s_and_not1_b32 vcc_lo, exec_lo, s23
	s_cbranch_vccnz .LBB32_60
; %bb.46:                               ;   in Loop: Header=BB32_11 Depth=1
	ds_load_b32 v33, v51 offset:40
	v_add_co_u32 v30, vcc_lo, v29, v18
	v_add_co_ci_u32_e32 v31, vcc_lo, v32, v19, vcc_lo
	s_waitcnt lgkmcnt(0)
	global_store_b32 v[30:31], v33, off
	s_cbranch_execnz .LBB32_48
.LBB32_47:                              ;   in Loop: Header=BB32_11 Depth=1
	ds_load_b32 v33, v51 offset:40
	v_lshlrev_b32_e32 v30, 2, v7
	s_delay_alu instid0(VALU_DEP_1)
	v_add_co_u32 v30, vcc_lo, v6, v30
	v_add_co_ci_u32_e32 v31, vcc_lo, 0, v28, vcc_lo
	s_waitcnt lgkmcnt(0)
	global_store_b32 v[30:31], v33, off offset:40
.LBB32_48:                              ;   in Loop: Header=BB32_11 Depth=1
	s_or_b32 exec_lo, exec_lo, s0
	s_and_saveexec_b32 s0, s6
	s_cbranch_execz .LBB32_52
; %bb.49:                               ;   in Loop: Header=BB32_11 Depth=1
	s_and_not1_b32 vcc_lo, exec_lo, s23
	s_cbranch_vccnz .LBB32_61
; %bb.50:                               ;   in Loop: Header=BB32_11 Depth=1
	ds_load_b32 v33, v51 offset:48
	v_add_co_u32 v30, vcc_lo, v29, v20
	v_add_co_ci_u32_e32 v31, vcc_lo, v32, v21, vcc_lo
	s_waitcnt lgkmcnt(0)
	global_store_b32 v[30:31], v33, off
	s_cbranch_execnz .LBB32_52
.LBB32_51:                              ;   in Loop: Header=BB32_11 Depth=1
	ds_load_b32 v33, v51 offset:48
	v_lshlrev_b32_e32 v30, 2, v7
	s_delay_alu instid0(VALU_DEP_1)
	v_add_co_u32 v30, vcc_lo, v6, v30
	v_add_co_ci_u32_e32 v31, vcc_lo, 0, v28, vcc_lo
	s_waitcnt lgkmcnt(0)
	global_store_b32 v[30:31], v33, off offset:48
.LBB32_52:                              ;   in Loop: Header=BB32_11 Depth=1
	s_or_b32 exec_lo, exec_lo, s0
	v_mov_b32_e32 v30, 1
	v_mov_b32_e32 v31, 0
	s_and_saveexec_b32 s4, s7
	s_cbranch_execz .LBB32_9
; %bb.53:                               ;   in Loop: Header=BB32_11 Depth=1
	s_and_not1_b32 vcc_lo, exec_lo, s23
	s_cbranch_vccnz .LBB32_62
; %bb.54:                               ;   in Loop: Header=BB32_11 Depth=1
	ds_load_b32 v31, v51 offset:56
	v_add_co_u32 v29, vcc_lo, v29, v22
	v_add_co_ci_u32_e32 v30, vcc_lo, v32, v23, vcc_lo
	s_mov_b64 s[0:1], 1
	s_waitcnt lgkmcnt(0)
	global_store_b32 v[29:30], v31, off
	s_cbranch_execnz .LBB32_8
	s_branch .LBB32_63
.LBB32_55:                              ;   in Loop: Header=BB32_11 Depth=1
	s_branch .LBB32_27
.LBB32_56:                              ;   in Loop: Header=BB32_11 Depth=1
	s_branch .LBB32_31
.LBB32_57:                              ;   in Loop: Header=BB32_11 Depth=1
	s_branch .LBB32_35
.LBB32_58:                              ;   in Loop: Header=BB32_11 Depth=1
	s_branch .LBB32_39
.LBB32_59:                              ;   in Loop: Header=BB32_11 Depth=1
	s_branch .LBB32_43
.LBB32_60:                              ;   in Loop: Header=BB32_11 Depth=1
	s_branch .LBB32_47
.LBB32_61:                              ;   in Loop: Header=BB32_11 Depth=1
	s_branch .LBB32_51
.LBB32_62:                              ;   in Loop: Header=BB32_11 Depth=1
                                        ; implicit-def: $sgpr0_sgpr1
.LBB32_63:                              ;   in Loop: Header=BB32_11 Depth=1
	ds_load_b32 v31, v51 offset:56
	v_lshlrev_b32_e32 v29, 2, v7
	s_mov_b64 s[0:1], 1
	s_delay_alu instid0(VALU_DEP_1)
	v_add_co_u32 v29, vcc_lo, v6, v29
	v_add_co_ci_u32_e32 v30, vcc_lo, 0, v28, vcc_lo
	s_waitcnt lgkmcnt(0)
	global_store_b32 v[29:30], v31, off offset:56
	s_branch .LBB32_8
.LBB32_64:
	s_endpgm
	.section	.rodata,"a",@progbits
	.p2align	6, 0x0
	.amdhsa_kernel _ZN9rocsparseL42csr2bsr_wavefront_per_row_multipass_kernelILj256ELj32ELj16EillEEv20rocsparse_direction_T4_S2_S2_S2_S2_21rocsparse_index_base_PKT2_PKT3_PKS2_S3_PS4_PS7_PS2_
		.amdhsa_group_segment_fixed_size 8200
		.amdhsa_private_segment_fixed_size 0
		.amdhsa_kernarg_size 112
		.amdhsa_user_sgpr_count 15
		.amdhsa_user_sgpr_dispatch_ptr 0
		.amdhsa_user_sgpr_queue_ptr 0
		.amdhsa_user_sgpr_kernarg_segment_ptr 1
		.amdhsa_user_sgpr_dispatch_id 0
		.amdhsa_user_sgpr_private_segment_size 0
		.amdhsa_wavefront_size32 1
		.amdhsa_uses_dynamic_stack 0
		.amdhsa_enable_private_segment 0
		.amdhsa_system_sgpr_workgroup_id_x 1
		.amdhsa_system_sgpr_workgroup_id_y 0
		.amdhsa_system_sgpr_workgroup_id_z 0
		.amdhsa_system_sgpr_workgroup_info 0
		.amdhsa_system_vgpr_workitem_id 0
		.amdhsa_next_free_vgpr 63
		.amdhsa_next_free_sgpr 34
		.amdhsa_reserve_vcc 1
		.amdhsa_float_round_mode_32 0
		.amdhsa_float_round_mode_16_64 0
		.amdhsa_float_denorm_mode_32 3
		.amdhsa_float_denorm_mode_16_64 3
		.amdhsa_dx10_clamp 1
		.amdhsa_ieee_mode 1
		.amdhsa_fp16_overflow 0
		.amdhsa_workgroup_processor_mode 1
		.amdhsa_memory_ordered 1
		.amdhsa_forward_progress 0
		.amdhsa_shared_vgpr_count 0
		.amdhsa_exception_fp_ieee_invalid_op 0
		.amdhsa_exception_fp_denorm_src 0
		.amdhsa_exception_fp_ieee_div_zero 0
		.amdhsa_exception_fp_ieee_overflow 0
		.amdhsa_exception_fp_ieee_underflow 0
		.amdhsa_exception_fp_ieee_inexact 0
		.amdhsa_exception_int_div_zero 0
	.end_amdhsa_kernel
	.section	.text._ZN9rocsparseL42csr2bsr_wavefront_per_row_multipass_kernelILj256ELj32ELj16EillEEv20rocsparse_direction_T4_S2_S2_S2_S2_21rocsparse_index_base_PKT2_PKT3_PKS2_S3_PS4_PS7_PS2_,"axG",@progbits,_ZN9rocsparseL42csr2bsr_wavefront_per_row_multipass_kernelILj256ELj32ELj16EillEEv20rocsparse_direction_T4_S2_S2_S2_S2_21rocsparse_index_base_PKT2_PKT3_PKS2_S3_PS4_PS7_PS2_,comdat
.Lfunc_end32:
	.size	_ZN9rocsparseL42csr2bsr_wavefront_per_row_multipass_kernelILj256ELj32ELj16EillEEv20rocsparse_direction_T4_S2_S2_S2_S2_21rocsparse_index_base_PKT2_PKT3_PKS2_S3_PS4_PS7_PS2_, .Lfunc_end32-_ZN9rocsparseL42csr2bsr_wavefront_per_row_multipass_kernelILj256ELj32ELj16EillEEv20rocsparse_direction_T4_S2_S2_S2_S2_21rocsparse_index_base_PKT2_PKT3_PKS2_S3_PS4_PS7_PS2_
                                        ; -- End function
	.section	.AMDGPU.csdata,"",@progbits
; Kernel info:
; codeLenInByte = 3840
; NumSgprs: 36
; NumVgprs: 63
; ScratchSize: 0
; MemoryBound: 0
; FloatMode: 240
; IeeeMode: 1
; LDSByteSize: 8200 bytes/workgroup (compile time only)
; SGPRBlocks: 4
; VGPRBlocks: 7
; NumSGPRsForWavesPerEU: 36
; NumVGPRsForWavesPerEU: 63
; Occupancy: 16
; WaveLimiterHint : 0
; COMPUTE_PGM_RSRC2:SCRATCH_EN: 0
; COMPUTE_PGM_RSRC2:USER_SGPR: 15
; COMPUTE_PGM_RSRC2:TRAP_HANDLER: 0
; COMPUTE_PGM_RSRC2:TGID_X_EN: 1
; COMPUTE_PGM_RSRC2:TGID_Y_EN: 0
; COMPUTE_PGM_RSRC2:TGID_Z_EN: 0
; COMPUTE_PGM_RSRC2:TIDIG_COMP_CNT: 0
	.section	.text._ZN9rocsparseL38csr2bsr_block_per_row_multipass_kernelILj256ELj32EillEEv20rocsparse_direction_T3_S2_S2_S2_S2_21rocsparse_index_base_PKT1_PKT2_PKS2_S3_PS4_PS7_PS2_,"axG",@progbits,_ZN9rocsparseL38csr2bsr_block_per_row_multipass_kernelILj256ELj32EillEEv20rocsparse_direction_T3_S2_S2_S2_S2_21rocsparse_index_base_PKT1_PKT2_PKS2_S3_PS4_PS7_PS2_,comdat
	.globl	_ZN9rocsparseL38csr2bsr_block_per_row_multipass_kernelILj256ELj32EillEEv20rocsparse_direction_T3_S2_S2_S2_S2_21rocsparse_index_base_PKT1_PKT2_PKS2_S3_PS4_PS7_PS2_ ; -- Begin function _ZN9rocsparseL38csr2bsr_block_per_row_multipass_kernelILj256ELj32EillEEv20rocsparse_direction_T3_S2_S2_S2_S2_21rocsparse_index_base_PKT1_PKT2_PKS2_S3_PS4_PS7_PS2_
	.p2align	8
	.type	_ZN9rocsparseL38csr2bsr_block_per_row_multipass_kernelILj256ELj32EillEEv20rocsparse_direction_T3_S2_S2_S2_S2_21rocsparse_index_base_PKT1_PKT2_PKS2_S3_PS4_PS7_PS2_,@function
_ZN9rocsparseL38csr2bsr_block_per_row_multipass_kernelILj256ELj32EillEEv20rocsparse_direction_T3_S2_S2_S2_S2_21rocsparse_index_base_PKT1_PKT2_PKS2_S3_PS4_PS7_PS2_: ; @_ZN9rocsparseL38csr2bsr_block_per_row_multipass_kernelILj256ELj32EillEEv20rocsparse_direction_T3_S2_S2_S2_S2_21rocsparse_index_base_PKT1_PKT2_PKS2_S3_PS4_PS7_PS2_
; %bb.0:
	s_mov_b32 s2, s15
	s_clause 0x1
	s_load_b128 s[12:15], s[0:1], 0x20
	s_load_b64 s[6:7], s[0:1], 0x8
	v_mov_b32_e32 v5, 0
	v_lshrrev_b32_e32 v4, 3, v0
	v_mov_b32_e32 v1, 0
	v_mov_b32_e32 v2, 0
	s_clause 0x1
	s_load_b32 s28, s[0:1], 0x30
	s_load_b64 s[4:5], s[0:1], 0x40
	s_ashr_i32 s3, s2, 31
	v_dual_mov_b32 v15, v2 :: v_dual_mov_b32 v14, v1
	s_waitcnt lgkmcnt(0)
	v_mad_u64_u32 v[6:7], null, s2, s14, v[4:5]
	s_mul_i32 s8, s2, s15
	s_mul_i32 s9, s3, s14
	s_delay_alu instid0(VALU_DEP_1) | instid1(SALU_CYCLE_1)
	v_add3_u32 v7, s8, s9, v7
	v_cmp_gt_i64_e64 s9, s[14:15], v[4:5]
	s_delay_alu instid0(VALU_DEP_2) | instskip(NEXT) | instid1(VALU_DEP_2)
	v_cmp_gt_i64_e32 vcc_lo, s[6:7], v[6:7]
	s_and_b32 s6, s9, vcc_lo
	s_delay_alu instid0(SALU_CYCLE_1)
	s_and_saveexec_b32 s7, s6
	s_cbranch_execnz .LBB33_3
; %bb.1:
	s_or_b32 exec_lo, exec_lo, s7
	s_and_saveexec_b32 s7, s6
	s_cbranch_execnz .LBB33_4
.LBB33_2:
	s_or_b32 exec_lo, exec_lo, s7
	v_cmp_lt_i64_e64 s4, s[12:13], 1
	s_delay_alu instid0(VALU_DEP_1)
	s_and_b32 vcc_lo, exec_lo, s4
	s_cbranch_vccz .LBB33_5
	s_branch .LBB33_45
.LBB33_3:
	v_lshlrev_b64 v[8:9], 3, v[6:7]
	s_delay_alu instid0(VALU_DEP_1) | instskip(NEXT) | instid1(VALU_DEP_2)
	v_add_co_u32 v8, vcc_lo, s4, v8
	v_add_co_ci_u32_e32 v9, vcc_lo, s5, v9, vcc_lo
	global_load_b64 v[8:9], v[8:9], off
	s_waitcnt vmcnt(0)
	v_sub_co_u32 v14, vcc_lo, v8, s28
	v_subrev_co_ci_u32_e32 v15, vcc_lo, 0, v9, vcc_lo
	s_or_b32 exec_lo, exec_lo, s7
	s_and_saveexec_b32 s7, s6
	s_cbranch_execz .LBB33_2
.LBB33_4:
	v_lshlrev_b64 v[1:2], 3, v[6:7]
	s_delay_alu instid0(VALU_DEP_1) | instskip(NEXT) | instid1(VALU_DEP_2)
	v_add_co_u32 v1, vcc_lo, s4, v1
	v_add_co_ci_u32_e32 v2, vcc_lo, s5, v2, vcc_lo
	global_load_b64 v[1:2], v[1:2], off offset:8
	s_waitcnt vmcnt(0)
	v_sub_co_u32 v1, vcc_lo, v1, s28
	v_subrev_co_ci_u32_e32 v2, vcc_lo, 0, v2, vcc_lo
	s_or_b32 exec_lo, exec_lo, s7
	v_cmp_lt_i64_e64 s4, s[12:13], 1
	s_delay_alu instid0(VALU_DEP_1)
	s_and_b32 vcc_lo, exec_lo, s4
	s_cbranch_vccnz .LBB33_45
.LBB33_5:
	v_mbcnt_lo_u32_b32 v11, -1, 0
	s_clause 0x2
	s_load_b128 s[4:7], s[0:1], 0x58
	s_load_b64 s[16:17], s[0:1], 0x68
	s_load_b32 s29, s[0:1], 0x50
	v_mad_u64_u32 v[7:8], null, v4, s14, 0
	v_and_b32_e32 v5, 7, v0
	v_xor_b32_e32 v9, 4, v11
	v_xor_b32_e32 v12, 2, v11
	;; [unrolled: 1-line block ×3, first 2 shown]
	s_mul_i32 s8, s14, s15
	s_mul_hi_u32 s10, s14, s14
	v_mov_b32_e32 v6, v8
	v_cmp_gt_i32_e32 vcc_lo, 32, v9
	s_clause 0x2
	s_load_b64 s[18:19], s[0:1], 0x48
	s_load_b64 s[20:21], s[0:1], 0x38
	s_load_b32 s11, s[0:1], 0x0
	s_lshl_b64 s[0:1], s[2:3], 3
	s_add_i32 s2, s10, s8
	v_dual_mov_b32 v3, 0 :: v_dual_lshlrev_b32 v10, 2, v4
	v_dual_cndmask_b32 v16, v11, v9 :: v_dual_lshlrev_b32 v35, 3, v0
	v_cmp_gt_i32_e32 vcc_lo, 32, v12
	v_mad_u64_u32 v[8:9], null, v4, s15, v[6:7]
	v_lshlrev_b32_e32 v26, 5, v4
	s_add_i32 s31, s2, s8
	v_cndmask_b32_e32 v4, v11, v12, vcc_lo
	v_cmp_gt_i32_e32 vcc_lo, 32, v13
	s_waitcnt lgkmcnt(0)
	s_add_u32 s0, s6, s0
	s_addc_u32 s1, s7, s1
	v_lshlrev_b64 v[7:8], 2, v[7:8]
	s_load_b64 s[0:1], s[0:1], 0x0
	v_cndmask_b32_e32 v9, v11, v13, vcc_lo
	v_lshl_or_b32 v32, v11, 2, 28
	v_or_b32_e32 v11, 16, v5
	v_dual_mov_b32 v6, v3 :: v_dual_lshlrev_b32 v27, 2, v16
	s_delay_alu instid0(VALU_DEP_4)
	v_lshlrev_b32_e32 v31, 2, v9
	v_dual_mov_b32 v19, v3 :: v_dual_lshlrev_b32 v28, 2, v4
	v_lshlrev_b32_e32 v4, 2, v5
	v_add_co_u32 v7, vcc_lo, s4, v7
	v_add_co_ci_u32_e32 v8, vcc_lo, s5, v8, vcc_lo
	v_or_b32_e32 v9, 8, v5
	s_delay_alu instid0(VALU_DEP_3) | instskip(NEXT) | instid1(VALU_DEP_3)
	v_add_co_u32 v33, vcc_lo, v7, v4
	v_add_co_ci_u32_e32 v34, vcc_lo, 0, v8, vcc_lo
	v_mad_u64_u32 v[7:8], null, v5, s14, 0
	v_or_b32_e32 v4, v26, v5
	v_mad_u64_u32 v[16:17], null, v9, s14, 0
	v_or_b32_e32 v18, 24, v5
	v_add_co_u32 v29, s2, s4, v10
	s_waitcnt lgkmcnt(0)
	s_sub_u32 s22, s0, s29
	v_add_co_ci_u32_e64 v30, null, s5, 0, s2
	s_subb_u32 s23, s1, 0
	v_cmp_gt_u32_e64 s1, 0x80, v0
	v_cmp_gt_u32_e64 s2, 64, v0
	;; [unrolled: 1-line block ×7, first 2 shown]
	v_cmp_eq_u32_e64 s8, 0, v0
	v_lshlrev_b32_e32 v0, 2, v4
	v_mov_b32_e32 v4, v8
	v_mad_u64_u32 v[20:21], null, v11, s14, 0
	v_mad_u64_u32 v[22:23], null, v18, s14, 0
	s_delay_alu instid0(VALU_DEP_3)
	v_mad_u64_u32 v[24:25], null, v5, s15, v[4:5]
	v_mov_b32_e32 v4, v17
	v_cmp_gt_i64_e32 vcc_lo, s[14:15], v[5:6]
	v_mov_b32_e32 v10, v3
	v_mov_b32_e32 v6, v21
	;; [unrolled: 1-line block ×3, first 2 shown]
	v_mad_u64_u32 v[36:37], null, v9, s15, v[4:5]
	v_mov_b32_e32 v4, v23
	v_cmp_gt_i64_e64 s10, s[14:15], v[9:10]
	v_mad_u64_u32 v[9:10], null, v11, s15, v[6:7]
	s_cmp_eq_u32 s11, 0
	v_cmp_gt_i64_e64 s11, s[14:15], v[11:12]
	v_mad_u64_u32 v[10:11], null, v18, s15, v[4:5]
	v_mov_b32_e32 v8, v24
	v_mov_b32_e32 v17, v36
	;; [unrolled: 1-line block ×3, first 2 shown]
	s_cselect_b32 s0, -1, 0
	s_and_b32 s33, s9, vcc_lo
	v_cmp_gt_i64_e32 vcc_lo, s[14:15], v[18:19]
	v_mov_b32_e32 v23, v10
	v_lshlrev_b64 v[6:7], 2, v[7:8]
	v_lshlrev_b64 v[8:9], 2, v[16:17]
	;; [unrolled: 1-line block ×3, first 2 shown]
	v_mov_b32_e32 v36, 1
	v_lshlrev_b64 v[12:13], 2, v[22:23]
	s_mul_i32 s30, s14, s14
	s_and_b32 s34, s9, s10
	s_and_b32 s35, s9, s11
	s_and_b32 s36, s9, vcc_lo
	s_mov_b64 s[24:25], 0
	s_ashr_i32 s10, s15, 31
	s_branch .LBB33_7
.LBB33_6:                               ;   in Loop: Header=BB33_7 Depth=1
	s_or_b32 exec_lo, exec_lo, s9
	s_waitcnt lgkmcnt(0)
	s_barrier
	buffer_gl0_inv
	ds_load_b64 v[16:17], v3
	s_add_u32 s22, s26, s22
	s_addc_u32 s23, s27, s23
	s_waitcnt lgkmcnt(0)
	s_barrier
	buffer_gl0_inv
	v_cmp_gt_i64_e32 vcc_lo, s[12:13], v[16:17]
	v_readfirstlane_b32 s24, v16
	v_readfirstlane_b32 s25, v17
	s_cbranch_vccz .LBB33_45
.LBB33_7:                               ; =>This Loop Header: Depth=1
                                        ;     Child Loop BB33_10 Depth 2
	v_add_co_u32 v14, vcc_lo, v14, v5
	v_add_co_ci_u32_e32 v15, vcc_lo, 0, v15, vcc_lo
	v_dual_mov_b32 v17, s13 :: v_dual_mov_b32 v16, s12
	v_dual_mov_b32 v25, v2 :: v_dual_mov_b32 v24, v1
	s_mov_b32 s37, exec_lo
	ds_store_b8 v3, v3 offset:4096
	ds_store_2addr_b32 v0, v3, v3 offset1:8
	ds_store_2addr_b32 v0, v3, v3 offset0:16 offset1:24
	s_waitcnt lgkmcnt(0)
	s_barrier
	buffer_gl0_inv
	v_cmpx_lt_i64_e64 v[14:15], v[1:2]
	s_cbranch_execz .LBB33_19
; %bb.8:                                ;   in Loop: Header=BB33_7 Depth=1
	v_lshlrev_b64 v[16:17], 2, v[14:15]
	v_lshlrev_b64 v[20:21], 3, v[14:15]
	v_dual_mov_b32 v23, v2 :: v_dual_mov_b32 v22, v1
	s_mul_i32 s39, s24, s14
	s_mov_b32 s38, 0
	s_delay_alu instid0(VALU_DEP_3)
	v_add_co_u32 v18, vcc_lo, s20, v16
	v_add_co_ci_u32_e32 v19, vcc_lo, s21, v17, vcc_lo
	v_add_co_u32 v20, vcc_lo, s18, v20
	v_add_co_ci_u32_e32 v21, vcc_lo, s19, v21, vcc_lo
	v_dual_mov_b32 v17, s13 :: v_dual_mov_b32 v16, s12
	s_branch .LBB33_10
.LBB33_9:                               ;   in Loop: Header=BB33_10 Depth=2
	s_or_b32 exec_lo, exec_lo, s9
	v_add_co_u32 v14, s9, v14, 8
	s_delay_alu instid0(VALU_DEP_1) | instskip(SKIP_2) | instid1(VALU_DEP_2)
	v_add_co_ci_u32_e64 v15, s9, 0, v15, s9
	s_xor_b32 s11, vcc_lo, -1
	v_add_co_u32 v18, vcc_lo, v18, 32
	v_cmp_ge_i64_e64 s9, v[14:15], v[1:2]
	v_add_co_ci_u32_e32 v19, vcc_lo, 0, v19, vcc_lo
	v_add_co_u32 v20, vcc_lo, v20, 64
	v_add_co_ci_u32_e32 v21, vcc_lo, 0, v21, vcc_lo
	s_delay_alu instid0(VALU_DEP_4) | instskip(SKIP_2) | instid1(SALU_CYCLE_1)
	s_or_b32 s9, s11, s9
	v_dual_mov_b32 v22, v24 :: v_dual_mov_b32 v23, v25
	s_and_b32 s9, exec_lo, s9
	s_or_b32 s38, s9, s38
	s_delay_alu instid0(SALU_CYCLE_1)
	s_and_not1_b32 exec_lo, exec_lo, s38
	s_cbranch_execz .LBB33_18
.LBB33_10:                              ;   Parent Loop BB33_7 Depth=1
                                        ; =>  This Inner Loop Header: Depth=2
	global_load_b64 v[24:25], v[20:21], off
	s_mov_b32 s9, exec_lo
	s_waitcnt vmcnt(0)
	v_sub_co_u32 v37, vcc_lo, v24, s28
	v_subrev_co_ci_u32_e32 v38, vcc_lo, 0, v25, vcc_lo
                                        ; implicit-def: $vgpr24_vgpr25
	s_delay_alu instid0(VALU_DEP_1) | instskip(NEXT) | instid1(VALU_DEP_1)
	v_or_b32_e32 v4, s15, v38
	v_cmpx_ne_u64_e32 0, v[3:4]
	s_xor_b32 s40, exec_lo, s9
	s_cbranch_execz .LBB33_12
; %bb.11:                               ;   in Loop: Header=BB33_10 Depth=2
	s_add_u32 s26, s14, s10
	s_mov_b32 s11, s10
	s_addc_u32 s27, s15, s10
	s_delay_alu instid0(SALU_CYCLE_1) | instskip(NEXT) | instid1(SALU_CYCLE_1)
	s_xor_b64 s[26:27], s[26:27], s[10:11]
	v_cvt_f32_u32_e32 v4, s26
	v_cvt_f32_u32_e32 v24, s27
	s_sub_u32 s9, 0, s26
	s_subb_u32 s11, 0, s27
	s_delay_alu instid0(VALU_DEP_1) | instskip(NEXT) | instid1(VALU_DEP_1)
	v_fmac_f32_e32 v4, 0x4f800000, v24
	v_rcp_f32_e32 v4, v4
	s_waitcnt_depctr 0xfff
	v_mul_f32_e32 v4, 0x5f7ffffc, v4
	s_delay_alu instid0(VALU_DEP_1) | instskip(NEXT) | instid1(VALU_DEP_1)
	v_mul_f32_e32 v24, 0x2f800000, v4
	v_trunc_f32_e32 v24, v24
	s_delay_alu instid0(VALU_DEP_1) | instskip(SKIP_1) | instid1(VALU_DEP_2)
	v_fmac_f32_e32 v4, 0xcf800000, v24
	v_cvt_u32_f32_e32 v24, v24
	v_cvt_u32_f32_e32 v4, v4
	s_delay_alu instid0(VALU_DEP_2) | instskip(NEXT) | instid1(VALU_DEP_2)
	v_mul_lo_u32 v25, s9, v24
	v_mul_hi_u32 v39, s9, v4
	v_mul_lo_u32 v40, s11, v4
	s_delay_alu instid0(VALU_DEP_2) | instskip(SKIP_1) | instid1(VALU_DEP_2)
	v_add_nc_u32_e32 v25, v39, v25
	v_mul_lo_u32 v39, s9, v4
	v_add_nc_u32_e32 v25, v25, v40
	s_delay_alu instid0(VALU_DEP_2) | instskip(NEXT) | instid1(VALU_DEP_2)
	v_mul_hi_u32 v40, v4, v39
	v_mul_lo_u32 v41, v4, v25
	v_mul_hi_u32 v42, v4, v25
	v_mul_hi_u32 v43, v24, v39
	v_mul_lo_u32 v39, v24, v39
	v_mul_hi_u32 v44, v24, v25
	v_mul_lo_u32 v25, v24, v25
	v_add_co_u32 v40, vcc_lo, v40, v41
	v_add_co_ci_u32_e32 v41, vcc_lo, 0, v42, vcc_lo
	s_delay_alu instid0(VALU_DEP_2) | instskip(NEXT) | instid1(VALU_DEP_2)
	v_add_co_u32 v39, vcc_lo, v40, v39
	v_add_co_ci_u32_e32 v39, vcc_lo, v41, v43, vcc_lo
	v_add_co_ci_u32_e32 v40, vcc_lo, 0, v44, vcc_lo
	v_ashrrev_i32_e32 v43, 31, v38
	s_delay_alu instid0(VALU_DEP_3) | instskip(NEXT) | instid1(VALU_DEP_3)
	v_add_co_u32 v25, vcc_lo, v39, v25
	v_add_co_ci_u32_e32 v39, vcc_lo, 0, v40, vcc_lo
	s_delay_alu instid0(VALU_DEP_2) | instskip(NEXT) | instid1(VALU_DEP_2)
	v_add_co_u32 v4, vcc_lo, v4, v25
	v_add_co_ci_u32_e32 v24, vcc_lo, v24, v39, vcc_lo
	s_delay_alu instid0(VALU_DEP_2) | instskip(SKIP_1) | instid1(VALU_DEP_3)
	v_mul_hi_u32 v25, s9, v4
	v_mul_lo_u32 v40, s11, v4
	v_mul_lo_u32 v39, s9, v24
	s_delay_alu instid0(VALU_DEP_1) | instskip(SKIP_1) | instid1(VALU_DEP_2)
	v_add_nc_u32_e32 v25, v25, v39
	v_mul_lo_u32 v39, s9, v4
	v_add_nc_u32_e32 v25, v25, v40
	s_delay_alu instid0(VALU_DEP_2) | instskip(NEXT) | instid1(VALU_DEP_2)
	v_mul_hi_u32 v40, v4, v39
	v_mul_lo_u32 v41, v4, v25
	v_mul_hi_u32 v42, v4, v25
	v_mul_hi_u32 v44, v24, v39
	v_mul_lo_u32 v39, v24, v39
	v_mul_hi_u32 v45, v24, v25
	v_mul_lo_u32 v25, v24, v25
	v_add_co_u32 v40, vcc_lo, v40, v41
	v_add_co_ci_u32_e32 v41, vcc_lo, 0, v42, vcc_lo
	s_delay_alu instid0(VALU_DEP_2) | instskip(NEXT) | instid1(VALU_DEP_2)
	v_add_co_u32 v39, vcc_lo, v40, v39
	v_add_co_ci_u32_e32 v39, vcc_lo, v41, v44, vcc_lo
	v_add_co_ci_u32_e32 v40, vcc_lo, 0, v45, vcc_lo
	v_add_co_u32 v41, vcc_lo, v37, v43
	v_add_co_ci_u32_e32 v38, vcc_lo, v38, v43, vcc_lo
	s_delay_alu instid0(VALU_DEP_4) | instskip(NEXT) | instid1(VALU_DEP_4)
	v_add_co_u32 v25, vcc_lo, v39, v25
	v_add_co_ci_u32_e32 v39, vcc_lo, 0, v40, vcc_lo
	s_delay_alu instid0(VALU_DEP_4) | instskip(NEXT) | instid1(VALU_DEP_3)
	v_xor_b32_e32 v42, v41, v43
	v_add_co_u32 v4, vcc_lo, v4, v25
	s_delay_alu instid0(VALU_DEP_3) | instskip(SKIP_1) | instid1(VALU_DEP_3)
	v_add_co_ci_u32_e32 v44, vcc_lo, v24, v39, vcc_lo
	v_xor_b32_e32 v45, v38, v43
	v_mul_hi_u32 v46, v42, v4
	s_delay_alu instid0(VALU_DEP_3) | instskip(NEXT) | instid1(VALU_DEP_3)
	v_mad_u64_u32 v[24:25], null, v42, v44, 0
	v_mad_u64_u32 v[38:39], null, v45, v4, 0
	;; [unrolled: 1-line block ×3, first 2 shown]
	s_delay_alu instid0(VALU_DEP_3) | instskip(NEXT) | instid1(VALU_DEP_4)
	v_add_co_u32 v4, vcc_lo, v46, v24
	v_add_co_ci_u32_e32 v24, vcc_lo, 0, v25, vcc_lo
	s_delay_alu instid0(VALU_DEP_2) | instskip(NEXT) | instid1(VALU_DEP_2)
	v_add_co_u32 v4, vcc_lo, v4, v38
	v_add_co_ci_u32_e32 v4, vcc_lo, v24, v39, vcc_lo
	v_add_co_ci_u32_e32 v24, vcc_lo, 0, v41, vcc_lo
	s_delay_alu instid0(VALU_DEP_2) | instskip(NEXT) | instid1(VALU_DEP_2)
	v_add_co_u32 v4, vcc_lo, v4, v40
	v_add_co_ci_u32_e32 v38, vcc_lo, 0, v24, vcc_lo
	s_delay_alu instid0(VALU_DEP_2) | instskip(SKIP_1) | instid1(VALU_DEP_3)
	v_mul_lo_u32 v39, s27, v4
	v_mad_u64_u32 v[24:25], null, s26, v4, 0
	v_mul_lo_u32 v40, s26, v38
	s_delay_alu instid0(VALU_DEP_2) | instskip(NEXT) | instid1(VALU_DEP_2)
	v_sub_co_u32 v24, vcc_lo, v42, v24
	v_add3_u32 v25, v25, v40, v39
	s_delay_alu instid0(VALU_DEP_1) | instskip(NEXT) | instid1(VALU_DEP_1)
	v_sub_nc_u32_e32 v39, v45, v25
	v_subrev_co_ci_u32_e64 v39, s9, s27, v39, vcc_lo
	v_add_co_u32 v40, s9, v4, 2
	s_delay_alu instid0(VALU_DEP_1) | instskip(SKIP_3) | instid1(VALU_DEP_3)
	v_add_co_ci_u32_e64 v41, s9, 0, v38, s9
	v_sub_co_u32 v42, s9, v24, s26
	v_sub_co_ci_u32_e32 v25, vcc_lo, v45, v25, vcc_lo
	v_subrev_co_ci_u32_e64 v39, s9, 0, v39, s9
	v_cmp_le_u32_e32 vcc_lo, s26, v42
	s_delay_alu instid0(VALU_DEP_3) | instskip(SKIP_1) | instid1(VALU_DEP_4)
	v_cmp_eq_u32_e64 s9, s27, v25
	v_cndmask_b32_e64 v42, 0, -1, vcc_lo
	v_cmp_le_u32_e32 vcc_lo, s27, v39
	v_cndmask_b32_e64 v44, 0, -1, vcc_lo
	v_cmp_le_u32_e32 vcc_lo, s26, v24
	;; [unrolled: 2-line block ×3, first 2 shown]
	v_cndmask_b32_e64 v45, 0, -1, vcc_lo
	v_cmp_eq_u32_e32 vcc_lo, s27, v39
	s_delay_alu instid0(VALU_DEP_2) | instskip(SKIP_3) | instid1(VALU_DEP_3)
	v_cndmask_b32_e64 v24, v45, v24, s9
	v_cndmask_b32_e32 v39, v44, v42, vcc_lo
	v_add_co_u32 v42, vcc_lo, v4, 1
	v_add_co_ci_u32_e32 v44, vcc_lo, 0, v38, vcc_lo
	v_cmp_ne_u32_e32 vcc_lo, 0, v39
	s_delay_alu instid0(VALU_DEP_2) | instskip(NEXT) | instid1(VALU_DEP_4)
	v_cndmask_b32_e32 v25, v44, v41, vcc_lo
	v_cndmask_b32_e32 v39, v42, v40, vcc_lo
	v_cmp_ne_u32_e32 vcc_lo, 0, v24
	v_xor_b32_e32 v40, s10, v43
	s_delay_alu instid0(VALU_DEP_3) | instskip(SKIP_1) | instid1(VALU_DEP_2)
	v_cndmask_b32_e32 v4, v4, v39, vcc_lo
	v_cndmask_b32_e32 v24, v38, v25, vcc_lo
	v_xor_b32_e32 v4, v4, v40
	s_delay_alu instid0(VALU_DEP_2) | instskip(NEXT) | instid1(VALU_DEP_2)
	v_xor_b32_e32 v25, v24, v40
	v_sub_co_u32 v24, vcc_lo, v4, v40
	s_delay_alu instid0(VALU_DEP_2)
	v_sub_co_ci_u32_e32 v25, vcc_lo, v25, v40, vcc_lo
.LBB33_12:                              ;   in Loop: Header=BB33_10 Depth=2
	s_and_not1_saveexec_b32 s9, s40
	s_cbranch_execz .LBB33_14
; %bb.13:                               ;   in Loop: Header=BB33_10 Depth=2
	v_cvt_f32_u32_e32 v4, s14
	s_sub_i32 s11, 0, s14
	s_delay_alu instid0(VALU_DEP_1) | instskip(SKIP_2) | instid1(VALU_DEP_1)
	v_rcp_iflag_f32_e32 v4, v4
	s_waitcnt_depctr 0xfff
	v_mul_f32_e32 v4, 0x4f7ffffe, v4
	v_cvt_u32_f32_e32 v4, v4
	s_delay_alu instid0(VALU_DEP_1) | instskip(NEXT) | instid1(VALU_DEP_1)
	v_mul_lo_u32 v24, s11, v4
	v_mul_hi_u32 v24, v4, v24
	s_delay_alu instid0(VALU_DEP_1) | instskip(NEXT) | instid1(VALU_DEP_1)
	v_add_nc_u32_e32 v4, v4, v24
	v_mul_hi_u32 v4, v37, v4
	s_delay_alu instid0(VALU_DEP_1) | instskip(NEXT) | instid1(VALU_DEP_1)
	v_mul_lo_u32 v24, v4, s14
	v_sub_nc_u32_e32 v24, v37, v24
	s_delay_alu instid0(VALU_DEP_1) | instskip(SKIP_1) | instid1(VALU_DEP_2)
	v_subrev_nc_u32_e32 v38, s14, v24
	v_cmp_le_u32_e32 vcc_lo, s14, v24
	v_dual_cndmask_b32 v24, v24, v38 :: v_dual_add_nc_u32 v25, 1, v4
	s_delay_alu instid0(VALU_DEP_1) | instskip(NEXT) | instid1(VALU_DEP_2)
	v_cndmask_b32_e32 v4, v4, v25, vcc_lo
	v_cmp_le_u32_e32 vcc_lo, s14, v24
	s_delay_alu instid0(VALU_DEP_2) | instskip(NEXT) | instid1(VALU_DEP_1)
	v_add_nc_u32_e32 v25, 1, v4
	v_dual_cndmask_b32 v24, v4, v25 :: v_dual_mov_b32 v25, v3
.LBB33_14:                              ;   in Loop: Header=BB33_10 Depth=2
	s_or_b32 exec_lo, exec_lo, s9
	s_delay_alu instid0(VALU_DEP_1)
	v_cmp_eq_u64_e32 vcc_lo, s[24:25], v[24:25]
	s_mov_b32 s11, exec_lo
	v_cmpx_ne_u64_e64 s[24:25], v[24:25]
	s_xor_b32 s11, exec_lo, s11
; %bb.15:                               ;   in Loop: Header=BB33_10 Depth=2
	v_cmp_lt_i64_e64 s9, v[24:25], v[16:17]
                                        ; implicit-def: $vgpr37
                                        ; implicit-def: $vgpr22_vgpr23
	s_delay_alu instid0(VALU_DEP_1)
	v_cndmask_b32_e64 v17, v17, v25, s9
	v_cndmask_b32_e64 v16, v16, v24, s9
; %bb.16:                               ;   in Loop: Header=BB33_10 Depth=2
	s_or_saveexec_b32 s9, s11
	v_dual_mov_b32 v25, v15 :: v_dual_mov_b32 v24, v14
	s_xor_b32 exec_lo, exec_lo, s9
	s_cbranch_execz .LBB33_9
; %bb.17:                               ;   in Loop: Header=BB33_10 Depth=2
	global_load_b32 v4, v[18:19], off
	v_subrev_nc_u32_e32 v24, s39, v37
	s_delay_alu instid0(VALU_DEP_1)
	v_add_lshl_u32 v37, v26, v24, 2
	v_dual_mov_b32 v25, v23 :: v_dual_mov_b32 v24, v22
	ds_store_b8 v3, v36 offset:4096
	s_waitcnt vmcnt(0)
	ds_store_b32 v37, v4
	s_branch .LBB33_9
.LBB33_18:                              ;   in Loop: Header=BB33_7 Depth=1
	s_or_b32 exec_lo, exec_lo, s38
.LBB33_19:                              ;   in Loop: Header=BB33_7 Depth=1
	s_delay_alu instid0(SALU_CYCLE_1)
	s_or_b32 exec_lo, exec_lo, s37
	ds_bpermute_b32 v14, v27, v24
	ds_bpermute_b32 v15, v27, v25
	s_waitcnt lgkmcnt(0)
	s_barrier
	buffer_gl0_inv
	ds_load_u8 v4, v3 offset:4096
	s_mov_b64 s[26:27], 0
	v_cmp_lt_i64_e32 vcc_lo, v[14:15], v[24:25]
	v_dual_cndmask_b32 v15, v25, v15 :: v_dual_cndmask_b32 v14, v24, v14
	ds_bpermute_b32 v19, v28, v15
	ds_bpermute_b32 v18, v28, v14
	s_waitcnt lgkmcnt(0)
	v_cmp_lt_i64_e32 vcc_lo, v[18:19], v[14:15]
	v_dual_cndmask_b32 v15, v15, v19 :: v_dual_cndmask_b32 v14, v14, v18
	ds_bpermute_b32 v19, v31, v15
	ds_bpermute_b32 v18, v31, v14
	s_waitcnt lgkmcnt(0)
	v_cmp_lt_i64_e32 vcc_lo, v[18:19], v[14:15]
	v_dual_cndmask_b32 v15, v15, v19 :: v_dual_cndmask_b32 v14, v14, v18
	v_cmp_eq_u32_e32 vcc_lo, 0, v4
	ds_bpermute_b32 v15, v32, v15
	ds_bpermute_b32 v14, v32, v14
	s_cbranch_vccnz .LBB33_26
; %bb.20:                               ;   in Loop: Header=BB33_7 Depth=1
	s_add_u32 s24, s24, s29
	s_addc_u32 s25, s25, 0
	s_lshl_b64 s[26:27], s[22:23], 3
	s_mul_i32 s9, s30, s23
	s_mul_hi_u32 s11, s30, s22
	s_add_u32 s26, s16, s26
	s_addc_u32 s27, s17, s27
	s_add_i32 s9, s11, s9
	s_mul_i32 s11, s31, s22
	s_mul_i32 s38, s30, s22
	s_add_i32 s39, s9, s11
	v_dual_mov_b32 v21, s24 :: v_dual_mov_b32 v22, s25
	s_lshl_b64 s[24:25], s[38:39], 2
	s_delay_alu instid0(SALU_CYCLE_1)
	v_add_co_u32 v4, vcc_lo, v29, s24
	v_add_co_ci_u32_e32 v18, vcc_lo, s25, v30, vcc_lo
	v_add_co_u32 v19, vcc_lo, v33, s24
	v_add_co_ci_u32_e32 v20, vcc_lo, s25, v34, vcc_lo
	global_store_b64 v3, v[21:22], s[26:27]
	s_and_saveexec_b32 s9, s33
	s_cbranch_execnz .LBB33_42
; %bb.21:                               ;   in Loop: Header=BB33_7 Depth=1
	s_or_b32 exec_lo, exec_lo, s9
	s_and_saveexec_b32 s9, s34
	s_cbranch_execnz .LBB33_43
.LBB33_22:                              ;   in Loop: Header=BB33_7 Depth=1
	s_or_b32 exec_lo, exec_lo, s9
	s_and_saveexec_b32 s9, s35
	s_cbranch_execnz .LBB33_44
.LBB33_23:                              ;   in Loop: Header=BB33_7 Depth=1
	s_or_b32 exec_lo, exec_lo, s9
	s_and_saveexec_b32 s9, s36
	s_cbranch_execz .LBB33_25
.LBB33_24:                              ;   in Loop: Header=BB33_7 Depth=1
	ds_load_b32 v21, v0 offset:96
	v_add_co_u32 v22, vcc_lo, 0x60, v19
	v_add_co_ci_u32_e32 v19, vcc_lo, 0, v20, vcc_lo
	v_add_co_u32 v4, vcc_lo, v4, v12
	v_add_co_ci_u32_e32 v18, vcc_lo, v18, v13, vcc_lo
	s_delay_alu instid0(VALU_DEP_1) | instskip(NEXT) | instid1(VALU_DEP_3)
	v_cndmask_b32_e64 v19, v18, v19, s0
	v_cndmask_b32_e64 v18, v4, v22, s0
	s_waitcnt lgkmcnt(0)
	global_store_b32 v[18:19], v21, off
.LBB33_25:                              ;   in Loop: Header=BB33_7 Depth=1
	s_or_b32 exec_lo, exec_lo, s9
	s_mov_b64 s[26:27], 1
.LBB33_26:                              ;   in Loop: Header=BB33_7 Depth=1
	s_waitcnt lgkmcnt(0)
	s_waitcnt_vscnt null, 0x0
	s_barrier
	buffer_gl0_inv
	ds_store_b64 v35, v[16:17]
	s_waitcnt lgkmcnt(0)
	s_barrier
	buffer_gl0_inv
	s_and_saveexec_b32 s9, s1
	s_cbranch_execz .LBB33_28
; %bb.27:                               ;   in Loop: Header=BB33_7 Depth=1
	ds_load_2addr_stride64_b64 v[16:19], v35 offset1:2
	s_waitcnt lgkmcnt(0)
	v_cmp_lt_i64_e32 vcc_lo, v[18:19], v[16:17]
	v_dual_cndmask_b32 v17, v17, v19 :: v_dual_cndmask_b32 v16, v16, v18
	ds_store_b64 v35, v[16:17]
.LBB33_28:                              ;   in Loop: Header=BB33_7 Depth=1
	s_or_b32 exec_lo, exec_lo, s9
	s_waitcnt lgkmcnt(0)
	s_barrier
	buffer_gl0_inv
	s_and_saveexec_b32 s9, s2
	s_cbranch_execz .LBB33_30
; %bb.29:                               ;   in Loop: Header=BB33_7 Depth=1
	ds_load_2addr_stride64_b64 v[16:19], v35 offset1:1
	s_waitcnt lgkmcnt(0)
	v_cmp_lt_i64_e32 vcc_lo, v[18:19], v[16:17]
	v_dual_cndmask_b32 v17, v17, v19 :: v_dual_cndmask_b32 v16, v16, v18
	ds_store_b64 v35, v[16:17]
.LBB33_30:                              ;   in Loop: Header=BB33_7 Depth=1
	s_or_b32 exec_lo, exec_lo, s9
	s_waitcnt lgkmcnt(0)
	s_barrier
	buffer_gl0_inv
	s_and_saveexec_b32 s9, s3
	s_cbranch_execz .LBB33_32
; %bb.31:                               ;   in Loop: Header=BB33_7 Depth=1
	ds_load_2addr_b64 v[16:19], v35 offset1:32
	s_waitcnt lgkmcnt(0)
	v_cmp_lt_i64_e32 vcc_lo, v[18:19], v[16:17]
	v_dual_cndmask_b32 v17, v17, v19 :: v_dual_cndmask_b32 v16, v16, v18
	ds_store_b64 v35, v[16:17]
.LBB33_32:                              ;   in Loop: Header=BB33_7 Depth=1
	s_or_b32 exec_lo, exec_lo, s9
	s_waitcnt lgkmcnt(0)
	s_barrier
	buffer_gl0_inv
	s_and_saveexec_b32 s9, s4
	s_cbranch_execz .LBB33_34
; %bb.33:                               ;   in Loop: Header=BB33_7 Depth=1
	ds_load_2addr_b64 v[16:19], v35 offset1:16
	s_waitcnt lgkmcnt(0)
	v_cmp_lt_i64_e32 vcc_lo, v[18:19], v[16:17]
	v_dual_cndmask_b32 v17, v17, v19 :: v_dual_cndmask_b32 v16, v16, v18
	ds_store_b64 v35, v[16:17]
.LBB33_34:                              ;   in Loop: Header=BB33_7 Depth=1
	s_or_b32 exec_lo, exec_lo, s9
	s_waitcnt lgkmcnt(0)
	s_barrier
	buffer_gl0_inv
	s_and_saveexec_b32 s9, s5
	s_cbranch_execz .LBB33_36
; %bb.35:                               ;   in Loop: Header=BB33_7 Depth=1
	ds_load_2addr_b64 v[16:19], v35 offset1:8
	s_waitcnt lgkmcnt(0)
	v_cmp_lt_i64_e32 vcc_lo, v[18:19], v[16:17]
	v_dual_cndmask_b32 v17, v17, v19 :: v_dual_cndmask_b32 v16, v16, v18
	ds_store_b64 v35, v[16:17]
.LBB33_36:                              ;   in Loop: Header=BB33_7 Depth=1
	s_or_b32 exec_lo, exec_lo, s9
	s_waitcnt lgkmcnt(0)
	s_barrier
	buffer_gl0_inv
	s_and_saveexec_b32 s9, s6
	s_cbranch_execz .LBB33_38
; %bb.37:                               ;   in Loop: Header=BB33_7 Depth=1
	ds_load_2addr_b64 v[16:19], v35 offset1:4
	s_waitcnt lgkmcnt(0)
	v_cmp_lt_i64_e32 vcc_lo, v[18:19], v[16:17]
	v_dual_cndmask_b32 v17, v17, v19 :: v_dual_cndmask_b32 v16, v16, v18
	ds_store_b64 v35, v[16:17]
.LBB33_38:                              ;   in Loop: Header=BB33_7 Depth=1
	s_or_b32 exec_lo, exec_lo, s9
	s_waitcnt lgkmcnt(0)
	s_barrier
	buffer_gl0_inv
	s_and_saveexec_b32 s9, s7
	s_cbranch_execz .LBB33_40
; %bb.39:                               ;   in Loop: Header=BB33_7 Depth=1
	ds_load_2addr_b64 v[16:19], v35 offset1:2
	s_waitcnt lgkmcnt(0)
	v_cmp_lt_i64_e32 vcc_lo, v[18:19], v[16:17]
	v_dual_cndmask_b32 v17, v17, v19 :: v_dual_cndmask_b32 v16, v16, v18
	ds_store_b64 v35, v[16:17]
.LBB33_40:                              ;   in Loop: Header=BB33_7 Depth=1
	s_or_b32 exec_lo, exec_lo, s9
	s_waitcnt lgkmcnt(0)
	s_barrier
	buffer_gl0_inv
	s_and_saveexec_b32 s9, s8
	s_cbranch_execz .LBB33_6
; %bb.41:                               ;   in Loop: Header=BB33_7 Depth=1
	ds_load_b128 v[16:19], v3
	s_waitcnt lgkmcnt(0)
	v_cmp_lt_i64_e32 vcc_lo, v[18:19], v[16:17]
	v_dual_cndmask_b32 v17, v17, v19 :: v_dual_cndmask_b32 v16, v16, v18
	ds_store_b64 v3, v[16:17]
	s_branch .LBB33_6
.LBB33_42:                              ;   in Loop: Header=BB33_7 Depth=1
	ds_load_b32 v23, v0
	v_add_co_u32 v21, vcc_lo, v4, v6
	v_add_co_ci_u32_e32 v22, vcc_lo, v18, v7, vcc_lo
	s_delay_alu instid0(VALU_DEP_2) | instskip(NEXT) | instid1(VALU_DEP_2)
	v_cndmask_b32_e64 v21, v21, v19, s0
	v_cndmask_b32_e64 v22, v22, v20, s0
	s_waitcnt lgkmcnt(0)
	global_store_b32 v[21:22], v23, off
	s_or_b32 exec_lo, exec_lo, s9
	s_and_saveexec_b32 s9, s34
	s_cbranch_execz .LBB33_22
.LBB33_43:                              ;   in Loop: Header=BB33_7 Depth=1
	ds_load_b32 v23, v0 offset:32
	v_add_co_u32 v21, vcc_lo, v19, 32
	v_add_co_ci_u32_e32 v22, vcc_lo, 0, v20, vcc_lo
	v_add_co_u32 v24, vcc_lo, v4, v8
	v_add_co_ci_u32_e32 v25, vcc_lo, v18, v9, vcc_lo
	s_delay_alu instid0(VALU_DEP_2) | instskip(NEXT) | instid1(VALU_DEP_2)
	v_cndmask_b32_e64 v21, v24, v21, s0
	v_cndmask_b32_e64 v22, v25, v22, s0
	s_waitcnt lgkmcnt(0)
	global_store_b32 v[21:22], v23, off
	s_or_b32 exec_lo, exec_lo, s9
	s_and_saveexec_b32 s9, s35
	s_cbranch_execz .LBB33_23
.LBB33_44:                              ;   in Loop: Header=BB33_7 Depth=1
	ds_load_b32 v23, v0 offset:64
	v_add_co_u32 v21, vcc_lo, v19, 64
	v_add_co_ci_u32_e32 v22, vcc_lo, 0, v20, vcc_lo
	v_add_co_u32 v24, vcc_lo, v4, v10
	v_add_co_ci_u32_e32 v25, vcc_lo, v18, v11, vcc_lo
	s_delay_alu instid0(VALU_DEP_2) | instskip(NEXT) | instid1(VALU_DEP_2)
	v_cndmask_b32_e64 v21, v24, v21, s0
	v_cndmask_b32_e64 v22, v25, v22, s0
	s_waitcnt lgkmcnt(0)
	global_store_b32 v[21:22], v23, off
	s_or_b32 exec_lo, exec_lo, s9
	s_and_saveexec_b32 s9, s36
	s_cbranch_execnz .LBB33_24
	s_branch .LBB33_25
.LBB33_45:
	s_endpgm
	.section	.rodata,"a",@progbits
	.p2align	6, 0x0
	.amdhsa_kernel _ZN9rocsparseL38csr2bsr_block_per_row_multipass_kernelILj256ELj32EillEEv20rocsparse_direction_T3_S2_S2_S2_S2_21rocsparse_index_base_PKT1_PKT2_PKS2_S3_PS4_PS7_PS2_
		.amdhsa_group_segment_fixed_size 4100
		.amdhsa_private_segment_fixed_size 0
		.amdhsa_kernarg_size 112
		.amdhsa_user_sgpr_count 15
		.amdhsa_user_sgpr_dispatch_ptr 0
		.amdhsa_user_sgpr_queue_ptr 0
		.amdhsa_user_sgpr_kernarg_segment_ptr 1
		.amdhsa_user_sgpr_dispatch_id 0
		.amdhsa_user_sgpr_private_segment_size 0
		.amdhsa_wavefront_size32 1
		.amdhsa_uses_dynamic_stack 0
		.amdhsa_enable_private_segment 0
		.amdhsa_system_sgpr_workgroup_id_x 1
		.amdhsa_system_sgpr_workgroup_id_y 0
		.amdhsa_system_sgpr_workgroup_id_z 0
		.amdhsa_system_sgpr_workgroup_info 0
		.amdhsa_system_vgpr_workitem_id 0
		.amdhsa_next_free_vgpr 47
		.amdhsa_next_free_sgpr 41
		.amdhsa_reserve_vcc 1
		.amdhsa_float_round_mode_32 0
		.amdhsa_float_round_mode_16_64 0
		.amdhsa_float_denorm_mode_32 3
		.amdhsa_float_denorm_mode_16_64 3
		.amdhsa_dx10_clamp 1
		.amdhsa_ieee_mode 1
		.amdhsa_fp16_overflow 0
		.amdhsa_workgroup_processor_mode 1
		.amdhsa_memory_ordered 1
		.amdhsa_forward_progress 0
		.amdhsa_shared_vgpr_count 0
		.amdhsa_exception_fp_ieee_invalid_op 0
		.amdhsa_exception_fp_denorm_src 0
		.amdhsa_exception_fp_ieee_div_zero 0
		.amdhsa_exception_fp_ieee_overflow 0
		.amdhsa_exception_fp_ieee_underflow 0
		.amdhsa_exception_fp_ieee_inexact 0
		.amdhsa_exception_int_div_zero 0
	.end_amdhsa_kernel
	.section	.text._ZN9rocsparseL38csr2bsr_block_per_row_multipass_kernelILj256ELj32EillEEv20rocsparse_direction_T3_S2_S2_S2_S2_21rocsparse_index_base_PKT1_PKT2_PKS2_S3_PS4_PS7_PS2_,"axG",@progbits,_ZN9rocsparseL38csr2bsr_block_per_row_multipass_kernelILj256ELj32EillEEv20rocsparse_direction_T3_S2_S2_S2_S2_21rocsparse_index_base_PKT1_PKT2_PKS2_S3_PS4_PS7_PS2_,comdat
.Lfunc_end33:
	.size	_ZN9rocsparseL38csr2bsr_block_per_row_multipass_kernelILj256ELj32EillEEv20rocsparse_direction_T3_S2_S2_S2_S2_21rocsparse_index_base_PKT1_PKT2_PKS2_S3_PS4_PS7_PS2_, .Lfunc_end33-_ZN9rocsparseL38csr2bsr_block_per_row_multipass_kernelILj256ELj32EillEEv20rocsparse_direction_T3_S2_S2_S2_S2_21rocsparse_index_base_PKT1_PKT2_PKS2_S3_PS4_PS7_PS2_
                                        ; -- End function
	.section	.AMDGPU.csdata,"",@progbits
; Kernel info:
; codeLenInByte = 3444
; NumSgprs: 43
; NumVgprs: 47
; ScratchSize: 0
; MemoryBound: 0
; FloatMode: 240
; IeeeMode: 1
; LDSByteSize: 4100 bytes/workgroup (compile time only)
; SGPRBlocks: 5
; VGPRBlocks: 5
; NumSGPRsForWavesPerEU: 43
; NumVGPRsForWavesPerEU: 47
; Occupancy: 16
; WaveLimiterHint : 1
; COMPUTE_PGM_RSRC2:SCRATCH_EN: 0
; COMPUTE_PGM_RSRC2:USER_SGPR: 15
; COMPUTE_PGM_RSRC2:TRAP_HANDLER: 0
; COMPUTE_PGM_RSRC2:TGID_X_EN: 1
; COMPUTE_PGM_RSRC2:TGID_Y_EN: 0
; COMPUTE_PGM_RSRC2:TGID_Z_EN: 0
; COMPUTE_PGM_RSRC2:TIDIG_COMP_CNT: 0
	.section	.text._ZN9rocsparseL38csr2bsr_block_per_row_multipass_kernelILj256ELj64EillEEv20rocsparse_direction_T3_S2_S2_S2_S2_21rocsparse_index_base_PKT1_PKT2_PKS2_S3_PS4_PS7_PS2_,"axG",@progbits,_ZN9rocsparseL38csr2bsr_block_per_row_multipass_kernelILj256ELj64EillEEv20rocsparse_direction_T3_S2_S2_S2_S2_21rocsparse_index_base_PKT1_PKT2_PKS2_S3_PS4_PS7_PS2_,comdat
	.globl	_ZN9rocsparseL38csr2bsr_block_per_row_multipass_kernelILj256ELj64EillEEv20rocsparse_direction_T3_S2_S2_S2_S2_21rocsparse_index_base_PKT1_PKT2_PKS2_S3_PS4_PS7_PS2_ ; -- Begin function _ZN9rocsparseL38csr2bsr_block_per_row_multipass_kernelILj256ELj64EillEEv20rocsparse_direction_T3_S2_S2_S2_S2_21rocsparse_index_base_PKT1_PKT2_PKS2_S3_PS4_PS7_PS2_
	.p2align	8
	.type	_ZN9rocsparseL38csr2bsr_block_per_row_multipass_kernelILj256ELj64EillEEv20rocsparse_direction_T3_S2_S2_S2_S2_21rocsparse_index_base_PKT1_PKT2_PKS2_S3_PS4_PS7_PS2_,@function
_ZN9rocsparseL38csr2bsr_block_per_row_multipass_kernelILj256ELj64EillEEv20rocsparse_direction_T3_S2_S2_S2_S2_21rocsparse_index_base_PKT1_PKT2_PKS2_S3_PS4_PS7_PS2_: ; @_ZN9rocsparseL38csr2bsr_block_per_row_multipass_kernelILj256ELj64EillEEv20rocsparse_direction_T3_S2_S2_S2_S2_21rocsparse_index_base_PKT1_PKT2_PKS2_S3_PS4_PS7_PS2_
; %bb.0:
	s_mov_b32 s2, s15
	s_clause 0x1
	s_load_b128 s[12:15], s[0:1], 0x20
	s_load_b64 s[6:7], s[0:1], 0x8
	v_mov_b32_e32 v5, 0
	v_lshrrev_b32_e32 v4, 2, v0
	v_mov_b32_e32 v1, 0
	v_mov_b32_e32 v2, 0
	s_clause 0x1
	s_load_b32 s28, s[0:1], 0x30
	s_load_b64 s[4:5], s[0:1], 0x40
	s_ashr_i32 s3, s2, 31
	v_dual_mov_b32 v39, v2 :: v_dual_mov_b32 v38, v1
	s_waitcnt lgkmcnt(0)
	v_mad_u64_u32 v[6:7], null, s2, s14, v[4:5]
	s_mul_i32 s8, s2, s15
	s_mul_i32 s9, s3, s14
	s_delay_alu instid0(VALU_DEP_1) | instid1(SALU_CYCLE_1)
	v_add3_u32 v7, s8, s9, v7
	v_cmp_gt_i64_e64 s9, s[14:15], v[4:5]
	s_delay_alu instid0(VALU_DEP_2) | instskip(NEXT) | instid1(VALU_DEP_2)
	v_cmp_gt_i64_e32 vcc_lo, s[6:7], v[6:7]
	s_and_b32 s6, s9, vcc_lo
	s_delay_alu instid0(SALU_CYCLE_1)
	s_and_saveexec_b32 s7, s6
	s_cbranch_execnz .LBB34_3
; %bb.1:
	s_or_b32 exec_lo, exec_lo, s7
	s_and_saveexec_b32 s7, s6
	s_cbranch_execnz .LBB34_4
.LBB34_2:
	s_or_b32 exec_lo, exec_lo, s7
	v_cmp_lt_i64_e64 s4, s[12:13], 1
	s_delay_alu instid0(VALU_DEP_1)
	s_and_b32 vcc_lo, exec_lo, s4
	s_cbranch_vccz .LBB34_5
	s_branch .LBB34_69
.LBB34_3:
	v_lshlrev_b64 v[8:9], 3, v[6:7]
	s_delay_alu instid0(VALU_DEP_1) | instskip(NEXT) | instid1(VALU_DEP_2)
	v_add_co_u32 v8, vcc_lo, s4, v8
	v_add_co_ci_u32_e32 v9, vcc_lo, s5, v9, vcc_lo
	global_load_b64 v[8:9], v[8:9], off
	s_waitcnt vmcnt(0)
	v_sub_co_u32 v38, vcc_lo, v8, s28
	v_subrev_co_ci_u32_e32 v39, vcc_lo, 0, v9, vcc_lo
	s_or_b32 exec_lo, exec_lo, s7
	s_and_saveexec_b32 s7, s6
	s_cbranch_execz .LBB34_2
.LBB34_4:
	v_lshlrev_b64 v[1:2], 3, v[6:7]
	s_delay_alu instid0(VALU_DEP_1) | instskip(NEXT) | instid1(VALU_DEP_2)
	v_add_co_u32 v1, vcc_lo, s4, v1
	v_add_co_ci_u32_e32 v2, vcc_lo, s5, v2, vcc_lo
	global_load_b64 v[1:2], v[1:2], off offset:8
	s_waitcnt vmcnt(0)
	v_sub_co_u32 v1, vcc_lo, v1, s28
	v_subrev_co_ci_u32_e32 v2, vcc_lo, 0, v2, vcc_lo
	s_or_b32 exec_lo, exec_lo, s7
	v_cmp_lt_i64_e64 s4, s[12:13], 1
	s_delay_alu instid0(VALU_DEP_1)
	s_and_b32 vcc_lo, exec_lo, s4
	s_cbranch_vccnz .LBB34_69
.LBB34_5:
	v_mad_u64_u32 v[7:8], null, v4, s14, 0
	v_mbcnt_lo_u32_b32 v11, -1, 0
	s_clause 0x2
	s_load_b128 s[4:7], s[0:1], 0x58
	s_load_b64 s[16:17], s[0:1], 0x68
	s_load_b32 s29, s[0:1], 0x50
	v_and_b32_e32 v5, 3, v0
	v_dual_mov_b32 v3, 0 :: v_dual_lshlrev_b32 v10, 2, v4
	v_xor_b32_e32 v12, 2, v11
	v_mov_b32_e32 v6, v8
	s_mul_i32 s8, s14, s15
	s_mul_hi_u32 s10, s14, s14
	s_clause 0x2
	s_load_b64 s[18:19], s[0:1], 0x48
	s_load_b64 s[20:21], s[0:1], 0x38
	s_load_b32 s11, s[0:1], 0x0
	v_cmp_gt_i32_e32 vcc_lo, 32, v12
	v_mad_u64_u32 v[8:9], null, v4, s15, v[6:7]
	v_xor_b32_e32 v9, 1, v11
	v_lshlrev_b32_e32 v50, 6, v4
	v_cndmask_b32_e32 v4, v11, v12, vcc_lo
	s_lshl_b64 s[0:1], s[2:3], 3
	s_add_i32 s2, s10, s8
	v_cmp_gt_i32_e32 vcc_lo, 32, v9
	v_lshlrev_b64 v[7:8], 2, v[7:8]
	s_add_i32 s31, s2, s8
	s_waitcnt lgkmcnt(0)
	s_add_u32 s0, s6, s0
	s_addc_u32 s1, s7, s1
	v_cndmask_b32_e32 v9, v11, v9, vcc_lo
	s_load_b64 s[0:1], s[0:1], 0x0
	v_mov_b32_e32 v6, v3
	v_lshl_or_b32 v51, v11, 2, 12
	v_lshlrev_b32_e32 v11, 2, v5
	v_lshlrev_b32_e32 v53, 2, v9
	;; [unrolled: 1-line block ×3, first 2 shown]
	v_add_co_u32 v4, vcc_lo, s4, v7
	v_add_co_ci_u32_e32 v7, vcc_lo, s5, v8, vcc_lo
	v_add_co_u32 v54, s2, s4, v10
	s_delay_alu instid0(VALU_DEP_3) | instskip(NEXT) | instid1(VALU_DEP_3)
	v_add_co_u32 v56, vcc_lo, v4, v11
	v_add_co_ci_u32_e32 v57, vcc_lo, 0, v7, vcc_lo
	v_or_b32_e32 v7, 4, v5
	v_mad_u64_u32 v[9:10], null, v5, s14, 0
	v_or_b32_e32 v4, v50, v5
	s_waitcnt lgkmcnt(0)
	s_sub_u32 s22, s0, s29
	v_mad_u64_u32 v[11:12], null, v7, s14, 0
	v_add_co_ci_u32_e64 v55, null, s5, 0, s2
	s_subb_u32 s23, s1, 0
	v_lshlrev_b32_e32 v58, 3, v0
	v_cmp_gt_u32_e64 s1, 0x80, v0
	v_cmp_gt_u32_e64 s2, 64, v0
	;; [unrolled: 1-line block ×7, first 2 shown]
	v_cmp_eq_u32_e64 s8, 0, v0
	v_lshlrev_b32_e32 v0, 2, v4
	v_mov_b32_e32 v4, v10
	v_cmp_gt_i64_e32 vcc_lo, s[14:15], v[5:6]
	v_mov_b32_e32 v6, v12
	v_mov_b32_e32 v8, v3
	s_cmp_eq_u32 s11, 0
	v_mad_u64_u32 v[12:13], null, v5, s15, v[4:5]
	s_delay_alu instid0(VALU_DEP_3)
	v_mad_u64_u32 v[15:16], null, v7, s15, v[6:7]
	v_or_b32_e32 v6, 12, v5
	v_or_b32_e32 v13, 8, v5
	v_cmp_gt_i64_e64 s10, s[14:15], v[7:8]
	v_mov_b32_e32 v7, v3
	s_cselect_b32 s0, -1, 0
	v_mad_u64_u32 v[18:19], null, v6, s14, 0
	v_mad_u64_u32 v[16:17], null, v13, s14, 0
	v_mov_b32_e32 v14, v3
	s_and_b32 s34, s9, s10
	v_cmp_gt_i64_e64 s10, s[14:15], v[6:7]
	v_or_b32_e32 v7, 16, v5
	v_mov_b32_e32 v8, v19
	s_and_b32 s33, s9, vcc_lo
	v_mov_b32_e32 v4, v17
	v_mov_b32_e32 v10, v12
	;; [unrolled: 1-line block ×3, first 2 shown]
	v_mad_u64_u32 v[19:20], null, v6, s15, v[8:9]
	v_cmp_gt_i64_e32 vcc_lo, s[14:15], v[13:14]
	v_mad_u64_u32 v[14:15], null, v13, s15, v[4:5]
	v_or_b32_e32 v13, 20, v5
	v_mad_u64_u32 v[20:21], null, v7, s14, 0
	v_mov_b32_e32 v8, v3
	s_and_b32 s35, s9, vcc_lo
	s_delay_alu instid0(VALU_DEP_3) | instskip(SKIP_1) | instid1(VALU_DEP_4)
	v_mad_u64_u32 v[22:23], null, v13, s14, 0
	v_dual_mov_b32 v17, v14 :: v_dual_mov_b32 v14, v3
	v_dual_mov_b32 v4, v21 :: v_dual_mov_b32 v43, v3
	v_cmp_gt_i64_e32 vcc_lo, s[14:15], v[7:8]
	s_and_b32 s36, s9, s10
	s_delay_alu instid0(VALU_DEP_4) | instskip(NEXT) | instid1(VALU_DEP_3)
	v_mov_b32_e32 v6, v23
	v_mad_u64_u32 v[23:24], null, v7, s15, v[4:5]
	v_or_b32_e32 v7, 24, v5
	v_cmp_gt_i64_e64 s10, s[14:15], v[13:14]
	s_and_b32 s37, s9, vcc_lo
	v_or_b32_e32 v42, 60, v5
	s_mul_i32 s30, s14, s14
	v_mad_u64_u32 v[14:15], null, v13, s15, v[6:7]
	v_or_b32_e32 v13, 28, v5
	v_mad_u64_u32 v[24:25], null, v7, s14, 0
	v_mov_b32_e32 v21, v23
	v_cmp_gt_i64_e32 vcc_lo, s[14:15], v[7:8]
	s_delay_alu instid0(VALU_DEP_4)
	v_mad_u64_u32 v[26:27], null, v13, s14, 0
	v_dual_mov_b32 v23, v14 :: v_dual_mov_b32 v14, v3
	v_mov_b32_e32 v4, v25
	s_and_b32 s38, s9, s10
	s_and_b32 s39, s9, vcc_lo
	v_mad_u64_u32 v[46:47], null, v42, s14, 0
	s_delay_alu instid0(VALU_DEP_4) | instskip(SKIP_3) | instid1(VALU_DEP_2)
	v_mov_b32_e32 v6, v27
	v_mad_u64_u32 v[27:28], null, v7, s15, v[4:5]
	v_or_b32_e32 v7, 32, v5
	v_cmp_gt_i64_e64 s10, s[14:15], v[13:14]
	v_mad_u64_u32 v[14:15], null, v13, s15, v[6:7]
	v_or_b32_e32 v13, 36, v5
	v_mad_u64_u32 v[28:29], null, v7, s14, 0
	v_cmp_gt_i64_e32 vcc_lo, s[14:15], v[7:8]
	v_mov_b32_e32 v25, v27
	s_delay_alu instid0(VALU_DEP_4) | instskip(SKIP_4) | instid1(VALU_DEP_3)
	v_mad_u64_u32 v[30:31], null, v13, s14, 0
	v_dual_mov_b32 v27, v14 :: v_dual_mov_b32 v14, v3
	v_mov_b32_e32 v4, v29
	s_and_b32 s40, s9, s10
	s_and_b32 s41, s9, vcc_lo
	v_mov_b32_e32 v6, v31
	s_delay_alu instid0(VALU_DEP_2) | instskip(SKIP_2) | instid1(VALU_DEP_2)
	v_mad_u64_u32 v[31:32], null, v7, s15, v[4:5]
	v_or_b32_e32 v7, 40, v5
	v_cmp_gt_i64_e64 s10, s[14:15], v[13:14]
	v_mad_u64_u32 v[32:33], null, v7, s14, 0
	v_mad_u64_u32 v[14:15], null, v13, s15, v[6:7]
	v_or_b32_e32 v13, 44, v5
	v_or_b32_e32 v6, 48, v5
	v_mov_b32_e32 v29, v31
	s_and_b32 s42, s9, s10
	v_mov_b32_e32 v4, v33
	v_mad_u64_u32 v[34:35], null, v13, s14, 0
	v_dual_mov_b32 v31, v14 :: v_dual_mov_b32 v14, v3
	s_delay_alu instid0(VALU_DEP_3) | instskip(NEXT) | instid1(VALU_DEP_3)
	v_mad_u64_u32 v[36:37], null, v7, s15, v[4:5]
	v_mov_b32_e32 v4, v35
	s_delay_alu instid0(VALU_DEP_3) | instskip(NEXT) | instid1(VALU_DEP_3)
	v_cmp_gt_i64_e64 s10, s[14:15], v[13:14]
	v_mov_b32_e32 v33, v36
	v_mad_u64_u32 v[36:37], null, v6, s14, 0
	s_delay_alu instid0(VALU_DEP_4) | instskip(SKIP_3) | instid1(VALU_DEP_4)
	v_mad_u64_u32 v[14:15], null, v13, s15, v[4:5]
	v_or_b32_e32 v13, 56, v5
	s_and_b32 s44, s9, s10
	v_cmp_gt_i64_e64 s10, s[14:15], v[42:43]
	v_mov_b32_e32 v4, v37
	s_delay_alu instid0(VALU_DEP_3) | instskip(SKIP_1) | instid1(VALU_DEP_4)
	v_mad_u64_u32 v[44:45], null, v13, s14, 0
	v_mov_b32_e32 v35, v14
	s_and_b32 s48, s9, s10
	s_delay_alu instid0(VALU_DEP_3) | instskip(SKIP_1) | instid1(VALU_DEP_1)
	v_mad_u64_u32 v[48:49], null, v6, s15, v[4:5]
	s_mov_b64 s[10:11], 0
	v_dual_mov_b32 v4, v45 :: v_dual_mov_b32 v37, v48
	v_cmp_gt_i64_e32 vcc_lo, s[14:15], v[7:8]
	v_mov_b32_e32 v7, v3
	s_and_b32 s43, s9, vcc_lo
	s_delay_alu instid0(VALU_DEP_1) | instskip(SKIP_2) | instid1(VALU_DEP_2)
	v_cmp_gt_i64_e32 vcc_lo, s[14:15], v[6:7]
	v_or_b32_e32 v7, 52, v5
	v_mov_b32_e32 v6, v47
	v_mad_u64_u32 v[40:41], null, v7, s14, 0
	s_and_b32 s45, s9, vcc_lo
	v_cmp_gt_i64_e32 vcc_lo, s[14:15], v[7:8]
	s_delay_alu instid0(VALU_DEP_2) | instskip(SKIP_1) | instid1(VALU_DEP_1)
	v_mov_b32_e32 v14, v41
	s_and_b32 s46, s9, vcc_lo
	v_mad_u64_u32 v[59:60], null, v7, s15, v[14:15]
	v_mad_u64_u32 v[7:8], null, v13, s15, v[4:5]
	v_mov_b32_e32 v14, v3
	s_delay_alu instid0(VALU_DEP_3) | instskip(NEXT) | instid1(VALU_DEP_2)
	v_mov_b32_e32 v41, v59
	v_cmp_gt_i64_e32 vcc_lo, s[14:15], v[13:14]
	s_delay_alu instid0(VALU_DEP_4)
	v_mov_b32_e32 v45, v7
	v_mad_u64_u32 v[60:61], null, v42, s15, v[6:7]
	v_lshlrev_b64 v[6:7], 2, v[9:10]
	v_lshlrev_b64 v[8:9], 2, v[11:12]
	;; [unrolled: 1-line block ×6, first 2 shown]
	v_mov_b32_e32 v47, v60
	v_lshlrev_b64 v[18:19], 2, v[24:25]
	v_lshlrev_b64 v[20:21], 2, v[26:27]
	;; [unrolled: 1-line block ×10, first 2 shown]
	v_mov_b32_e32 v59, 1
	s_and_b32 s47, s9, vcc_lo
	s_branch .LBB34_7
.LBB34_6:                               ;   in Loop: Header=BB34_7 Depth=1
	s_or_b32 exec_lo, exec_lo, s9
	s_waitcnt lgkmcnt(0)
	s_barrier
	buffer_gl0_inv
	ds_load_b64 v[40:41], v3
	s_add_u32 s22, s24, s22
	s_addc_u32 s23, s25, s23
	s_waitcnt lgkmcnt(0)
	s_barrier
	buffer_gl0_inv
	v_cmp_gt_i64_e32 vcc_lo, s[12:13], v[40:41]
	v_readfirstlane_b32 s10, v40
	v_readfirstlane_b32 s11, v41
	s_cbranch_vccz .LBB34_69
.LBB34_7:                               ; =>This Loop Header: Depth=1
                                        ;     Child Loop BB34_10 Depth 2
	v_add_co_u32 v38, vcc_lo, v38, v5
	v_add_co_ci_u32_e32 v39, vcc_lo, 0, v39, vcc_lo
	v_dual_mov_b32 v41, s13 :: v_dual_mov_b32 v40, s12
	v_dual_mov_b32 v49, v2 :: v_dual_mov_b32 v48, v1
	s_mov_b32 s49, exec_lo
	ds_store_b8 v3, v3 offset:16384
	ds_store_2addr_b32 v0, v3, v3 offset1:4
	ds_store_2addr_b32 v0, v3, v3 offset0:8 offset1:12
	ds_store_2addr_b32 v0, v3, v3 offset0:16 offset1:20
	;; [unrolled: 1-line block ×7, first 2 shown]
	s_waitcnt lgkmcnt(0)
	s_barrier
	buffer_gl0_inv
	v_cmpx_lt_i64_e64 v[38:39], v[1:2]
	s_cbranch_execz .LBB34_19
; %bb.8:                                ;   in Loop: Header=BB34_7 Depth=1
	v_lshlrev_b64 v[40:41], 2, v[38:39]
	v_lshlrev_b64 v[44:45], 3, v[38:39]
	v_dual_mov_b32 v47, v2 :: v_dual_mov_b32 v46, v1
	s_mul_i32 s51, s10, s14
	s_mov_b32 s50, 0
	s_delay_alu instid0(VALU_DEP_3)
	v_add_co_u32 v42, vcc_lo, s20, v40
	v_add_co_ci_u32_e32 v43, vcc_lo, s21, v41, vcc_lo
	v_add_co_u32 v44, vcc_lo, s18, v44
	v_add_co_ci_u32_e32 v45, vcc_lo, s19, v45, vcc_lo
	v_dual_mov_b32 v41, s13 :: v_dual_mov_b32 v40, s12
	s_branch .LBB34_10
.LBB34_9:                               ;   in Loop: Header=BB34_10 Depth=2
	s_or_b32 exec_lo, exec_lo, s9
	v_add_co_u32 v38, s9, v38, 4
	s_delay_alu instid0(VALU_DEP_1) | instskip(SKIP_2) | instid1(VALU_DEP_2)
	v_add_co_ci_u32_e64 v39, s9, 0, v39, s9
	s_xor_b32 s24, vcc_lo, -1
	v_add_co_u32 v42, vcc_lo, v42, 16
	v_cmp_ge_i64_e64 s9, v[38:39], v[1:2]
	v_add_co_ci_u32_e32 v43, vcc_lo, 0, v43, vcc_lo
	v_add_co_u32 v44, vcc_lo, v44, 32
	v_add_co_ci_u32_e32 v45, vcc_lo, 0, v45, vcc_lo
	s_delay_alu instid0(VALU_DEP_4) | instskip(SKIP_2) | instid1(SALU_CYCLE_1)
	s_or_b32 s9, s24, s9
	v_dual_mov_b32 v46, v48 :: v_dual_mov_b32 v47, v49
	s_and_b32 s9, exec_lo, s9
	s_or_b32 s50, s9, s50
	s_delay_alu instid0(SALU_CYCLE_1)
	s_and_not1_b32 exec_lo, exec_lo, s50
	s_cbranch_execz .LBB34_18
.LBB34_10:                              ;   Parent Loop BB34_7 Depth=1
                                        ; =>  This Inner Loop Header: Depth=2
	global_load_b64 v[48:49], v[44:45], off
	s_mov_b32 s9, exec_lo
	s_waitcnt vmcnt(0)
	v_sub_co_u32 v60, vcc_lo, v48, s28
	v_subrev_co_ci_u32_e32 v61, vcc_lo, 0, v49, vcc_lo
                                        ; implicit-def: $vgpr48_vgpr49
	s_delay_alu instid0(VALU_DEP_1) | instskip(NEXT) | instid1(VALU_DEP_1)
	v_or_b32_e32 v4, s15, v61
	v_cmpx_ne_u64_e32 0, v[3:4]
	s_xor_b32 s52, exec_lo, s9
	s_cbranch_execz .LBB34_12
; %bb.11:                               ;   in Loop: Header=BB34_10 Depth=2
	s_ashr_i32 s24, s15, 31
	s_delay_alu instid0(SALU_CYCLE_1) | instskip(SKIP_2) | instid1(SALU_CYCLE_1)
	s_add_u32 s26, s14, s24
	s_mov_b32 s25, s24
	s_addc_u32 s27, s15, s24
	s_xor_b64 s[26:27], s[26:27], s[24:25]
	s_delay_alu instid0(SALU_CYCLE_1) | instskip(SKIP_3) | instid1(VALU_DEP_1)
	v_cvt_f32_u32_e32 v4, s26
	v_cvt_f32_u32_e32 v48, s27
	s_sub_u32 s9, 0, s26
	s_subb_u32 s25, 0, s27
	v_fmac_f32_e32 v4, 0x4f800000, v48
	s_delay_alu instid0(VALU_DEP_1) | instskip(SKIP_2) | instid1(VALU_DEP_1)
	v_rcp_f32_e32 v4, v4
	s_waitcnt_depctr 0xfff
	v_mul_f32_e32 v4, 0x5f7ffffc, v4
	v_mul_f32_e32 v48, 0x2f800000, v4
	s_delay_alu instid0(VALU_DEP_1) | instskip(NEXT) | instid1(VALU_DEP_1)
	v_trunc_f32_e32 v48, v48
	v_fmac_f32_e32 v4, 0xcf800000, v48
	v_cvt_u32_f32_e32 v48, v48
	s_delay_alu instid0(VALU_DEP_2) | instskip(NEXT) | instid1(VALU_DEP_2)
	v_cvt_u32_f32_e32 v4, v4
	v_mul_lo_u32 v49, s9, v48
	s_delay_alu instid0(VALU_DEP_2) | instskip(SKIP_1) | instid1(VALU_DEP_2)
	v_mul_hi_u32 v62, s9, v4
	v_mul_lo_u32 v63, s25, v4
	v_add_nc_u32_e32 v49, v62, v49
	v_mul_lo_u32 v62, s9, v4
	s_delay_alu instid0(VALU_DEP_2) | instskip(NEXT) | instid1(VALU_DEP_2)
	v_add_nc_u32_e32 v49, v49, v63
	v_mul_hi_u32 v63, v4, v62
	s_delay_alu instid0(VALU_DEP_2)
	v_mul_lo_u32 v64, v4, v49
	v_mul_hi_u32 v65, v4, v49
	v_mul_hi_u32 v66, v48, v62
	v_mul_lo_u32 v62, v48, v62
	v_mul_hi_u32 v67, v48, v49
	v_mul_lo_u32 v49, v48, v49
	v_add_co_u32 v63, vcc_lo, v63, v64
	v_add_co_ci_u32_e32 v64, vcc_lo, 0, v65, vcc_lo
	s_delay_alu instid0(VALU_DEP_2) | instskip(NEXT) | instid1(VALU_DEP_2)
	v_add_co_u32 v62, vcc_lo, v63, v62
	v_add_co_ci_u32_e32 v62, vcc_lo, v64, v66, vcc_lo
	v_add_co_ci_u32_e32 v63, vcc_lo, 0, v67, vcc_lo
	v_ashrrev_i32_e32 v66, 31, v61
	s_delay_alu instid0(VALU_DEP_3) | instskip(NEXT) | instid1(VALU_DEP_3)
	v_add_co_u32 v49, vcc_lo, v62, v49
	v_add_co_ci_u32_e32 v62, vcc_lo, 0, v63, vcc_lo
	s_delay_alu instid0(VALU_DEP_2) | instskip(NEXT) | instid1(VALU_DEP_2)
	v_add_co_u32 v4, vcc_lo, v4, v49
	v_add_co_ci_u32_e32 v48, vcc_lo, v48, v62, vcc_lo
	s_delay_alu instid0(VALU_DEP_2) | instskip(SKIP_1) | instid1(VALU_DEP_3)
	v_mul_hi_u32 v49, s9, v4
	v_mul_lo_u32 v63, s25, v4
	v_mul_lo_u32 v62, s9, v48
	s_delay_alu instid0(VALU_DEP_1) | instskip(SKIP_1) | instid1(VALU_DEP_2)
	v_add_nc_u32_e32 v49, v49, v62
	v_mul_lo_u32 v62, s9, v4
	v_add_nc_u32_e32 v49, v49, v63
	s_delay_alu instid0(VALU_DEP_2) | instskip(NEXT) | instid1(VALU_DEP_2)
	v_mul_hi_u32 v63, v4, v62
	v_mul_lo_u32 v64, v4, v49
	v_mul_hi_u32 v65, v4, v49
	v_mul_hi_u32 v67, v48, v62
	v_mul_lo_u32 v62, v48, v62
	v_mul_hi_u32 v68, v48, v49
	v_mul_lo_u32 v49, v48, v49
	v_add_co_u32 v63, vcc_lo, v63, v64
	v_add_co_ci_u32_e32 v64, vcc_lo, 0, v65, vcc_lo
	s_delay_alu instid0(VALU_DEP_2) | instskip(NEXT) | instid1(VALU_DEP_2)
	v_add_co_u32 v62, vcc_lo, v63, v62
	v_add_co_ci_u32_e32 v62, vcc_lo, v64, v67, vcc_lo
	v_add_co_ci_u32_e32 v63, vcc_lo, 0, v68, vcc_lo
	v_add_co_u32 v64, vcc_lo, v60, v66
	v_add_co_ci_u32_e32 v61, vcc_lo, v61, v66, vcc_lo
	s_delay_alu instid0(VALU_DEP_4) | instskip(NEXT) | instid1(VALU_DEP_4)
	v_add_co_u32 v49, vcc_lo, v62, v49
	v_add_co_ci_u32_e32 v62, vcc_lo, 0, v63, vcc_lo
	s_delay_alu instid0(VALU_DEP_4) | instskip(NEXT) | instid1(VALU_DEP_3)
	v_xor_b32_e32 v65, v64, v66
	v_add_co_u32 v4, vcc_lo, v4, v49
	s_delay_alu instid0(VALU_DEP_3) | instskip(SKIP_1) | instid1(VALU_DEP_3)
	v_add_co_ci_u32_e32 v67, vcc_lo, v48, v62, vcc_lo
	v_xor_b32_e32 v68, v61, v66
	v_mul_hi_u32 v69, v65, v4
	s_delay_alu instid0(VALU_DEP_3) | instskip(NEXT) | instid1(VALU_DEP_3)
	v_mad_u64_u32 v[48:49], null, v65, v67, 0
	v_mad_u64_u32 v[61:62], null, v68, v4, 0
	;; [unrolled: 1-line block ×3, first 2 shown]
	s_delay_alu instid0(VALU_DEP_3) | instskip(NEXT) | instid1(VALU_DEP_4)
	v_add_co_u32 v4, vcc_lo, v69, v48
	v_add_co_ci_u32_e32 v48, vcc_lo, 0, v49, vcc_lo
	s_delay_alu instid0(VALU_DEP_2) | instskip(NEXT) | instid1(VALU_DEP_2)
	v_add_co_u32 v4, vcc_lo, v4, v61
	v_add_co_ci_u32_e32 v4, vcc_lo, v48, v62, vcc_lo
	v_add_co_ci_u32_e32 v48, vcc_lo, 0, v64, vcc_lo
	s_delay_alu instid0(VALU_DEP_2) | instskip(NEXT) | instid1(VALU_DEP_2)
	v_add_co_u32 v4, vcc_lo, v4, v63
	v_add_co_ci_u32_e32 v61, vcc_lo, 0, v48, vcc_lo
	s_delay_alu instid0(VALU_DEP_2) | instskip(SKIP_1) | instid1(VALU_DEP_3)
	v_mul_lo_u32 v62, s27, v4
	v_mad_u64_u32 v[48:49], null, s26, v4, 0
	v_mul_lo_u32 v63, s26, v61
	s_delay_alu instid0(VALU_DEP_2) | instskip(NEXT) | instid1(VALU_DEP_2)
	v_sub_co_u32 v48, vcc_lo, v65, v48
	v_add3_u32 v49, v49, v63, v62
	s_delay_alu instid0(VALU_DEP_1) | instskip(NEXT) | instid1(VALU_DEP_1)
	v_sub_nc_u32_e32 v62, v68, v49
	v_subrev_co_ci_u32_e64 v62, s9, s27, v62, vcc_lo
	v_add_co_u32 v63, s9, v4, 2
	s_delay_alu instid0(VALU_DEP_1) | instskip(SKIP_3) | instid1(VALU_DEP_3)
	v_add_co_ci_u32_e64 v64, s9, 0, v61, s9
	v_sub_co_u32 v65, s9, v48, s26
	v_sub_co_ci_u32_e32 v49, vcc_lo, v68, v49, vcc_lo
	v_subrev_co_ci_u32_e64 v62, s9, 0, v62, s9
	v_cmp_le_u32_e32 vcc_lo, s26, v65
	s_delay_alu instid0(VALU_DEP_3) | instskip(SKIP_1) | instid1(VALU_DEP_4)
	v_cmp_eq_u32_e64 s9, s27, v49
	v_cndmask_b32_e64 v65, 0, -1, vcc_lo
	v_cmp_le_u32_e32 vcc_lo, s27, v62
	v_cndmask_b32_e64 v67, 0, -1, vcc_lo
	v_cmp_le_u32_e32 vcc_lo, s26, v48
	;; [unrolled: 2-line block ×3, first 2 shown]
	v_cndmask_b32_e64 v68, 0, -1, vcc_lo
	v_cmp_eq_u32_e32 vcc_lo, s27, v62
	s_delay_alu instid0(VALU_DEP_2) | instskip(SKIP_3) | instid1(VALU_DEP_3)
	v_cndmask_b32_e64 v48, v68, v48, s9
	v_cndmask_b32_e32 v62, v67, v65, vcc_lo
	v_add_co_u32 v65, vcc_lo, v4, 1
	v_add_co_ci_u32_e32 v67, vcc_lo, 0, v61, vcc_lo
	v_cmp_ne_u32_e32 vcc_lo, 0, v62
	s_delay_alu instid0(VALU_DEP_2) | instskip(SKIP_2) | instid1(VALU_DEP_3)
	v_dual_cndmask_b32 v49, v67, v64 :: v_dual_cndmask_b32 v62, v65, v63
	v_cmp_ne_u32_e32 vcc_lo, 0, v48
	v_xor_b32_e32 v63, s24, v66
	v_cndmask_b32_e32 v4, v4, v62, vcc_lo
	s_delay_alu instid0(VALU_DEP_4) | instskip(NEXT) | instid1(VALU_DEP_2)
	v_cndmask_b32_e32 v48, v61, v49, vcc_lo
	v_xor_b32_e32 v4, v4, v63
	s_delay_alu instid0(VALU_DEP_2) | instskip(NEXT) | instid1(VALU_DEP_2)
	v_xor_b32_e32 v49, v48, v63
	v_sub_co_u32 v48, vcc_lo, v4, v63
	s_delay_alu instid0(VALU_DEP_2)
	v_sub_co_ci_u32_e32 v49, vcc_lo, v49, v63, vcc_lo
.LBB34_12:                              ;   in Loop: Header=BB34_10 Depth=2
	s_and_not1_saveexec_b32 s9, s52
	s_cbranch_execz .LBB34_14
; %bb.13:                               ;   in Loop: Header=BB34_10 Depth=2
	v_cvt_f32_u32_e32 v4, s14
	s_sub_i32 s24, 0, s14
	s_delay_alu instid0(VALU_DEP_1) | instskip(SKIP_2) | instid1(VALU_DEP_1)
	v_rcp_iflag_f32_e32 v4, v4
	s_waitcnt_depctr 0xfff
	v_mul_f32_e32 v4, 0x4f7ffffe, v4
	v_cvt_u32_f32_e32 v4, v4
	s_delay_alu instid0(VALU_DEP_1) | instskip(NEXT) | instid1(VALU_DEP_1)
	v_mul_lo_u32 v48, s24, v4
	v_mul_hi_u32 v48, v4, v48
	s_delay_alu instid0(VALU_DEP_1) | instskip(NEXT) | instid1(VALU_DEP_1)
	v_add_nc_u32_e32 v4, v4, v48
	v_mul_hi_u32 v4, v60, v4
	s_delay_alu instid0(VALU_DEP_1) | instskip(NEXT) | instid1(VALU_DEP_1)
	v_mul_lo_u32 v48, v4, s14
	v_sub_nc_u32_e32 v48, v60, v48
	s_delay_alu instid0(VALU_DEP_1) | instskip(SKIP_1) | instid1(VALU_DEP_2)
	v_subrev_nc_u32_e32 v61, s14, v48
	v_cmp_le_u32_e32 vcc_lo, s14, v48
	v_dual_cndmask_b32 v48, v48, v61 :: v_dual_add_nc_u32 v49, 1, v4
	s_delay_alu instid0(VALU_DEP_1) | instskip(NEXT) | instid1(VALU_DEP_2)
	v_cndmask_b32_e32 v4, v4, v49, vcc_lo
	v_cmp_le_u32_e32 vcc_lo, s14, v48
	s_delay_alu instid0(VALU_DEP_2) | instskip(NEXT) | instid1(VALU_DEP_1)
	v_add_nc_u32_e32 v49, 1, v4
	v_dual_cndmask_b32 v48, v4, v49 :: v_dual_mov_b32 v49, v3
.LBB34_14:                              ;   in Loop: Header=BB34_10 Depth=2
	s_or_b32 exec_lo, exec_lo, s9
	s_delay_alu instid0(VALU_DEP_1)
	v_cmp_eq_u64_e32 vcc_lo, s[10:11], v[48:49]
	s_mov_b32 s24, exec_lo
	v_cmpx_ne_u64_e64 s[10:11], v[48:49]
	s_xor_b32 s24, exec_lo, s24
; %bb.15:                               ;   in Loop: Header=BB34_10 Depth=2
	v_cmp_lt_i64_e64 s9, v[48:49], v[40:41]
                                        ; implicit-def: $vgpr60
                                        ; implicit-def: $vgpr46_vgpr47
	s_delay_alu instid0(VALU_DEP_1)
	v_cndmask_b32_e64 v41, v41, v49, s9
	v_cndmask_b32_e64 v40, v40, v48, s9
; %bb.16:                               ;   in Loop: Header=BB34_10 Depth=2
	s_or_saveexec_b32 s9, s24
	v_dual_mov_b32 v49, v39 :: v_dual_mov_b32 v48, v38
	s_xor_b32 exec_lo, exec_lo, s9
	s_cbranch_execz .LBB34_9
; %bb.17:                               ;   in Loop: Header=BB34_10 Depth=2
	global_load_b32 v4, v[42:43], off
	v_subrev_nc_u32_e32 v48, s51, v60
	s_delay_alu instid0(VALU_DEP_1)
	v_add_lshl_u32 v60, v50, v48, 2
	v_dual_mov_b32 v49, v47 :: v_dual_mov_b32 v48, v46
	ds_store_b8 v3, v59 offset:16384
	s_waitcnt vmcnt(0)
	ds_store_b32 v60, v4
	s_branch .LBB34_9
.LBB34_18:                              ;   in Loop: Header=BB34_7 Depth=1
	s_or_b32 exec_lo, exec_lo, s50
.LBB34_19:                              ;   in Loop: Header=BB34_7 Depth=1
	s_delay_alu instid0(SALU_CYCLE_1)
	s_or_b32 exec_lo, exec_lo, s49
	ds_bpermute_b32 v38, v52, v48
	ds_bpermute_b32 v39, v52, v49
	s_waitcnt lgkmcnt(0)
	s_barrier
	buffer_gl0_inv
	ds_load_u8 v4, v3 offset:16384
	s_mov_b64 s[24:25], 0
	v_cmp_lt_i64_e32 vcc_lo, v[38:39], v[48:49]
	v_dual_cndmask_b32 v39, v49, v39 :: v_dual_cndmask_b32 v38, v48, v38
	ds_bpermute_b32 v43, v53, v39
	ds_bpermute_b32 v42, v53, v38
	s_waitcnt lgkmcnt(0)
	v_cmp_lt_i64_e32 vcc_lo, v[42:43], v[38:39]
	v_dual_cndmask_b32 v39, v39, v43 :: v_dual_cndmask_b32 v38, v38, v42
	v_cmp_eq_u32_e32 vcc_lo, 0, v4
	ds_bpermute_b32 v39, v51, v39
	ds_bpermute_b32 v38, v51, v38
	s_cbranch_vccnz .LBB34_38
; %bb.20:                               ;   in Loop: Header=BB34_7 Depth=1
	s_add_u32 s10, s10, s29
	s_addc_u32 s11, s11, 0
	s_lshl_b64 s[24:25], s[22:23], 3
	s_mul_i32 s9, s30, s23
	s_mul_hi_u32 s26, s30, s22
	s_add_u32 s24, s16, s24
	s_addc_u32 s25, s17, s25
	s_add_i32 s9, s26, s9
	s_mul_i32 s26, s31, s22
	v_dual_mov_b32 v46, s11 :: v_dual_mov_b32 v45, s10
	s_add_i32 s27, s9, s26
	s_mul_i32 s26, s30, s22
	s_delay_alu instid0(SALU_CYCLE_1)
	s_lshl_b64 s[10:11], s[26:27], 2
	global_store_b64 v3, v[45:46], s[24:25]
	v_add_co_u32 v4, vcc_lo, v54, s10
	v_add_co_ci_u32_e32 v42, vcc_lo, s11, v55, vcc_lo
	v_add_co_u32 v43, vcc_lo, v56, s10
	v_add_co_ci_u32_e32 v44, vcc_lo, s11, v57, vcc_lo
	s_and_saveexec_b32 s9, s33
	s_cbranch_execnz .LBB34_54
; %bb.21:                               ;   in Loop: Header=BB34_7 Depth=1
	s_or_b32 exec_lo, exec_lo, s9
	s_and_saveexec_b32 s9, s34
	s_cbranch_execnz .LBB34_55
.LBB34_22:                              ;   in Loop: Header=BB34_7 Depth=1
	s_or_b32 exec_lo, exec_lo, s9
	s_and_saveexec_b32 s9, s35
	s_cbranch_execnz .LBB34_56
.LBB34_23:                              ;   in Loop: Header=BB34_7 Depth=1
	s_or_b32 exec_lo, exec_lo, s9
	s_and_saveexec_b32 s9, s36
	s_cbranch_execnz .LBB34_57
.LBB34_24:                              ;   in Loop: Header=BB34_7 Depth=1
	s_or_b32 exec_lo, exec_lo, s9
	s_and_saveexec_b32 s9, s37
	s_cbranch_execnz .LBB34_58
.LBB34_25:                              ;   in Loop: Header=BB34_7 Depth=1
	s_or_b32 exec_lo, exec_lo, s9
	s_and_saveexec_b32 s9, s38
	s_cbranch_execnz .LBB34_59
.LBB34_26:                              ;   in Loop: Header=BB34_7 Depth=1
	s_or_b32 exec_lo, exec_lo, s9
	s_and_saveexec_b32 s9, s39
	s_cbranch_execnz .LBB34_60
.LBB34_27:                              ;   in Loop: Header=BB34_7 Depth=1
	s_or_b32 exec_lo, exec_lo, s9
	s_and_saveexec_b32 s9, s40
	s_cbranch_execnz .LBB34_61
.LBB34_28:                              ;   in Loop: Header=BB34_7 Depth=1
	s_or_b32 exec_lo, exec_lo, s9
	s_and_saveexec_b32 s9, s41
	s_cbranch_execnz .LBB34_62
.LBB34_29:                              ;   in Loop: Header=BB34_7 Depth=1
	s_or_b32 exec_lo, exec_lo, s9
	s_and_saveexec_b32 s9, s42
	s_cbranch_execnz .LBB34_63
.LBB34_30:                              ;   in Loop: Header=BB34_7 Depth=1
	s_or_b32 exec_lo, exec_lo, s9
	s_and_saveexec_b32 s9, s43
	s_cbranch_execnz .LBB34_64
.LBB34_31:                              ;   in Loop: Header=BB34_7 Depth=1
	s_or_b32 exec_lo, exec_lo, s9
	s_and_saveexec_b32 s9, s44
	s_cbranch_execnz .LBB34_65
.LBB34_32:                              ;   in Loop: Header=BB34_7 Depth=1
	s_or_b32 exec_lo, exec_lo, s9
	s_and_saveexec_b32 s9, s45
	s_cbranch_execnz .LBB34_66
.LBB34_33:                              ;   in Loop: Header=BB34_7 Depth=1
	s_or_b32 exec_lo, exec_lo, s9
	s_and_saveexec_b32 s9, s46
	s_cbranch_execnz .LBB34_67
.LBB34_34:                              ;   in Loop: Header=BB34_7 Depth=1
	s_or_b32 exec_lo, exec_lo, s9
	s_and_saveexec_b32 s9, s47
	s_cbranch_execnz .LBB34_68
.LBB34_35:                              ;   in Loop: Header=BB34_7 Depth=1
	s_or_b32 exec_lo, exec_lo, s9
	s_and_saveexec_b32 s9, s48
	s_cbranch_execz .LBB34_37
.LBB34_36:                              ;   in Loop: Header=BB34_7 Depth=1
	ds_load_b32 v45, v0 offset:240
	v_add_co_u32 v46, vcc_lo, 0xf0, v43
	v_add_co_ci_u32_e32 v43, vcc_lo, 0, v44, vcc_lo
	v_add_co_u32 v4, vcc_lo, v4, v36
	v_add_co_ci_u32_e32 v42, vcc_lo, v42, v37, vcc_lo
	s_delay_alu instid0(VALU_DEP_1) | instskip(NEXT) | instid1(VALU_DEP_3)
	v_cndmask_b32_e64 v43, v42, v43, s0
	v_cndmask_b32_e64 v42, v4, v46, s0
	s_waitcnt lgkmcnt(0)
	global_store_b32 v[42:43], v45, off
.LBB34_37:                              ;   in Loop: Header=BB34_7 Depth=1
	s_or_b32 exec_lo, exec_lo, s9
	s_mov_b64 s[24:25], 1
.LBB34_38:                              ;   in Loop: Header=BB34_7 Depth=1
	s_waitcnt lgkmcnt(0)
	s_waitcnt_vscnt null, 0x0
	s_barrier
	buffer_gl0_inv
	ds_store_b64 v58, v[40:41]
	s_waitcnt lgkmcnt(0)
	s_barrier
	buffer_gl0_inv
	s_and_saveexec_b32 s9, s1
	s_cbranch_execz .LBB34_40
; %bb.39:                               ;   in Loop: Header=BB34_7 Depth=1
	ds_load_2addr_stride64_b64 v[40:43], v58 offset1:2
	s_waitcnt lgkmcnt(0)
	v_cmp_lt_i64_e32 vcc_lo, v[42:43], v[40:41]
	v_dual_cndmask_b32 v41, v41, v43 :: v_dual_cndmask_b32 v40, v40, v42
	ds_store_b64 v58, v[40:41]
.LBB34_40:                              ;   in Loop: Header=BB34_7 Depth=1
	s_or_b32 exec_lo, exec_lo, s9
	s_waitcnt lgkmcnt(0)
	s_barrier
	buffer_gl0_inv
	s_and_saveexec_b32 s9, s2
	s_cbranch_execz .LBB34_42
; %bb.41:                               ;   in Loop: Header=BB34_7 Depth=1
	ds_load_2addr_stride64_b64 v[40:43], v58 offset1:1
	s_waitcnt lgkmcnt(0)
	v_cmp_lt_i64_e32 vcc_lo, v[42:43], v[40:41]
	v_dual_cndmask_b32 v41, v41, v43 :: v_dual_cndmask_b32 v40, v40, v42
	ds_store_b64 v58, v[40:41]
.LBB34_42:                              ;   in Loop: Header=BB34_7 Depth=1
	s_or_b32 exec_lo, exec_lo, s9
	s_waitcnt lgkmcnt(0)
	s_barrier
	buffer_gl0_inv
	s_and_saveexec_b32 s9, s3
	s_cbranch_execz .LBB34_44
; %bb.43:                               ;   in Loop: Header=BB34_7 Depth=1
	ds_load_2addr_b64 v[40:43], v58 offset1:32
	s_waitcnt lgkmcnt(0)
	v_cmp_lt_i64_e32 vcc_lo, v[42:43], v[40:41]
	v_dual_cndmask_b32 v41, v41, v43 :: v_dual_cndmask_b32 v40, v40, v42
	ds_store_b64 v58, v[40:41]
.LBB34_44:                              ;   in Loop: Header=BB34_7 Depth=1
	s_or_b32 exec_lo, exec_lo, s9
	s_waitcnt lgkmcnt(0)
	s_barrier
	buffer_gl0_inv
	s_and_saveexec_b32 s9, s4
	s_cbranch_execz .LBB34_46
; %bb.45:                               ;   in Loop: Header=BB34_7 Depth=1
	ds_load_2addr_b64 v[40:43], v58 offset1:16
	s_waitcnt lgkmcnt(0)
	v_cmp_lt_i64_e32 vcc_lo, v[42:43], v[40:41]
	v_dual_cndmask_b32 v41, v41, v43 :: v_dual_cndmask_b32 v40, v40, v42
	ds_store_b64 v58, v[40:41]
.LBB34_46:                              ;   in Loop: Header=BB34_7 Depth=1
	;; [unrolled: 13-line block ×5, first 2 shown]
	s_or_b32 exec_lo, exec_lo, s9
	s_waitcnt lgkmcnt(0)
	s_barrier
	buffer_gl0_inv
	s_and_saveexec_b32 s9, s8
	s_cbranch_execz .LBB34_6
; %bb.53:                               ;   in Loop: Header=BB34_7 Depth=1
	ds_load_b128 v[40:43], v3
	s_waitcnt lgkmcnt(0)
	v_cmp_lt_i64_e32 vcc_lo, v[42:43], v[40:41]
	v_dual_cndmask_b32 v41, v41, v43 :: v_dual_cndmask_b32 v40, v40, v42
	ds_store_b64 v3, v[40:41]
	s_branch .LBB34_6
.LBB34_54:                              ;   in Loop: Header=BB34_7 Depth=1
	ds_load_b32 v47, v0
	v_add_co_u32 v45, vcc_lo, v4, v6
	v_add_co_ci_u32_e32 v46, vcc_lo, v42, v7, vcc_lo
	s_delay_alu instid0(VALU_DEP_2) | instskip(NEXT) | instid1(VALU_DEP_2)
	v_cndmask_b32_e64 v45, v45, v43, s0
	v_cndmask_b32_e64 v46, v46, v44, s0
	s_waitcnt lgkmcnt(0)
	global_store_b32 v[45:46], v47, off
	s_or_b32 exec_lo, exec_lo, s9
	s_and_saveexec_b32 s9, s34
	s_cbranch_execz .LBB34_22
.LBB34_55:                              ;   in Loop: Header=BB34_7 Depth=1
	ds_load_b32 v47, v0 offset:16
	v_add_co_u32 v45, vcc_lo, v43, 16
	v_add_co_ci_u32_e32 v46, vcc_lo, 0, v44, vcc_lo
	v_add_co_u32 v48, vcc_lo, v4, v8
	v_add_co_ci_u32_e32 v49, vcc_lo, v42, v9, vcc_lo
	s_delay_alu instid0(VALU_DEP_2) | instskip(NEXT) | instid1(VALU_DEP_2)
	v_cndmask_b32_e64 v45, v48, v45, s0
	v_cndmask_b32_e64 v46, v49, v46, s0
	s_waitcnt lgkmcnt(0)
	global_store_b32 v[45:46], v47, off
	s_or_b32 exec_lo, exec_lo, s9
	s_and_saveexec_b32 s9, s35
	s_cbranch_execz .LBB34_23
.LBB34_56:                              ;   in Loop: Header=BB34_7 Depth=1
	ds_load_b32 v47, v0 offset:32
	v_add_co_u32 v45, vcc_lo, v43, 32
	v_add_co_ci_u32_e32 v46, vcc_lo, 0, v44, vcc_lo
	v_add_co_u32 v48, vcc_lo, v4, v10
	v_add_co_ci_u32_e32 v49, vcc_lo, v42, v11, vcc_lo
	s_delay_alu instid0(VALU_DEP_2) | instskip(NEXT) | instid1(VALU_DEP_2)
	v_cndmask_b32_e64 v45, v48, v45, s0
	v_cndmask_b32_e64 v46, v49, v46, s0
	s_waitcnt lgkmcnt(0)
	global_store_b32 v[45:46], v47, off
	s_or_b32 exec_lo, exec_lo, s9
	s_and_saveexec_b32 s9, s36
	s_cbranch_execz .LBB34_24
.LBB34_57:                              ;   in Loop: Header=BB34_7 Depth=1
	ds_load_b32 v47, v0 offset:48
	v_add_co_u32 v45, vcc_lo, v43, 48
	v_add_co_ci_u32_e32 v46, vcc_lo, 0, v44, vcc_lo
	v_add_co_u32 v48, vcc_lo, v4, v12
	v_add_co_ci_u32_e32 v49, vcc_lo, v42, v13, vcc_lo
	s_delay_alu instid0(VALU_DEP_2) | instskip(NEXT) | instid1(VALU_DEP_2)
	v_cndmask_b32_e64 v45, v48, v45, s0
	v_cndmask_b32_e64 v46, v49, v46, s0
	s_waitcnt lgkmcnt(0)
	global_store_b32 v[45:46], v47, off
	s_or_b32 exec_lo, exec_lo, s9
	s_and_saveexec_b32 s9, s37
	s_cbranch_execz .LBB34_25
.LBB34_58:                              ;   in Loop: Header=BB34_7 Depth=1
	ds_load_b32 v47, v0 offset:64
	v_add_co_u32 v45, vcc_lo, v43, 64
	v_add_co_ci_u32_e32 v46, vcc_lo, 0, v44, vcc_lo
	v_add_co_u32 v48, vcc_lo, v4, v14
	v_add_co_ci_u32_e32 v49, vcc_lo, v42, v15, vcc_lo
	s_delay_alu instid0(VALU_DEP_2) | instskip(NEXT) | instid1(VALU_DEP_2)
	v_cndmask_b32_e64 v45, v48, v45, s0
	v_cndmask_b32_e64 v46, v49, v46, s0
	s_waitcnt lgkmcnt(0)
	global_store_b32 v[45:46], v47, off
	s_or_b32 exec_lo, exec_lo, s9
	s_and_saveexec_b32 s9, s38
	s_cbranch_execz .LBB34_26
.LBB34_59:                              ;   in Loop: Header=BB34_7 Depth=1
	ds_load_b32 v47, v0 offset:80
	v_add_co_u32 v45, vcc_lo, 0x50, v43
	v_add_co_ci_u32_e32 v46, vcc_lo, 0, v44, vcc_lo
	v_add_co_u32 v48, vcc_lo, v4, v16
	v_add_co_ci_u32_e32 v49, vcc_lo, v42, v17, vcc_lo
	s_delay_alu instid0(VALU_DEP_2) | instskip(NEXT) | instid1(VALU_DEP_2)
	v_cndmask_b32_e64 v45, v48, v45, s0
	v_cndmask_b32_e64 v46, v49, v46, s0
	s_waitcnt lgkmcnt(0)
	global_store_b32 v[45:46], v47, off
	s_or_b32 exec_lo, exec_lo, s9
	s_and_saveexec_b32 s9, s39
	s_cbranch_execz .LBB34_27
.LBB34_60:                              ;   in Loop: Header=BB34_7 Depth=1
	ds_load_b32 v47, v0 offset:96
	v_add_co_u32 v45, vcc_lo, 0x60, v43
	v_add_co_ci_u32_e32 v46, vcc_lo, 0, v44, vcc_lo
	v_add_co_u32 v48, vcc_lo, v4, v18
	v_add_co_ci_u32_e32 v49, vcc_lo, v42, v19, vcc_lo
	s_delay_alu instid0(VALU_DEP_2) | instskip(NEXT) | instid1(VALU_DEP_2)
	v_cndmask_b32_e64 v45, v48, v45, s0
	v_cndmask_b32_e64 v46, v49, v46, s0
	s_waitcnt lgkmcnt(0)
	global_store_b32 v[45:46], v47, off
	s_or_b32 exec_lo, exec_lo, s9
	s_and_saveexec_b32 s9, s40
	s_cbranch_execz .LBB34_28
.LBB34_61:                              ;   in Loop: Header=BB34_7 Depth=1
	ds_load_b32 v47, v0 offset:112
	v_add_co_u32 v45, vcc_lo, 0x70, v43
	v_add_co_ci_u32_e32 v46, vcc_lo, 0, v44, vcc_lo
	v_add_co_u32 v48, vcc_lo, v4, v20
	v_add_co_ci_u32_e32 v49, vcc_lo, v42, v21, vcc_lo
	s_delay_alu instid0(VALU_DEP_2) | instskip(NEXT) | instid1(VALU_DEP_2)
	v_cndmask_b32_e64 v45, v48, v45, s0
	v_cndmask_b32_e64 v46, v49, v46, s0
	s_waitcnt lgkmcnt(0)
	global_store_b32 v[45:46], v47, off
	s_or_b32 exec_lo, exec_lo, s9
	s_and_saveexec_b32 s9, s41
	s_cbranch_execz .LBB34_29
.LBB34_62:                              ;   in Loop: Header=BB34_7 Depth=1
	ds_load_b32 v47, v0 offset:128
	v_add_co_u32 v45, vcc_lo, 0x80, v43
	v_add_co_ci_u32_e32 v46, vcc_lo, 0, v44, vcc_lo
	v_add_co_u32 v48, vcc_lo, v4, v22
	v_add_co_ci_u32_e32 v49, vcc_lo, v42, v23, vcc_lo
	s_delay_alu instid0(VALU_DEP_2) | instskip(NEXT) | instid1(VALU_DEP_2)
	v_cndmask_b32_e64 v45, v48, v45, s0
	v_cndmask_b32_e64 v46, v49, v46, s0
	s_waitcnt lgkmcnt(0)
	global_store_b32 v[45:46], v47, off
	s_or_b32 exec_lo, exec_lo, s9
	s_and_saveexec_b32 s9, s42
	s_cbranch_execz .LBB34_30
.LBB34_63:                              ;   in Loop: Header=BB34_7 Depth=1
	ds_load_b32 v47, v0 offset:144
	v_add_co_u32 v45, vcc_lo, 0x90, v43
	v_add_co_ci_u32_e32 v46, vcc_lo, 0, v44, vcc_lo
	v_add_co_u32 v48, vcc_lo, v4, v24
	v_add_co_ci_u32_e32 v49, vcc_lo, v42, v25, vcc_lo
	s_delay_alu instid0(VALU_DEP_2) | instskip(NEXT) | instid1(VALU_DEP_2)
	v_cndmask_b32_e64 v45, v48, v45, s0
	v_cndmask_b32_e64 v46, v49, v46, s0
	s_waitcnt lgkmcnt(0)
	global_store_b32 v[45:46], v47, off
	s_or_b32 exec_lo, exec_lo, s9
	s_and_saveexec_b32 s9, s43
	s_cbranch_execz .LBB34_31
.LBB34_64:                              ;   in Loop: Header=BB34_7 Depth=1
	ds_load_b32 v47, v0 offset:160
	v_add_co_u32 v45, vcc_lo, 0xa0, v43
	v_add_co_ci_u32_e32 v46, vcc_lo, 0, v44, vcc_lo
	v_add_co_u32 v48, vcc_lo, v4, v26
	v_add_co_ci_u32_e32 v49, vcc_lo, v42, v27, vcc_lo
	s_delay_alu instid0(VALU_DEP_2) | instskip(NEXT) | instid1(VALU_DEP_2)
	v_cndmask_b32_e64 v45, v48, v45, s0
	v_cndmask_b32_e64 v46, v49, v46, s0
	s_waitcnt lgkmcnt(0)
	global_store_b32 v[45:46], v47, off
	s_or_b32 exec_lo, exec_lo, s9
	s_and_saveexec_b32 s9, s44
	s_cbranch_execz .LBB34_32
.LBB34_65:                              ;   in Loop: Header=BB34_7 Depth=1
	ds_load_b32 v47, v0 offset:176
	v_add_co_u32 v45, vcc_lo, 0xb0, v43
	v_add_co_ci_u32_e32 v46, vcc_lo, 0, v44, vcc_lo
	v_add_co_u32 v48, vcc_lo, v4, v28
	v_add_co_ci_u32_e32 v49, vcc_lo, v42, v29, vcc_lo
	s_delay_alu instid0(VALU_DEP_2) | instskip(NEXT) | instid1(VALU_DEP_2)
	v_cndmask_b32_e64 v45, v48, v45, s0
	v_cndmask_b32_e64 v46, v49, v46, s0
	s_waitcnt lgkmcnt(0)
	global_store_b32 v[45:46], v47, off
	s_or_b32 exec_lo, exec_lo, s9
	s_and_saveexec_b32 s9, s45
	s_cbranch_execz .LBB34_33
.LBB34_66:                              ;   in Loop: Header=BB34_7 Depth=1
	ds_load_b32 v47, v0 offset:192
	v_add_co_u32 v45, vcc_lo, 0xc0, v43
	v_add_co_ci_u32_e32 v46, vcc_lo, 0, v44, vcc_lo
	v_add_co_u32 v48, vcc_lo, v4, v30
	v_add_co_ci_u32_e32 v49, vcc_lo, v42, v31, vcc_lo
	s_delay_alu instid0(VALU_DEP_2) | instskip(NEXT) | instid1(VALU_DEP_2)
	v_cndmask_b32_e64 v45, v48, v45, s0
	v_cndmask_b32_e64 v46, v49, v46, s0
	s_waitcnt lgkmcnt(0)
	global_store_b32 v[45:46], v47, off
	s_or_b32 exec_lo, exec_lo, s9
	s_and_saveexec_b32 s9, s46
	s_cbranch_execz .LBB34_34
.LBB34_67:                              ;   in Loop: Header=BB34_7 Depth=1
	ds_load_b32 v47, v0 offset:208
	v_add_co_u32 v45, vcc_lo, 0xd0, v43
	v_add_co_ci_u32_e32 v46, vcc_lo, 0, v44, vcc_lo
	v_add_co_u32 v48, vcc_lo, v4, v32
	v_add_co_ci_u32_e32 v49, vcc_lo, v42, v33, vcc_lo
	s_delay_alu instid0(VALU_DEP_2) | instskip(NEXT) | instid1(VALU_DEP_2)
	v_cndmask_b32_e64 v45, v48, v45, s0
	v_cndmask_b32_e64 v46, v49, v46, s0
	s_waitcnt lgkmcnt(0)
	global_store_b32 v[45:46], v47, off
	s_or_b32 exec_lo, exec_lo, s9
	s_and_saveexec_b32 s9, s47
	s_cbranch_execz .LBB34_35
.LBB34_68:                              ;   in Loop: Header=BB34_7 Depth=1
	ds_load_b32 v47, v0 offset:224
	v_add_co_u32 v45, vcc_lo, 0xe0, v43
	v_add_co_ci_u32_e32 v46, vcc_lo, 0, v44, vcc_lo
	v_add_co_u32 v48, vcc_lo, v4, v34
	v_add_co_ci_u32_e32 v49, vcc_lo, v42, v35, vcc_lo
	s_delay_alu instid0(VALU_DEP_2) | instskip(NEXT) | instid1(VALU_DEP_2)
	v_cndmask_b32_e64 v45, v48, v45, s0
	v_cndmask_b32_e64 v46, v49, v46, s0
	s_waitcnt lgkmcnt(0)
	global_store_b32 v[45:46], v47, off
	s_or_b32 exec_lo, exec_lo, s9
	s_and_saveexec_b32 s9, s48
	s_cbranch_execnz .LBB34_36
	s_branch .LBB34_37
.LBB34_69:
	s_endpgm
	.section	.rodata,"a",@progbits
	.p2align	6, 0x0
	.amdhsa_kernel _ZN9rocsparseL38csr2bsr_block_per_row_multipass_kernelILj256ELj64EillEEv20rocsparse_direction_T3_S2_S2_S2_S2_21rocsparse_index_base_PKT1_PKT2_PKS2_S3_PS4_PS7_PS2_
		.amdhsa_group_segment_fixed_size 16388
		.amdhsa_private_segment_fixed_size 0
		.amdhsa_kernarg_size 112
		.amdhsa_user_sgpr_count 15
		.amdhsa_user_sgpr_dispatch_ptr 0
		.amdhsa_user_sgpr_queue_ptr 0
		.amdhsa_user_sgpr_kernarg_segment_ptr 1
		.amdhsa_user_sgpr_dispatch_id 0
		.amdhsa_user_sgpr_private_segment_size 0
		.amdhsa_wavefront_size32 1
		.amdhsa_uses_dynamic_stack 0
		.amdhsa_enable_private_segment 0
		.amdhsa_system_sgpr_workgroup_id_x 1
		.amdhsa_system_sgpr_workgroup_id_y 0
		.amdhsa_system_sgpr_workgroup_id_z 0
		.amdhsa_system_sgpr_workgroup_info 0
		.amdhsa_system_vgpr_workitem_id 0
		.amdhsa_next_free_vgpr 70
		.amdhsa_next_free_sgpr 53
		.amdhsa_reserve_vcc 1
		.amdhsa_float_round_mode_32 0
		.amdhsa_float_round_mode_16_64 0
		.amdhsa_float_denorm_mode_32 3
		.amdhsa_float_denorm_mode_16_64 3
		.amdhsa_dx10_clamp 1
		.amdhsa_ieee_mode 1
		.amdhsa_fp16_overflow 0
		.amdhsa_workgroup_processor_mode 1
		.amdhsa_memory_ordered 1
		.amdhsa_forward_progress 0
		.amdhsa_shared_vgpr_count 0
		.amdhsa_exception_fp_ieee_invalid_op 0
		.amdhsa_exception_fp_denorm_src 0
		.amdhsa_exception_fp_ieee_div_zero 0
		.amdhsa_exception_fp_ieee_overflow 0
		.amdhsa_exception_fp_ieee_underflow 0
		.amdhsa_exception_fp_ieee_inexact 0
		.amdhsa_exception_int_div_zero 0
	.end_amdhsa_kernel
	.section	.text._ZN9rocsparseL38csr2bsr_block_per_row_multipass_kernelILj256ELj64EillEEv20rocsparse_direction_T3_S2_S2_S2_S2_21rocsparse_index_base_PKT1_PKT2_PKS2_S3_PS4_PS7_PS2_,"axG",@progbits,_ZN9rocsparseL38csr2bsr_block_per_row_multipass_kernelILj256ELj64EillEEv20rocsparse_direction_T3_S2_S2_S2_S2_21rocsparse_index_base_PKT1_PKT2_PKS2_S3_PS4_PS7_PS2_,comdat
.Lfunc_end34:
	.size	_ZN9rocsparseL38csr2bsr_block_per_row_multipass_kernelILj256ELj64EillEEv20rocsparse_direction_T3_S2_S2_S2_S2_21rocsparse_index_base_PKT1_PKT2_PKS2_S3_PS4_PS7_PS2_, .Lfunc_end34-_ZN9rocsparseL38csr2bsr_block_per_row_multipass_kernelILj256ELj64EillEEv20rocsparse_direction_T3_S2_S2_S2_S2_21rocsparse_index_base_PKT1_PKT2_PKS2_S3_PS4_PS7_PS2_
                                        ; -- End function
	.section	.AMDGPU.csdata,"",@progbits
; Kernel info:
; codeLenInByte = 5176
; NumSgprs: 55
; NumVgprs: 70
; ScratchSize: 0
; MemoryBound: 0
; FloatMode: 240
; IeeeMode: 1
; LDSByteSize: 16388 bytes/workgroup (compile time only)
; SGPRBlocks: 6
; VGPRBlocks: 8
; NumSGPRsForWavesPerEU: 55
; NumVGPRsForWavesPerEU: 70
; Occupancy: 14
; WaveLimiterHint : 1
; COMPUTE_PGM_RSRC2:SCRATCH_EN: 0
; COMPUTE_PGM_RSRC2:USER_SGPR: 15
; COMPUTE_PGM_RSRC2:TRAP_HANDLER: 0
; COMPUTE_PGM_RSRC2:TGID_X_EN: 1
; COMPUTE_PGM_RSRC2:TGID_Y_EN: 0
; COMPUTE_PGM_RSRC2:TGID_Z_EN: 0
; COMPUTE_PGM_RSRC2:TIDIG_COMP_CNT: 0
	.section	.text._ZN9rocsparseL21csr2bsr_65_inf_kernelILj32EillEEv20rocsparse_direction_T2_S2_S2_S2_S2_S2_21rocsparse_index_base_PKT0_PKT1_PKS2_S3_PS4_PS7_PS2_SD_SE_SC_,"axG",@progbits,_ZN9rocsparseL21csr2bsr_65_inf_kernelILj32EillEEv20rocsparse_direction_T2_S2_S2_S2_S2_S2_21rocsparse_index_base_PKT0_PKT1_PKS2_S3_PS4_PS7_PS2_SD_SE_SC_,comdat
	.globl	_ZN9rocsparseL21csr2bsr_65_inf_kernelILj32EillEEv20rocsparse_direction_T2_S2_S2_S2_S2_S2_21rocsparse_index_base_PKT0_PKT1_PKS2_S3_PS4_PS7_PS2_SD_SE_SC_ ; -- Begin function _ZN9rocsparseL21csr2bsr_65_inf_kernelILj32EillEEv20rocsparse_direction_T2_S2_S2_S2_S2_S2_21rocsparse_index_base_PKT0_PKT1_PKS2_S3_PS4_PS7_PS2_SD_SE_SC_
	.p2align	8
	.type	_ZN9rocsparseL21csr2bsr_65_inf_kernelILj32EillEEv20rocsparse_direction_T2_S2_S2_S2_S2_S2_21rocsparse_index_base_PKT0_PKT1_PKS2_S3_PS4_PS7_PS2_SD_SE_SC_,@function
_ZN9rocsparseL21csr2bsr_65_inf_kernelILj32EillEEv20rocsparse_direction_T2_S2_S2_S2_S2_S2_21rocsparse_index_base_PKT0_PKT1_PKS2_S3_PS4_PS7_PS2_SD_SE_SC_: ; @_ZN9rocsparseL21csr2bsr_65_inf_kernelILj32EillEEv20rocsparse_direction_T2_S2_S2_S2_S2_S2_21rocsparse_index_base_PKT0_PKT1_PKS2_S3_PS4_PS7_PS2_SD_SE_SC_
; %bb.0:
	s_clause 0x3
	s_load_b64 s[8:9], s[0:1], 0x18
	s_load_b128 s[4:7], s[0:1], 0x8
	s_load_b64 s[2:3], s[0:1], 0x78
	s_load_b32 s24, s[0:1], 0x58
	s_mov_b32 s12, s15
	s_mov_b32 s13, 0
	s_mov_b64 s[14:15], 0
	s_waitcnt lgkmcnt(0)
	v_cmp_ge_i64_e64 s8, s[12:13], s[8:9]
	s_delay_alu instid0(VALU_DEP_1)
	s_and_b32 vcc_lo, exec_lo, s8
	s_cbranch_vccnz .LBB35_2
; %bb.1:
	s_load_b64 s[8:9], s[0:1], 0x68
	s_lshl_b64 s[10:11], s[12:13], 3
	s_waitcnt lgkmcnt(0)
	s_add_u32 s8, s8, s10
	s_addc_u32 s9, s9, s11
	s_load_b64 s[8:9], s[8:9], 0x0
	s_waitcnt lgkmcnt(0)
	s_sub_u32 s14, s8, s24
	s_subb_u32 s15, s9, 0
.LBB35_2:
	s_clause 0x1
	s_load_b128 s[8:11], s[0:1], 0x28
	s_load_b32 s25, s[0:1], 0x38
	s_waitcnt lgkmcnt(0)
	v_mad_u64_u32 v[6:7], null, v0, s10, 0
	s_mul_i32 s13, s12, s11
	s_mul_hi_u32 s17, s12, s10
	s_mul_i32 s16, s12, s10
	s_add_i32 s17, s17, s13
	v_cmp_gt_i64_e64 s26, s[10:11], 0
	s_lshl_b64 s[16:17], s[16:17], 9
	s_delay_alu instid0(VALU_DEP_2)
	v_mov_b32_e32 v1, v7
	s_add_u32 s13, s2, s16
	s_addc_u32 s16, s3, s17
	s_lshl_b64 s[2:3], s[10:11], 8
	v_cmp_lt_i64_e64 s17, s[10:11], 1
	v_mad_u64_u32 v[2:3], null, v0, s11, v[1:2]
	s_add_u32 s2, s13, s2
	s_addc_u32 s3, s16, s3
	v_mov_b32_e32 v1, 0
	s_delay_alu instid0(VALU_DEP_2) | instskip(NEXT) | instid1(VALU_DEP_1)
	v_mov_b32_e32 v7, v2
	v_lshlrev_b64 v[8:9], 3, v[6:7]
	s_delay_alu instid0(VALU_DEP_1) | instskip(NEXT) | instid1(VALU_DEP_2)
	v_add_co_u32 v2, vcc_lo, s13, v8
	v_add_co_ci_u32_e32 v3, vcc_lo, s16, v9, vcc_lo
	v_add_co_u32 v4, vcc_lo, s2, v8
	v_add_co_ci_u32_e32 v5, vcc_lo, s3, v9, vcc_lo
	s_and_b32 vcc_lo, exec_lo, s17
	s_cbranch_vccnz .LBB35_7
; %bb.3:
	s_load_b64 s[16:17], s[0:1], 0x48
	s_mul_i32 s2, s12, s9
	s_mul_hi_u32 s13, s12, s8
	s_mul_i32 s3, s12, s8
	s_add_i32 s13, s13, s2
	v_add_co_u32 v10, s2, s3, v0
	s_delay_alu instid0(VALU_DEP_1) | instskip(SKIP_2) | instid1(VALU_DEP_2)
	v_add_co_ci_u32_e64 v11, null, s13, 0, s2
	s_mov_b32 s18, 0
	v_dual_mov_b32 v13, v3 :: v_dual_mov_b32 v12, v2
	v_lshlrev_b64 v[14:15], 3, v[10:11]
	s_mov_b32 s19, s18
	v_dual_mov_b32 v11, v5 :: v_dual_mov_b32 v10, v4
	v_dual_mov_b32 v19, v1 :: v_dual_mov_b32 v18, v0
	s_waitcnt lgkmcnt(0)
	s_delay_alu instid0(VALU_DEP_3) | instskip(SKIP_2) | instid1(VALU_DEP_3)
	v_add_co_u32 v16, vcc_lo, v14, s16
	v_add_co_ci_u32_e32 v17, vcc_lo, s17, v15, vcc_lo
	v_dual_mov_b32 v14, s18 :: v_dual_mov_b32 v15, s19
	v_add_co_u32 v16, vcc_lo, v16, 8
	s_delay_alu instid0(VALU_DEP_3)
	v_add_co_ci_u32_e32 v17, vcc_lo, 0, v17, vcc_lo
	s_mov_b64 s[16:17], s[10:11]
	s_set_inst_prefetch_distance 0x1
	s_branch .LBB35_5
	.p2align	6
.LBB35_4:                               ;   in Loop: Header=BB35_5 Depth=1
	s_or_b32 exec_lo, exec_lo, s2
	v_add_co_u32 v18, vcc_lo, v18, 32
	v_add_co_ci_u32_e32 v19, vcc_lo, 0, v19, vcc_lo
	v_add_co_u32 v12, vcc_lo, v12, 8
	v_add_co_ci_u32_e32 v13, vcc_lo, 0, v13, vcc_lo
	;; [unrolled: 2-line block ×3, first 2 shown]
	v_add_co_u32 v10, vcc_lo, v10, 8
	s_add_u32 s16, s16, -1
	v_add_co_ci_u32_e32 v11, vcc_lo, 0, v11, vcc_lo
	s_addc_u32 s17, s17, -1
	s_delay_alu instid0(SALU_CYCLE_1)
	s_cmp_eq_u64 s[16:17], 0
	s_cbranch_scc1 .LBB35_7
.LBB35_5:                               ; =>This Inner Loop Header: Depth=1
	v_add_co_u32 v20, vcc_lo, s3, v18
	v_add_co_ci_u32_e32 v21, vcc_lo, s13, v19, vcc_lo
	v_cmp_gt_i64_e64 s2, s[8:9], v[18:19]
	global_store_b64 v[12:13], v[14:15], off
	global_store_b64 v[10:11], v[14:15], off
	v_cmp_gt_i64_e32 vcc_lo, s[4:5], v[20:21]
	s_and_b32 s18, vcc_lo, s2
	s_delay_alu instid0(SALU_CYCLE_1)
	s_and_saveexec_b32 s2, s18
	s_cbranch_execz .LBB35_4
; %bb.6:                                ;   in Loop: Header=BB35_5 Depth=1
	global_load_b128 v[20:23], v[16:17], off offset:-8
	s_waitcnt vmcnt(0)
	v_sub_co_u32 v20, vcc_lo, v20, s25
	v_subrev_co_ci_u32_e32 v21, vcc_lo, 0, v21, vcc_lo
	v_sub_co_u32 v22, vcc_lo, v22, s25
	v_subrev_co_ci_u32_e32 v23, vcc_lo, 0, v23, vcc_lo
	global_store_b64 v[12:13], v[20:21], off
	global_store_b64 v[10:11], v[22:23], off
	s_branch .LBB35_4
.LBB35_7:
	s_set_inst_prefetch_distance 0x2
	v_cmp_lt_i64_e64 s2, s[6:7], 1
	s_delay_alu instid0(VALU_DEP_1)
	s_and_b32 vcc_lo, exec_lo, s2
	s_cbranch_vccnz .LBB35_52
; %bb.8:
	s_clause 0x1
	s_load_b128 s[16:19], s[0:1], 0x80
	s_load_b64 s[20:21], s[0:1], 0x70
	s_lshl_b64 s[2:3], s[10:11], 5
	v_mbcnt_lo_u32_b32 v12, -1, 0
	s_mul_i32 s3, s3, s12
	s_mul_hi_u32 s4, s2, s12
	s_mul_i32 s2, s2, s12
	s_add_i32 s3, s4, s3
	v_lshlrev_b64 v[10:11], 2, v[6:7]
	s_lshl_b64 s[4:5], s[2:3], 3
	v_xor_b32_e32 v13, 16, v12
	v_xor_b32_e32 v14, 2, v12
	;; [unrolled: 1-line block ×3, first 2 shown]
	v_mov_b32_e32 v18, 0
	s_mov_b32 s27, 0
	v_mov_b32_e32 v43, 0x7c
	v_mov_b32_e32 v19, 0
	s_delay_alu instid0(VALU_DEP_3)
	v_mov_b32_e32 v16, v18
	s_waitcnt lgkmcnt(0)
	s_add_u32 s4, s16, s4
	s_addc_u32 s5, s17, s5
	s_lshl_b64 s[2:3], s[2:3], 2
	v_add_co_u32 v6, vcc_lo, s4, v8
	s_add_u32 s2, s18, s2
	v_add_co_ci_u32_e32 v7, vcc_lo, s5, v9, vcc_lo
	s_addc_u32 s3, s19, s3
	v_add_co_u32 v8, vcc_lo, s2, v10
	v_add_co_ci_u32_e32 v9, vcc_lo, s3, v11, vcc_lo
	v_xor_b32_e32 v10, 8, v12
	v_cmp_gt_i32_e32 vcc_lo, 32, v13
	s_clause 0x3
	s_load_b64 s[2:3], s[0:1], 0x60
	s_load_b64 s[4:5], s[0:1], 0x50
	;; [unrolled: 1-line block ×3, first 2 shown]
	s_load_b32 s1, s[0:1], 0x0
	s_lshl_b64 s[16:17], s[14:15], 3
	v_cmp_eq_u32_e64 s0, 31, v0
	s_add_u32 s28, s20, s16
	v_cndmask_b32_e32 v11, v12, v13, vcc_lo
	v_xor_b32_e32 v13, 4, v12
	v_cmp_gt_i32_e32 vcc_lo, 32, v10
	s_addc_u32 s29, s21, s17
	v_dual_mov_b32 v17, v19 :: v_dual_cndmask_b32 v10, v12, v10
	s_delay_alu instid0(VALU_DEP_3) | instskip(NEXT) | instid1(VALU_DEP_2)
	v_cmp_gt_i32_e32 vcc_lo, 32, v13
	v_lshlrev_b32_e32 v39, 2, v10
	v_cndmask_b32_e32 v13, v12, v13, vcc_lo
	v_cmp_gt_i32_e32 vcc_lo, 32, v14
	v_lshlrev_b32_e32 v10, 2, v0
	s_waitcnt lgkmcnt(0)
	s_cmp_lg_u32 s1, 0
	s_cselect_b32 s30, -1, 0
	v_cndmask_b32_e32 v14, v12, v14, vcc_lo
	v_cmp_gt_i32_e32 vcc_lo, 32, v15
	s_add_u32 s31, s14, -1
	s_addc_u32 s33, s15, -1
	s_lshl_b64 s[14:15], s[8:9], 2
	v_dual_cndmask_b32 v12, v12, v15 :: v_dual_lshlrev_b32 v41, 2, v14
	v_dual_mov_b32 v14, v18 :: v_dual_mov_b32 v15, v19
	v_add_co_u32 v10, s1, s2, v10
	s_delay_alu instid0(VALU_DEP_3)
	v_lshlrev_b32_e32 v42, 2, v12
	v_lshlrev_b32_e32 v38, 2, v11
	;; [unrolled: 1-line block ×3, first 2 shown]
	v_add_co_ci_u32_e64 v11, null, s3, 0, s1
	v_mov_b32_e32 v12, 0
	s_lshl_b64 s[16:17], s[8:9], 7
	s_ashr_i32 s18, s9, 31
	s_branch .LBB35_10
.LBB35_9:                               ;   in Loop: Header=BB35_10 Depth=1
	s_waitcnt lgkmcnt(3)
	v_add_co_u32 v18, vcc_lo, v34, 1
	s_waitcnt lgkmcnt(2)
	v_add_co_ci_u32_e32 v19, vcc_lo, 0, v35, vcc_lo
	s_delay_alu instid0(VALU_DEP_1) | instskip(SKIP_1) | instid1(SALU_CYCLE_1)
	v_cmp_le_i64_e32 vcc_lo, s[6:7], v[18:19]
	s_or_b32 s27, vcc_lo, s27
	s_and_not1_b32 exec_lo, exec_lo, s27
	s_cbranch_execz .LBB35_52
.LBB35_10:                              ; =>This Loop Header: Depth=1
                                        ;     Child Loop BB35_14 Depth 2
                                        ;       Child Loop BB35_17 Depth 3
                                        ;     Child Loop BB35_33 Depth 2
	v_dual_mov_b32 v21, s7 :: v_dual_mov_b32 v20, s6
	s_and_not1_b32 vcc_lo, exec_lo, s26
	s_cbranch_vccnz .LBB35_23
; %bb.11:                               ;   in Loop: Header=BB35_10 Depth=1
	v_dual_mov_b32 v21, s7 :: v_dual_mov_b32 v20, s6
	s_mov_b64 s[20:21], 0
	s_branch .LBB35_14
.LBB35_12:                              ;   in Loop: Header=BB35_14 Depth=2
	s_or_b32 exec_lo, exec_lo, s1
.LBB35_13:                              ;   in Loop: Header=BB35_14 Depth=2
	s_delay_alu instid0(SALU_CYCLE_1) | instskip(SKIP_2) | instid1(SALU_CYCLE_1)
	s_or_b32 exec_lo, exec_lo, s19
	s_add_u32 s20, s20, 1
	s_addc_u32 s21, s21, 0
	s_cmp_eq_u64 s[20:21], s[10:11]
	s_cbranch_scc1 .LBB35_23
.LBB35_14:                              ;   Parent Loop BB35_10 Depth=1
                                        ; =>  This Loop Header: Depth=2
                                        ;       Child Loop BB35_17 Depth 3
	s_lshl_b64 s[22:23], s[20:21], 3
	s_lshl_b64 s[34:35], s[20:21], 2
	v_add_co_u32 v22, vcc_lo, v2, s22
	v_add_co_ci_u32_e32 v23, vcc_lo, s23, v3, vcc_lo
	v_add_co_u32 v24, vcc_lo, v4, s22
	v_add_co_ci_u32_e32 v25, vcc_lo, s23, v5, vcc_lo
	v_dual_mov_b32 v29, s7 :: v_dual_mov_b32 v28, s6
	s_clause 0x1
	global_load_b64 v[34:35], v[22:23], off
	global_load_b64 v[32:33], v[24:25], off
	v_add_co_u32 v24, vcc_lo, v8, s34
	v_add_co_ci_u32_e32 v25, vcc_lo, s35, v9, vcc_lo
	v_add_co_u32 v26, vcc_lo, v6, s22
	v_add_co_ci_u32_e32 v27, vcc_lo, s23, v7, vcc_lo
	s_mov_b32 s19, exec_lo
	global_store_b32 v[24:25], v12, off
	global_store_b64 v[26:27], v[28:29], off
	s_waitcnt vmcnt(0)
	v_cmpx_lt_i64_e64 v[34:35], v[32:33]
	s_cbranch_execz .LBB35_13
; %bb.15:                               ;   in Loop: Header=BB35_14 Depth=2
	v_lshlrev_b64 v[28:29], 3, v[34:35]
	s_mov_b32 s22, 0
                                        ; implicit-def: $sgpr23
                                        ; implicit-def: $sgpr35
                                        ; implicit-def: $sgpr34
	s_delay_alu instid0(VALU_DEP_1) | instskip(NEXT) | instid1(VALU_DEP_2)
	v_add_co_u32 v36, vcc_lo, s4, v28
	v_add_co_ci_u32_e32 v37, vcc_lo, s5, v29, vcc_lo
	s_set_inst_prefetch_distance 0x1
	s_branch .LBB35_17
	.p2align	6
.LBB35_16:                              ;   in Loop: Header=BB35_17 Depth=3
	s_or_b32 exec_lo, exec_lo, s36
	s_delay_alu instid0(SALU_CYCLE_1) | instskip(NEXT) | instid1(SALU_CYCLE_1)
	s_and_b32 s1, exec_lo, s35
	s_or_b32 s22, s1, s22
	s_and_not1_b32 s1, s23, exec_lo
	s_and_b32 s23, s34, exec_lo
	s_delay_alu instid0(SALU_CYCLE_1)
	s_or_b32 s23, s1, s23
	s_and_not1_b32 exec_lo, exec_lo, s22
	s_cbranch_execz .LBB35_19
.LBB35_17:                              ;   Parent Loop BB35_10 Depth=1
                                        ;     Parent Loop BB35_14 Depth=2
                                        ; =>    This Inner Loop Header: Depth=3
	global_load_b64 v[28:29], v[36:37], off
	s_or_b32 s34, s34, exec_lo
	s_or_b32 s35, s35, exec_lo
	s_mov_b32 s36, exec_lo
	s_waitcnt vmcnt(0)
	v_sub_co_u32 v30, vcc_lo, v28, s25
	v_subrev_co_ci_u32_e32 v31, vcc_lo, 0, v29, vcc_lo
	v_dual_mov_b32 v28, v34 :: v_dual_mov_b32 v29, v35
                                        ; implicit-def: $vgpr34_vgpr35
	s_delay_alu instid0(VALU_DEP_2)
	v_cmpx_lt_i64_e64 v[30:31], v[18:19]
	s_cbranch_execz .LBB35_16
; %bb.18:                               ;   in Loop: Header=BB35_17 Depth=3
	s_delay_alu instid0(VALU_DEP_2) | instskip(NEXT) | instid1(VALU_DEP_3)
	v_add_co_u32 v34, vcc_lo, v28, 1
	v_add_co_ci_u32_e32 v35, vcc_lo, 0, v29, vcc_lo
	v_add_co_u32 v36, s1, v36, 8
	s_delay_alu instid0(VALU_DEP_1) | instskip(NEXT) | instid1(VALU_DEP_3)
	v_add_co_ci_u32_e64 v37, s1, 0, v37, s1
	v_cmp_ge_i64_e32 vcc_lo, v[34:35], v[32:33]
	s_and_not1_b32 s1, s35, exec_lo
	s_and_not1_b32 s34, s34, exec_lo
	s_and_b32 s35, vcc_lo, exec_lo
	s_delay_alu instid0(SALU_CYCLE_1)
	s_or_b32 s35, s1, s35
	s_branch .LBB35_16
.LBB35_19:                              ;   in Loop: Header=BB35_14 Depth=2
	s_set_inst_prefetch_distance 0x2
	s_or_b32 exec_lo, exec_lo, s22
	v_lshlrev_b64 v[32:33], 2, v[28:29]
	s_xor_b32 s1, s23, -1
	s_delay_alu instid0(SALU_CYCLE_1) | instskip(NEXT) | instid1(SALU_CYCLE_1)
	s_and_saveexec_b32 s22, s1
	s_xor_b32 s1, exec_lo, s22
	s_cbranch_execz .LBB35_21
; %bb.20:                               ;   in Loop: Header=BB35_14 Depth=2
	s_delay_alu instid0(VALU_DEP_1)
	v_add_co_u32 v22, vcc_lo, s12, v32
	v_add_co_ci_u32_e32 v23, vcc_lo, s13, v33, vcc_lo
                                        ; implicit-def: $vgpr32_vgpr33
	global_load_b32 v13, v[22:23], off
                                        ; implicit-def: $vgpr22_vgpr23
	s_waitcnt vmcnt(0)
	global_store_b32 v[24:25], v13, off
	global_store_b64 v[26:27], v[30:31], off
                                        ; implicit-def: $vgpr24_vgpr25
                                        ; implicit-def: $vgpr26_vgpr27
.LBB35_21:                              ;   in Loop: Header=BB35_14 Depth=2
	s_and_not1_saveexec_b32 s1, s1
	s_cbranch_execz .LBB35_12
; %bb.22:                               ;   in Loop: Header=BB35_14 Depth=2
	v_add_co_u32 v32, vcc_lo, s12, v32
	v_add_co_ci_u32_e32 v33, vcc_lo, s13, v33, vcc_lo
	v_cmp_lt_i64_e32 vcc_lo, v[30:31], v[20:21]
	global_load_b32 v13, v[32:33], off
	global_store_b64 v[26:27], v[30:31], off
	s_waitcnt vmcnt(0)
	global_store_b32 v[24:25], v13, off
	global_store_b64 v[22:23], v[28:29], off
	v_dual_cndmask_b32 v21, v21, v31 :: v_dual_cndmask_b32 v20, v20, v30
	s_branch .LBB35_12
.LBB35_23:                              ;   in Loop: Header=BB35_10 Depth=1
	ds_bpermute_b32 v18, v38, v20
	ds_bpermute_b32 v19, v38, v21
	s_waitcnt lgkmcnt(0)
	v_cmp_lt_i64_e32 vcc_lo, v[18:19], v[20:21]
	v_dual_cndmask_b32 v19, v21, v19 :: v_dual_cndmask_b32 v18, v20, v18
	ds_bpermute_b32 v21, v39, v19
	ds_bpermute_b32 v20, v39, v18
	s_waitcnt lgkmcnt(0)
	v_cmp_lt_i64_e32 vcc_lo, v[20:21], v[18:19]
	v_dual_cndmask_b32 v19, v19, v21 :: v_dual_cndmask_b32 v18, v18, v20
	;; [unrolled: 5-line block ×5, first 2 shown]
	s_delay_alu instid0(VALU_DEP_1) | instskip(SKIP_1) | instid1(SALU_CYCLE_1)
	v_cmp_gt_i64_e32 vcc_lo, s[6:7], v[18:19]
	s_and_b32 s1, s0, vcc_lo
	s_and_saveexec_b32 s22, s1
	s_cbranch_execz .LBB35_29
; %bb.24:                               ;   in Loop: Header=BB35_10 Depth=1
	v_or_b32_e32 v13, s9, v19
                                        ; implicit-def: $vgpr20_vgpr21
	s_mov_b32 s1, exec_lo
	s_delay_alu instid0(VALU_DEP_1)
	v_cmpx_ne_u64_e32 0, v[12:13]
	s_xor_b32 s23, exec_lo, s1
	s_cbranch_execnz .LBB35_50
; %bb.25:                               ;   in Loop: Header=BB35_10 Depth=1
	s_and_not1_saveexec_b32 s1, s23
	s_cbranch_execnz .LBB35_51
.LBB35_26:                              ;   in Loop: Header=BB35_10 Depth=1
	s_or_b32 exec_lo, exec_lo, s1
	s_delay_alu instid0(SALU_CYCLE_1)
	s_mov_b32 s1, exec_lo
	v_cmpx_ge_i64_e64 v[20:21], v[16:17]
	s_cbranch_execz .LBB35_28
.LBB35_27:                              ;   in Loop: Header=BB35_10 Depth=1
	v_lshlrev_b64 v[16:17], 3, v[14:15]
	v_add_co_u32 v22, vcc_lo, v20, s24
	v_add_co_ci_u32_e32 v23, vcc_lo, 0, v21, vcc_lo
	s_delay_alu instid0(VALU_DEP_3) | instskip(NEXT) | instid1(VALU_DEP_4)
	v_add_co_u32 v24, vcc_lo, s28, v16
	v_add_co_ci_u32_e32 v25, vcc_lo, s29, v17, vcc_lo
	v_add_co_u32 v14, vcc_lo, v14, 1
	v_add_co_ci_u32_e32 v15, vcc_lo, 0, v15, vcc_lo
	;; [unrolled: 2-line block ×3, first 2 shown]
	global_store_b64 v[24:25], v[22:23], off
.LBB35_28:                              ;   in Loop: Header=BB35_10 Depth=1
	s_or_b32 exec_lo, exec_lo, s1
.LBB35_29:                              ;   in Loop: Header=BB35_10 Depth=1
	s_delay_alu instid0(SALU_CYCLE_1)
	s_or_b32 exec_lo, exec_lo, s22
	ds_bpermute_b32 v34, v43, v18
	ds_bpermute_b32 v35, v43, v19
	;; [unrolled: 1-line block ×4, first 2 shown]
	s_and_not1_b32 vcc_lo, exec_lo, s26
	s_cbranch_vccnz .LBB35_9
; %bb.30:                               ;   in Loop: Header=BB35_10 Depth=1
	v_add_co_u32 v13, vcc_lo, s31, 0
	s_waitcnt lgkmcnt(0)
	v_add_co_ci_u32_e32 v18, vcc_lo, s33, v15, vcc_lo
	v_dual_mov_b32 v25, v9 :: v_dual_mov_b32 v24, v8
	s_delay_alu instid0(VALU_DEP_3) | instskip(NEXT) | instid1(VALU_DEP_3)
	v_add_co_u32 v13, vcc_lo, v13, v14
	v_add_co_ci_u32_e32 v18, vcc_lo, 0, v18, vcc_lo
	s_mov_b64 s[20:21], s[10:11]
	s_delay_alu instid0(VALU_DEP_2) | instskip(SKIP_1) | instid1(VALU_DEP_3)
	v_mul_lo_u32 v19, s9, v13
	v_mad_u64_u32 v[22:23], null, s8, v13, v[0:1]
	v_mul_lo_u32 v18, s8, v18
	v_add_co_u32 v13, vcc_lo, s31, v14
	v_add_co_ci_u32_e32 v20, vcc_lo, s33, v15, vcc_lo
	s_delay_alu instid0(VALU_DEP_2) | instskip(NEXT) | instid1(VALU_DEP_4)
	v_mul_lo_u32 v27, v13, s9
	v_add3_u32 v23, v19, v23, v18
	s_delay_alu instid0(VALU_DEP_3)
	v_mul_lo_u32 v26, v20, s8
	v_mad_u64_u32 v[18:19], null, v13, s8, 0
	v_mul_lo_u32 v13, s15, v22
	v_mad_u64_u32 v[20:21], null, s14, v22, s[2:3]
	v_mul_lo_u32 v28, s14, v23
	v_dual_mov_b32 v23, v7 :: v_dual_mov_b32 v22, v6
	v_add3_u32 v19, v19, v27, v26
	v_dual_mov_b32 v27, v11 :: v_dual_mov_b32 v26, v10
	s_delay_alu instid0(VALU_DEP_4)
	v_add3_u32 v21, v13, v21, v28
	s_branch .LBB35_33
.LBB35_31:                              ;   in Loop: Header=BB35_33 Depth=2
	s_or_b32 exec_lo, exec_lo, s1
	global_load_b32 v13, v[24:25], off
	v_lshlrev_b64 v[28:29], 2, v[30:31]
	s_delay_alu instid0(VALU_DEP_1) | instskip(NEXT) | instid1(VALU_DEP_2)
	v_add_co_u32 v28, vcc_lo, v20, v28
	v_add_co_ci_u32_e32 v29, vcc_lo, v21, v29, vcc_lo
	s_waitcnt vmcnt(0)
	global_store_b32 v[28:29], v13, off
.LBB35_32:                              ;   in Loop: Header=BB35_33 Depth=2
	s_or_b32 exec_lo, exec_lo, s34
	v_add_co_u32 v20, vcc_lo, v20, s16
	v_add_co_ci_u32_e32 v21, vcc_lo, s17, v21, vcc_lo
	v_add_co_u32 v26, vcc_lo, 0x80, v26
	v_add_co_ci_u32_e32 v27, vcc_lo, 0, v27, vcc_lo
	;; [unrolled: 2-line block ×3, first 2 shown]
	v_add_co_u32 v22, vcc_lo, v22, 8
	s_add_u32 s20, s20, -1
	v_add_co_ci_u32_e32 v23, vcc_lo, 0, v23, vcc_lo
	s_addc_u32 s21, s21, -1
	s_delay_alu instid0(SALU_CYCLE_1)
	s_cmp_eq_u64 s[20:21], 0
	s_cbranch_scc1 .LBB35_9
.LBB35_33:                              ;   Parent Loop BB35_10 Depth=1
                                        ; =>  This Inner Loop Header: Depth=2
	global_load_b64 v[28:29], v[22:23], off
	s_mov_b32 s34, exec_lo
	s_waitcnt vmcnt(0)
	v_cmpx_gt_i64_e64 s[6:7], v[28:29]
	s_cbranch_execz .LBB35_32
; %bb.34:                               ;   in Loop: Header=BB35_33 Depth=2
	v_or_b32_e32 v36, s9, v29
                                        ; implicit-def: $vgpr30_vgpr31
	s_mov_b32 s1, exec_lo
	s_delay_alu instid0(VALU_DEP_1) | instskip(NEXT) | instid1(VALU_DEP_1)
	v_mov_b32_e32 v13, v36
	v_cmpx_ne_u64_e32 0, v[12:13]
	s_xor_b32 s35, exec_lo, s1
	s_cbranch_execz .LBB35_36
; %bb.35:                               ;   in Loop: Header=BB35_33 Depth=2
	s_add_u32 s22, s8, s18
	s_mov_b32 s19, s18
	s_addc_u32 s23, s9, s18
	s_delay_alu instid0(SALU_CYCLE_1) | instskip(NEXT) | instid1(SALU_CYCLE_1)
	s_xor_b64 s[22:23], s[22:23], s[18:19]
	v_cvt_f32_u32_e32 v13, s22
	v_cvt_f32_u32_e32 v30, s23
	s_sub_u32 s1, 0, s22
	s_subb_u32 s19, 0, s23
	s_delay_alu instid0(VALU_DEP_1) | instskip(NEXT) | instid1(VALU_DEP_1)
	v_fmac_f32_e32 v13, 0x4f800000, v30
	v_rcp_f32_e32 v13, v13
	s_waitcnt_depctr 0xfff
	v_mul_f32_e32 v13, 0x5f7ffffc, v13
	s_delay_alu instid0(VALU_DEP_1) | instskip(NEXT) | instid1(VALU_DEP_1)
	v_mul_f32_e32 v30, 0x2f800000, v13
	v_trunc_f32_e32 v30, v30
	s_delay_alu instid0(VALU_DEP_1) | instskip(SKIP_1) | instid1(VALU_DEP_2)
	v_fmac_f32_e32 v13, 0xcf800000, v30
	v_cvt_u32_f32_e32 v30, v30
	v_cvt_u32_f32_e32 v13, v13
	s_delay_alu instid0(VALU_DEP_2) | instskip(NEXT) | instid1(VALU_DEP_2)
	v_mul_lo_u32 v31, s1, v30
	v_mul_hi_u32 v32, s1, v13
	v_mul_lo_u32 v33, s19, v13
	s_delay_alu instid0(VALU_DEP_2) | instskip(SKIP_1) | instid1(VALU_DEP_2)
	v_add_nc_u32_e32 v31, v32, v31
	v_mul_lo_u32 v32, s1, v13
	v_add_nc_u32_e32 v31, v31, v33
	s_delay_alu instid0(VALU_DEP_2) | instskip(NEXT) | instid1(VALU_DEP_2)
	v_mul_hi_u32 v33, v13, v32
	v_mul_lo_u32 v37, v13, v31
	v_mul_hi_u32 v44, v13, v31
	v_mul_hi_u32 v45, v30, v32
	v_mul_lo_u32 v32, v30, v32
	v_mul_hi_u32 v46, v30, v31
	v_mul_lo_u32 v31, v30, v31
	v_add_co_u32 v33, vcc_lo, v33, v37
	v_add_co_ci_u32_e32 v37, vcc_lo, 0, v44, vcc_lo
	s_delay_alu instid0(VALU_DEP_2) | instskip(NEXT) | instid1(VALU_DEP_2)
	v_add_co_u32 v32, vcc_lo, v33, v32
	v_add_co_ci_u32_e32 v32, vcc_lo, v37, v45, vcc_lo
	v_add_co_ci_u32_e32 v33, vcc_lo, 0, v46, vcc_lo
	v_ashrrev_i32_e32 v46, 31, v29
	s_delay_alu instid0(VALU_DEP_3) | instskip(NEXT) | instid1(VALU_DEP_3)
	v_add_co_u32 v31, vcc_lo, v32, v31
	v_add_co_ci_u32_e32 v32, vcc_lo, 0, v33, vcc_lo
	s_delay_alu instid0(VALU_DEP_2) | instskip(NEXT) | instid1(VALU_DEP_2)
	v_add_co_u32 v13, vcc_lo, v13, v31
	v_add_co_ci_u32_e32 v30, vcc_lo, v30, v32, vcc_lo
	s_delay_alu instid0(VALU_DEP_2) | instskip(SKIP_1) | instid1(VALU_DEP_3)
	v_mul_hi_u32 v31, s1, v13
	v_mul_lo_u32 v33, s19, v13
	v_mul_lo_u32 v32, s1, v30
	s_delay_alu instid0(VALU_DEP_1) | instskip(SKIP_1) | instid1(VALU_DEP_2)
	v_add_nc_u32_e32 v31, v31, v32
	v_mul_lo_u32 v32, s1, v13
	v_add_nc_u32_e32 v31, v31, v33
	s_delay_alu instid0(VALU_DEP_2) | instskip(NEXT) | instid1(VALU_DEP_2)
	v_mul_hi_u32 v33, v13, v32
	v_mul_lo_u32 v37, v13, v31
	v_mul_hi_u32 v44, v13, v31
	v_mul_hi_u32 v45, v30, v32
	v_mul_lo_u32 v32, v30, v32
	v_mul_hi_u32 v47, v30, v31
	v_mul_lo_u32 v31, v30, v31
	v_add_co_u32 v33, vcc_lo, v33, v37
	v_add_co_ci_u32_e32 v37, vcc_lo, 0, v44, vcc_lo
	s_delay_alu instid0(VALU_DEP_2) | instskip(NEXT) | instid1(VALU_DEP_2)
	v_add_co_u32 v32, vcc_lo, v33, v32
	v_add_co_ci_u32_e32 v32, vcc_lo, v37, v45, vcc_lo
	v_add_co_ci_u32_e32 v33, vcc_lo, 0, v47, vcc_lo
	v_add_co_u32 v37, vcc_lo, v28, v46
	v_add_co_ci_u32_e32 v44, vcc_lo, v29, v46, vcc_lo
	s_delay_alu instid0(VALU_DEP_4) | instskip(NEXT) | instid1(VALU_DEP_4)
	v_add_co_u32 v31, vcc_lo, v32, v31
	v_add_co_ci_u32_e32 v32, vcc_lo, 0, v33, vcc_lo
	s_delay_alu instid0(VALU_DEP_4) | instskip(NEXT) | instid1(VALU_DEP_3)
	v_xor_b32_e32 v37, v37, v46
	v_add_co_u32 v13, vcc_lo, v13, v31
	s_delay_alu instid0(VALU_DEP_3) | instskip(SKIP_1) | instid1(VALU_DEP_3)
	v_add_co_ci_u32_e32 v47, vcc_lo, v30, v32, vcc_lo
	v_xor_b32_e32 v48, v44, v46
	v_mul_hi_u32 v49, v37, v13
	s_delay_alu instid0(VALU_DEP_3) | instskip(NEXT) | instid1(VALU_DEP_3)
	v_mad_u64_u32 v[30:31], null, v37, v47, 0
	v_mad_u64_u32 v[32:33], null, v48, v13, 0
	;; [unrolled: 1-line block ×3, first 2 shown]
	s_delay_alu instid0(VALU_DEP_3) | instskip(NEXT) | instid1(VALU_DEP_4)
	v_add_co_u32 v13, vcc_lo, v49, v30
	v_add_co_ci_u32_e32 v30, vcc_lo, 0, v31, vcc_lo
	s_delay_alu instid0(VALU_DEP_2) | instskip(NEXT) | instid1(VALU_DEP_2)
	v_add_co_u32 v13, vcc_lo, v13, v32
	v_add_co_ci_u32_e32 v13, vcc_lo, v30, v33, vcc_lo
	v_add_co_ci_u32_e32 v30, vcc_lo, 0, v45, vcc_lo
	s_delay_alu instid0(VALU_DEP_2) | instskip(NEXT) | instid1(VALU_DEP_2)
	v_add_co_u32 v13, vcc_lo, v13, v44
	v_add_co_ci_u32_e32 v32, vcc_lo, 0, v30, vcc_lo
	s_delay_alu instid0(VALU_DEP_2) | instskip(SKIP_1) | instid1(VALU_DEP_3)
	v_mul_lo_u32 v33, s23, v13
	v_mad_u64_u32 v[30:31], null, s22, v13, 0
	v_mul_lo_u32 v44, s22, v32
	s_delay_alu instid0(VALU_DEP_2) | instskip(NEXT) | instid1(VALU_DEP_2)
	v_sub_co_u32 v30, vcc_lo, v37, v30
	v_add3_u32 v31, v31, v44, v33
	s_delay_alu instid0(VALU_DEP_1) | instskip(NEXT) | instid1(VALU_DEP_1)
	v_sub_nc_u32_e32 v33, v48, v31
	v_subrev_co_ci_u32_e64 v33, s1, s23, v33, vcc_lo
	v_add_co_u32 v37, s1, v13, 2
	s_delay_alu instid0(VALU_DEP_1) | instskip(SKIP_3) | instid1(VALU_DEP_3)
	v_add_co_ci_u32_e64 v44, s1, 0, v32, s1
	v_sub_co_u32 v45, s1, v30, s22
	v_sub_co_ci_u32_e32 v31, vcc_lo, v48, v31, vcc_lo
	v_subrev_co_ci_u32_e64 v33, s1, 0, v33, s1
	v_cmp_le_u32_e32 vcc_lo, s22, v45
	s_delay_alu instid0(VALU_DEP_3) | instskip(SKIP_1) | instid1(VALU_DEP_4)
	v_cmp_eq_u32_e64 s1, s23, v31
	v_cndmask_b32_e64 v45, 0, -1, vcc_lo
	v_cmp_le_u32_e32 vcc_lo, s23, v33
	v_cndmask_b32_e64 v47, 0, -1, vcc_lo
	v_cmp_le_u32_e32 vcc_lo, s22, v30
	;; [unrolled: 2-line block ×3, first 2 shown]
	v_cndmask_b32_e64 v48, 0, -1, vcc_lo
	v_cmp_eq_u32_e32 vcc_lo, s23, v33
	s_delay_alu instid0(VALU_DEP_2) | instskip(SKIP_3) | instid1(VALU_DEP_3)
	v_cndmask_b32_e64 v30, v48, v30, s1
	v_cndmask_b32_e32 v33, v47, v45, vcc_lo
	v_add_co_u32 v45, vcc_lo, v13, 1
	v_add_co_ci_u32_e32 v47, vcc_lo, 0, v32, vcc_lo
	v_cmp_ne_u32_e32 vcc_lo, 0, v33
	s_delay_alu instid0(VALU_DEP_2) | instskip(NEXT) | instid1(VALU_DEP_4)
	v_cndmask_b32_e32 v31, v47, v44, vcc_lo
	v_cndmask_b32_e32 v33, v45, v37, vcc_lo
	v_cmp_ne_u32_e32 vcc_lo, 0, v30
	v_xor_b32_e32 v37, s18, v46
	s_delay_alu instid0(VALU_DEP_3) | instskip(NEXT) | instid1(VALU_DEP_1)
	v_dual_cndmask_b32 v13, v13, v33 :: v_dual_cndmask_b32 v30, v32, v31
	v_xor_b32_e32 v13, v13, v37
	s_delay_alu instid0(VALU_DEP_2) | instskip(NEXT) | instid1(VALU_DEP_2)
	v_xor_b32_e32 v31, v30, v37
	v_sub_co_u32 v30, vcc_lo, v13, v37
	s_delay_alu instid0(VALU_DEP_2)
	v_sub_co_ci_u32_e32 v31, vcc_lo, v31, v37, vcc_lo
.LBB35_36:                              ;   in Loop: Header=BB35_33 Depth=2
	s_and_not1_saveexec_b32 s1, s35
	s_cbranch_execz .LBB35_38
; %bb.37:                               ;   in Loop: Header=BB35_33 Depth=2
	v_cvt_f32_u32_e32 v13, s8
	s_sub_i32 s19, 0, s8
	s_delay_alu instid0(VALU_DEP_1) | instskip(SKIP_2) | instid1(VALU_DEP_1)
	v_rcp_iflag_f32_e32 v13, v13
	s_waitcnt_depctr 0xfff
	v_mul_f32_e32 v13, 0x4f7ffffe, v13
	v_cvt_u32_f32_e32 v13, v13
	s_delay_alu instid0(VALU_DEP_1) | instskip(NEXT) | instid1(VALU_DEP_1)
	v_mul_lo_u32 v30, s19, v13
	v_mul_hi_u32 v30, v13, v30
	s_delay_alu instid0(VALU_DEP_1) | instskip(NEXT) | instid1(VALU_DEP_1)
	v_add_nc_u32_e32 v13, v13, v30
	v_mul_hi_u32 v13, v28, v13
	s_delay_alu instid0(VALU_DEP_1) | instskip(SKIP_1) | instid1(VALU_DEP_2)
	v_mul_lo_u32 v30, v13, s8
	v_add_nc_u32_e32 v31, 1, v13
	v_sub_nc_u32_e32 v30, v28, v30
	s_delay_alu instid0(VALU_DEP_1) | instskip(SKIP_1) | instid1(VALU_DEP_2)
	v_subrev_nc_u32_e32 v32, s8, v30
	v_cmp_le_u32_e32 vcc_lo, s8, v30
	v_dual_cndmask_b32 v30, v30, v32 :: v_dual_cndmask_b32 v13, v13, v31
	s_delay_alu instid0(VALU_DEP_1) | instskip(NEXT) | instid1(VALU_DEP_2)
	v_cmp_le_u32_e32 vcc_lo, s8, v30
	v_add_nc_u32_e32 v31, 1, v13
	s_delay_alu instid0(VALU_DEP_1)
	v_dual_cndmask_b32 v30, v13, v31 :: v_dual_mov_b32 v31, v12
.LBB35_38:                              ;   in Loop: Header=BB35_33 Depth=2
	s_or_b32 exec_lo, exec_lo, s1
	v_or_b32_e32 v13, s9, v35
                                        ; implicit-def: $vgpr32_vgpr33
	s_mov_b32 s1, exec_lo
	s_delay_alu instid0(VALU_DEP_1)
	v_cmpx_ne_u64_e32 0, v[12:13]
	s_xor_b32 s35, exec_lo, s1
	s_cbranch_execnz .LBB35_41
; %bb.39:                               ;   in Loop: Header=BB35_33 Depth=2
	s_and_not1_saveexec_b32 s1, s35
	s_cbranch_execnz .LBB35_42
.LBB35_40:                              ;   in Loop: Header=BB35_33 Depth=2
	s_or_b32 exec_lo, exec_lo, s1
	s_delay_alu instid0(VALU_DEP_1)
	v_cmp_eq_u64_e32 vcc_lo, v[30:31], v[32:33]
	s_and_b32 exec_lo, exec_lo, vcc_lo
	s_cbranch_execz .LBB35_32
	s_branch .LBB35_43
.LBB35_41:                              ;   in Loop: Header=BB35_33 Depth=2
	s_add_u32 s22, s8, s18
	s_mov_b32 s19, s18
	s_addc_u32 s23, s9, s18
	s_delay_alu instid0(SALU_CYCLE_1) | instskip(NEXT) | instid1(SALU_CYCLE_1)
	s_xor_b64 s[22:23], s[22:23], s[18:19]
	v_cvt_f32_u32_e32 v13, s22
	v_cvt_f32_u32_e32 v32, s23
	s_sub_u32 s1, 0, s22
	s_subb_u32 s19, 0, s23
	s_delay_alu instid0(VALU_DEP_1) | instskip(NEXT) | instid1(VALU_DEP_1)
	v_fmac_f32_e32 v13, 0x4f800000, v32
	v_rcp_f32_e32 v13, v13
	s_waitcnt_depctr 0xfff
	v_mul_f32_e32 v13, 0x5f7ffffc, v13
	s_delay_alu instid0(VALU_DEP_1) | instskip(NEXT) | instid1(VALU_DEP_1)
	v_mul_f32_e32 v32, 0x2f800000, v13
	v_trunc_f32_e32 v32, v32
	s_delay_alu instid0(VALU_DEP_1) | instskip(SKIP_1) | instid1(VALU_DEP_2)
	v_fmac_f32_e32 v13, 0xcf800000, v32
	v_cvt_u32_f32_e32 v32, v32
	v_cvt_u32_f32_e32 v13, v13
	s_delay_alu instid0(VALU_DEP_2) | instskip(NEXT) | instid1(VALU_DEP_2)
	v_mul_lo_u32 v33, s1, v32
	v_mul_hi_u32 v37, s1, v13
	v_mul_lo_u32 v44, s19, v13
	s_delay_alu instid0(VALU_DEP_2) | instskip(SKIP_1) | instid1(VALU_DEP_2)
	v_add_nc_u32_e32 v33, v37, v33
	v_mul_lo_u32 v37, s1, v13
	v_add_nc_u32_e32 v33, v33, v44
	s_delay_alu instid0(VALU_DEP_2) | instskip(NEXT) | instid1(VALU_DEP_2)
	v_mul_hi_u32 v44, v13, v37
	v_mul_lo_u32 v45, v13, v33
	v_mul_hi_u32 v46, v13, v33
	v_mul_hi_u32 v47, v32, v37
	v_mul_lo_u32 v37, v32, v37
	v_mul_hi_u32 v48, v32, v33
	v_mul_lo_u32 v33, v32, v33
	v_add_co_u32 v44, vcc_lo, v44, v45
	v_add_co_ci_u32_e32 v45, vcc_lo, 0, v46, vcc_lo
	s_delay_alu instid0(VALU_DEP_2) | instskip(NEXT) | instid1(VALU_DEP_2)
	v_add_co_u32 v37, vcc_lo, v44, v37
	v_add_co_ci_u32_e32 v37, vcc_lo, v45, v47, vcc_lo
	v_add_co_ci_u32_e32 v44, vcc_lo, 0, v48, vcc_lo
	v_ashrrev_i32_e32 v48, 31, v35
	s_delay_alu instid0(VALU_DEP_3) | instskip(NEXT) | instid1(VALU_DEP_3)
	v_add_co_u32 v33, vcc_lo, v37, v33
	v_add_co_ci_u32_e32 v37, vcc_lo, 0, v44, vcc_lo
	s_delay_alu instid0(VALU_DEP_2) | instskip(NEXT) | instid1(VALU_DEP_2)
	v_add_co_u32 v13, vcc_lo, v13, v33
	v_add_co_ci_u32_e32 v32, vcc_lo, v32, v37, vcc_lo
	s_delay_alu instid0(VALU_DEP_2) | instskip(SKIP_1) | instid1(VALU_DEP_3)
	v_mul_hi_u32 v33, s1, v13
	v_mul_lo_u32 v44, s19, v13
	v_mul_lo_u32 v37, s1, v32
	s_delay_alu instid0(VALU_DEP_1) | instskip(SKIP_1) | instid1(VALU_DEP_2)
	v_add_nc_u32_e32 v33, v33, v37
	v_mul_lo_u32 v37, s1, v13
	v_add_nc_u32_e32 v33, v33, v44
	s_delay_alu instid0(VALU_DEP_2) | instskip(NEXT) | instid1(VALU_DEP_2)
	v_mul_hi_u32 v44, v13, v37
	v_mul_lo_u32 v45, v13, v33
	v_mul_hi_u32 v46, v13, v33
	v_mul_hi_u32 v47, v32, v37
	v_mul_lo_u32 v37, v32, v37
	v_mul_hi_u32 v49, v32, v33
	v_mul_lo_u32 v33, v32, v33
	v_add_co_u32 v44, vcc_lo, v44, v45
	v_add_co_ci_u32_e32 v45, vcc_lo, 0, v46, vcc_lo
	s_delay_alu instid0(VALU_DEP_2) | instskip(NEXT) | instid1(VALU_DEP_2)
	v_add_co_u32 v37, vcc_lo, v44, v37
	v_add_co_ci_u32_e32 v37, vcc_lo, v45, v47, vcc_lo
	v_add_co_ci_u32_e32 v44, vcc_lo, 0, v49, vcc_lo
	v_add_co_u32 v45, vcc_lo, v34, v48
	v_add_co_ci_u32_e32 v46, vcc_lo, v35, v48, vcc_lo
	s_delay_alu instid0(VALU_DEP_4) | instskip(NEXT) | instid1(VALU_DEP_4)
	v_add_co_u32 v33, vcc_lo, v37, v33
	v_add_co_ci_u32_e32 v37, vcc_lo, 0, v44, vcc_lo
	s_delay_alu instid0(VALU_DEP_4) | instskip(NEXT) | instid1(VALU_DEP_3)
	v_xor_b32_e32 v49, v45, v48
	v_add_co_u32 v13, vcc_lo, v13, v33
	s_delay_alu instid0(VALU_DEP_3) | instskip(SKIP_1) | instid1(VALU_DEP_3)
	v_add_co_ci_u32_e32 v37, vcc_lo, v32, v37, vcc_lo
	v_xor_b32_e32 v50, v46, v48
	v_mul_hi_u32 v51, v49, v13
	s_delay_alu instid0(VALU_DEP_3) | instskip(NEXT) | instid1(VALU_DEP_3)
	v_mad_u64_u32 v[32:33], null, v49, v37, 0
	v_mad_u64_u32 v[44:45], null, v50, v13, 0
	;; [unrolled: 1-line block ×3, first 2 shown]
	s_delay_alu instid0(VALU_DEP_3) | instskip(NEXT) | instid1(VALU_DEP_4)
	v_add_co_u32 v13, vcc_lo, v51, v32
	v_add_co_ci_u32_e32 v32, vcc_lo, 0, v33, vcc_lo
	s_delay_alu instid0(VALU_DEP_2) | instskip(NEXT) | instid1(VALU_DEP_2)
	v_add_co_u32 v13, vcc_lo, v13, v44
	v_add_co_ci_u32_e32 v13, vcc_lo, v32, v45, vcc_lo
	v_add_co_ci_u32_e32 v32, vcc_lo, 0, v47, vcc_lo
	s_delay_alu instid0(VALU_DEP_2) | instskip(NEXT) | instid1(VALU_DEP_2)
	v_add_co_u32 v13, vcc_lo, v13, v46
	v_add_co_ci_u32_e32 v37, vcc_lo, 0, v32, vcc_lo
	s_delay_alu instid0(VALU_DEP_2) | instskip(SKIP_1) | instid1(VALU_DEP_3)
	v_mul_lo_u32 v44, s23, v13
	v_mad_u64_u32 v[32:33], null, s22, v13, 0
	v_mul_lo_u32 v45, s22, v37
	s_delay_alu instid0(VALU_DEP_2) | instskip(NEXT) | instid1(VALU_DEP_2)
	v_sub_co_u32 v32, vcc_lo, v49, v32
	v_add3_u32 v33, v33, v45, v44
	s_delay_alu instid0(VALU_DEP_1) | instskip(NEXT) | instid1(VALU_DEP_1)
	v_sub_nc_u32_e32 v44, v50, v33
	v_subrev_co_ci_u32_e64 v44, s1, s23, v44, vcc_lo
	v_add_co_u32 v45, s1, v13, 2
	s_delay_alu instid0(VALU_DEP_1) | instskip(SKIP_3) | instid1(VALU_DEP_3)
	v_add_co_ci_u32_e64 v46, s1, 0, v37, s1
	v_sub_co_u32 v47, s1, v32, s22
	v_sub_co_ci_u32_e32 v33, vcc_lo, v50, v33, vcc_lo
	v_subrev_co_ci_u32_e64 v44, s1, 0, v44, s1
	v_cmp_le_u32_e32 vcc_lo, s22, v47
	s_delay_alu instid0(VALU_DEP_3) | instskip(SKIP_1) | instid1(VALU_DEP_4)
	v_cmp_eq_u32_e64 s1, s23, v33
	v_cndmask_b32_e64 v47, 0, -1, vcc_lo
	v_cmp_le_u32_e32 vcc_lo, s23, v44
	v_cndmask_b32_e64 v49, 0, -1, vcc_lo
	v_cmp_le_u32_e32 vcc_lo, s22, v32
	;; [unrolled: 2-line block ×3, first 2 shown]
	v_cndmask_b32_e64 v50, 0, -1, vcc_lo
	v_cmp_eq_u32_e32 vcc_lo, s23, v44
	s_delay_alu instid0(VALU_DEP_2) | instskip(SKIP_3) | instid1(VALU_DEP_3)
	v_cndmask_b32_e64 v32, v50, v32, s1
	v_cndmask_b32_e32 v44, v49, v47, vcc_lo
	v_add_co_u32 v47, vcc_lo, v13, 1
	v_add_co_ci_u32_e32 v49, vcc_lo, 0, v37, vcc_lo
	v_cmp_ne_u32_e32 vcc_lo, 0, v44
	s_delay_alu instid0(VALU_DEP_2) | instskip(SKIP_2) | instid1(VALU_DEP_3)
	v_dual_cndmask_b32 v44, v47, v45 :: v_dual_cndmask_b32 v33, v49, v46
	v_cmp_ne_u32_e32 vcc_lo, 0, v32
	v_xor_b32_e32 v45, s18, v48
	v_cndmask_b32_e32 v13, v13, v44, vcc_lo
	s_delay_alu instid0(VALU_DEP_4) | instskip(NEXT) | instid1(VALU_DEP_2)
	v_cndmask_b32_e32 v32, v37, v33, vcc_lo
	v_xor_b32_e32 v13, v13, v45
	s_delay_alu instid0(VALU_DEP_2) | instskip(NEXT) | instid1(VALU_DEP_2)
	v_xor_b32_e32 v33, v32, v45
	v_sub_co_u32 v32, vcc_lo, v13, v45
	s_delay_alu instid0(VALU_DEP_2)
	v_sub_co_ci_u32_e32 v33, vcc_lo, v33, v45, vcc_lo
	s_and_not1_saveexec_b32 s1, s35
	s_cbranch_execz .LBB35_40
.LBB35_42:                              ;   in Loop: Header=BB35_33 Depth=2
	v_cvt_f32_u32_e32 v13, s8
	s_sub_i32 s19, 0, s8
	s_delay_alu instid0(VALU_DEP_1) | instskip(SKIP_2) | instid1(VALU_DEP_1)
	v_rcp_iflag_f32_e32 v13, v13
	s_waitcnt_depctr 0xfff
	v_mul_f32_e32 v13, 0x4f7ffffe, v13
	v_cvt_u32_f32_e32 v13, v13
	s_delay_alu instid0(VALU_DEP_1) | instskip(NEXT) | instid1(VALU_DEP_1)
	v_mul_lo_u32 v32, s19, v13
	v_mul_hi_u32 v32, v13, v32
	s_delay_alu instid0(VALU_DEP_1) | instskip(NEXT) | instid1(VALU_DEP_1)
	v_add_nc_u32_e32 v13, v13, v32
	v_mul_hi_u32 v13, v34, v13
	s_delay_alu instid0(VALU_DEP_1) | instskip(SKIP_1) | instid1(VALU_DEP_2)
	v_mul_lo_u32 v32, v13, s8
	v_add_nc_u32_e32 v33, 1, v13
	v_sub_nc_u32_e32 v32, v34, v32
	s_delay_alu instid0(VALU_DEP_1) | instskip(SKIP_1) | instid1(VALU_DEP_2)
	v_subrev_nc_u32_e32 v37, s8, v32
	v_cmp_le_u32_e32 vcc_lo, s8, v32
	v_cndmask_b32_e32 v32, v32, v37, vcc_lo
	v_cndmask_b32_e32 v13, v13, v33, vcc_lo
	s_delay_alu instid0(VALU_DEP_2) | instskip(NEXT) | instid1(VALU_DEP_2)
	v_cmp_le_u32_e32 vcc_lo, s8, v32
	v_add_nc_u32_e32 v33, 1, v13
	s_delay_alu instid0(VALU_DEP_1) | instskip(SKIP_1) | instid1(VALU_DEP_1)
	v_dual_cndmask_b32 v32, v13, v33 :: v_dual_mov_b32 v33, v12
	s_or_b32 exec_lo, exec_lo, s1
	v_cmp_eq_u64_e32 vcc_lo, v[30:31], v[32:33]
	s_and_b32 exec_lo, exec_lo, vcc_lo
	s_cbranch_execz .LBB35_32
.LBB35_43:                              ;   in Loop: Header=BB35_33 Depth=2
	s_and_b32 vcc_lo, exec_lo, s30
	s_cbranch_vccz .LBB35_45
; %bb.44:                               ;   in Loop: Header=BB35_33 Depth=2
	global_load_b32 v13, v[24:25], off
	v_mul_lo_u32 v33, v31, s8
	v_mul_lo_u32 v37, v30, s9
	v_mad_u64_u32 v[31:32], null, v30, s8, 0
	s_delay_alu instid0(VALU_DEP_1) | instskip(NEXT) | instid1(VALU_DEP_2)
	v_add3_u32 v30, v32, v37, v33
	v_sub_co_u32 v31, vcc_lo, v28, v31
	s_delay_alu instid0(VALU_DEP_2) | instskip(NEXT) | instid1(VALU_DEP_2)
	v_sub_co_ci_u32_e32 v30, vcc_lo, v29, v30, vcc_lo
	v_add_co_u32 v32, vcc_lo, v31, v18
	s_delay_alu instid0(VALU_DEP_2) | instskip(NEXT) | instid1(VALU_DEP_2)
	v_add_co_ci_u32_e32 v30, vcc_lo, v30, v19, vcc_lo
	v_mul_lo_u32 v37, s15, v32
	s_delay_alu instid0(VALU_DEP_2) | instskip(SKIP_1) | instid1(VALU_DEP_1)
	v_mul_lo_u32 v33, s14, v30
	v_mad_u64_u32 v[30:31], null, s14, v32, v[26:27]
	v_add3_u32 v31, v37, v31, v33
	s_waitcnt vmcnt(0)
	global_store_b32 v[30:31], v13, off
	s_cbranch_execnz .LBB35_32
	s_branch .LBB35_46
.LBB35_45:                              ;   in Loop: Header=BB35_33 Depth=2
.LBB35_46:                              ;   in Loop: Header=BB35_33 Depth=2
	v_mov_b32_e32 v13, v36
                                        ; implicit-def: $vgpr30_vgpr31
	s_mov_b32 s1, exec_lo
	s_delay_alu instid0(VALU_DEP_1)
	v_cmpx_ne_u64_e32 0, v[12:13]
	s_xor_b32 s35, exec_lo, s1
	s_cbranch_execz .LBB35_48
; %bb.47:                               ;   in Loop: Header=BB35_33 Depth=2
	s_add_u32 s22, s8, s18
	s_mov_b32 s19, s18
	s_addc_u32 s23, s9, s18
	s_delay_alu instid0(SALU_CYCLE_1) | instskip(NEXT) | instid1(SALU_CYCLE_1)
	s_xor_b64 s[22:23], s[22:23], s[18:19]
	v_cvt_f32_u32_e32 v13, s22
	v_cvt_f32_u32_e32 v30, s23
	s_sub_u32 s1, 0, s22
	s_subb_u32 s19, 0, s23
	s_delay_alu instid0(VALU_DEP_1) | instskip(NEXT) | instid1(VALU_DEP_1)
	v_fmac_f32_e32 v13, 0x4f800000, v30
	v_rcp_f32_e32 v13, v13
	s_waitcnt_depctr 0xfff
	v_mul_f32_e32 v13, 0x5f7ffffc, v13
	s_delay_alu instid0(VALU_DEP_1) | instskip(NEXT) | instid1(VALU_DEP_1)
	v_mul_f32_e32 v30, 0x2f800000, v13
	v_trunc_f32_e32 v30, v30
	s_delay_alu instid0(VALU_DEP_1) | instskip(SKIP_1) | instid1(VALU_DEP_2)
	v_fmac_f32_e32 v13, 0xcf800000, v30
	v_cvt_u32_f32_e32 v30, v30
	v_cvt_u32_f32_e32 v13, v13
	s_delay_alu instid0(VALU_DEP_2) | instskip(NEXT) | instid1(VALU_DEP_2)
	v_mul_lo_u32 v31, s1, v30
	v_mul_hi_u32 v32, s1, v13
	v_mul_lo_u32 v33, s19, v13
	s_delay_alu instid0(VALU_DEP_2) | instskip(SKIP_1) | instid1(VALU_DEP_2)
	v_add_nc_u32_e32 v31, v32, v31
	v_mul_lo_u32 v32, s1, v13
	v_add_nc_u32_e32 v31, v31, v33
	s_delay_alu instid0(VALU_DEP_2) | instskip(NEXT) | instid1(VALU_DEP_2)
	v_mul_hi_u32 v33, v13, v32
	v_mul_lo_u32 v36, v13, v31
	v_mul_hi_u32 v37, v13, v31
	v_mul_hi_u32 v44, v30, v32
	v_mul_lo_u32 v32, v30, v32
	v_mul_hi_u32 v45, v30, v31
	v_mul_lo_u32 v31, v30, v31
	v_add_co_u32 v33, vcc_lo, v33, v36
	v_add_co_ci_u32_e32 v36, vcc_lo, 0, v37, vcc_lo
	s_delay_alu instid0(VALU_DEP_2) | instskip(NEXT) | instid1(VALU_DEP_2)
	v_add_co_u32 v32, vcc_lo, v33, v32
	v_add_co_ci_u32_e32 v32, vcc_lo, v36, v44, vcc_lo
	v_add_co_ci_u32_e32 v33, vcc_lo, 0, v45, vcc_lo
	v_ashrrev_i32_e32 v44, 31, v29
	s_delay_alu instid0(VALU_DEP_3) | instskip(NEXT) | instid1(VALU_DEP_3)
	v_add_co_u32 v31, vcc_lo, v32, v31
	v_add_co_ci_u32_e32 v32, vcc_lo, 0, v33, vcc_lo
	s_delay_alu instid0(VALU_DEP_2) | instskip(NEXT) | instid1(VALU_DEP_2)
	v_add_co_u32 v13, vcc_lo, v13, v31
	v_add_co_ci_u32_e32 v30, vcc_lo, v30, v32, vcc_lo
	s_delay_alu instid0(VALU_DEP_2) | instskip(SKIP_1) | instid1(VALU_DEP_3)
	v_mul_hi_u32 v31, s1, v13
	v_mul_lo_u32 v33, s19, v13
	v_mul_lo_u32 v32, s1, v30
	s_delay_alu instid0(VALU_DEP_1) | instskip(SKIP_1) | instid1(VALU_DEP_2)
	v_add_nc_u32_e32 v31, v31, v32
	v_mul_lo_u32 v32, s1, v13
	v_add_nc_u32_e32 v31, v31, v33
	s_delay_alu instid0(VALU_DEP_2) | instskip(NEXT) | instid1(VALU_DEP_2)
	v_mul_hi_u32 v33, v13, v32
	v_mul_lo_u32 v36, v13, v31
	v_mul_hi_u32 v37, v13, v31
	v_mul_hi_u32 v45, v30, v32
	v_mul_lo_u32 v32, v30, v32
	v_mul_hi_u32 v46, v30, v31
	v_mul_lo_u32 v31, v30, v31
	v_add_co_u32 v33, vcc_lo, v33, v36
	v_add_co_ci_u32_e32 v36, vcc_lo, 0, v37, vcc_lo
	s_delay_alu instid0(VALU_DEP_2) | instskip(NEXT) | instid1(VALU_DEP_2)
	v_add_co_u32 v32, vcc_lo, v33, v32
	v_add_co_ci_u32_e32 v32, vcc_lo, v36, v45, vcc_lo
	v_add_co_ci_u32_e32 v33, vcc_lo, 0, v46, vcc_lo
	v_add_co_u32 v28, vcc_lo, v28, v44
	v_add_co_ci_u32_e32 v29, vcc_lo, v29, v44, vcc_lo
	s_delay_alu instid0(VALU_DEP_4) | instskip(NEXT) | instid1(VALU_DEP_4)
	v_add_co_u32 v31, vcc_lo, v32, v31
	v_add_co_ci_u32_e32 v32, vcc_lo, 0, v33, vcc_lo
	s_delay_alu instid0(VALU_DEP_4) | instskip(NEXT) | instid1(VALU_DEP_3)
	v_xor_b32_e32 v36, v28, v44
	v_add_co_u32 v13, vcc_lo, v13, v31
	s_delay_alu instid0(VALU_DEP_3) | instskip(SKIP_1) | instid1(VALU_DEP_3)
	v_add_co_ci_u32_e32 v37, vcc_lo, v30, v32, vcc_lo
	v_xor_b32_e32 v45, v29, v44
	v_mul_hi_u32 v46, v36, v13
	s_delay_alu instid0(VALU_DEP_3) | instskip(NEXT) | instid1(VALU_DEP_3)
	v_mad_u64_u32 v[28:29], null, v36, v37, 0
	v_mad_u64_u32 v[30:31], null, v45, v13, 0
	;; [unrolled: 1-line block ×3, first 2 shown]
	s_delay_alu instid0(VALU_DEP_3) | instskip(NEXT) | instid1(VALU_DEP_4)
	v_add_co_u32 v13, vcc_lo, v46, v28
	v_add_co_ci_u32_e32 v28, vcc_lo, 0, v29, vcc_lo
	s_delay_alu instid0(VALU_DEP_2) | instskip(NEXT) | instid1(VALU_DEP_2)
	v_add_co_u32 v13, vcc_lo, v13, v30
	v_add_co_ci_u32_e32 v13, vcc_lo, v28, v31, vcc_lo
	v_add_co_ci_u32_e32 v28, vcc_lo, 0, v33, vcc_lo
	s_delay_alu instid0(VALU_DEP_2) | instskip(NEXT) | instid1(VALU_DEP_2)
	v_add_co_u32 v13, vcc_lo, v13, v32
	v_add_co_ci_u32_e32 v30, vcc_lo, 0, v28, vcc_lo
	s_delay_alu instid0(VALU_DEP_2) | instskip(SKIP_1) | instid1(VALU_DEP_3)
	v_mul_lo_u32 v31, s23, v13
	v_mad_u64_u32 v[28:29], null, s22, v13, 0
	v_mul_lo_u32 v13, s22, v30
	s_delay_alu instid0(VALU_DEP_2) | instskip(NEXT) | instid1(VALU_DEP_2)
	v_sub_co_u32 v28, vcc_lo, v36, v28
	v_add3_u32 v13, v29, v13, v31
	s_delay_alu instid0(VALU_DEP_1) | instskip(NEXT) | instid1(VALU_DEP_1)
	v_sub_nc_u32_e32 v29, v45, v13
	v_subrev_co_ci_u32_e64 v29, s1, s23, v29, vcc_lo
	v_sub_co_ci_u32_e32 v13, vcc_lo, v45, v13, vcc_lo
	v_sub_co_u32 v30, vcc_lo, v28, s22
	s_delay_alu instid0(VALU_DEP_1) | instskip(SKIP_3) | instid1(VALU_DEP_3)
	v_subrev_co_ci_u32_e64 v31, s1, 0, v29, vcc_lo
	v_cmp_le_u32_e64 s1, s22, v28
	v_subrev_co_ci_u32_e32 v29, vcc_lo, s23, v29, vcc_lo
	v_cmp_le_u32_e32 vcc_lo, s23, v13
	v_cndmask_b32_e64 v32, 0, -1, s1
	v_cmp_le_u32_e64 s1, s22, v30
	v_cndmask_b32_e64 v37, 0, -1, vcc_lo
	v_cmp_eq_u32_e32 vcc_lo, s23, v31
	s_delay_alu instid0(VALU_DEP_3) | instskip(SKIP_1) | instid1(VALU_DEP_1)
	v_cndmask_b32_e64 v33, 0, -1, s1
	v_cmp_le_u32_e64 s1, s23, v31
	v_cndmask_b32_e64 v36, 0, -1, s1
	v_cmp_eq_u32_e64 s1, s23, v13
	s_delay_alu instid0(VALU_DEP_2) | instskip(SKIP_2) | instid1(VALU_DEP_3)
	v_cndmask_b32_e32 v33, v36, v33, vcc_lo
	v_sub_co_u32 v36, vcc_lo, v30, s22
	v_subrev_co_ci_u32_e32 v29, vcc_lo, 0, v29, vcc_lo
	v_cmp_ne_u32_e32 vcc_lo, 0, v33
	v_cndmask_b32_e64 v32, v37, v32, s1
	s_delay_alu instid0(VALU_DEP_3) | instskip(NEXT) | instid1(VALU_DEP_2)
	v_dual_cndmask_b32 v29, v31, v29 :: v_dual_cndmask_b32 v30, v30, v36
	v_cmp_ne_u32_e32 vcc_lo, 0, v32
	s_delay_alu instid0(VALU_DEP_2) | instskip(NEXT) | instid1(VALU_DEP_1)
	v_dual_cndmask_b32 v28, v28, v30 :: v_dual_cndmask_b32 v13, v13, v29
	v_xor_b32_e32 v28, v28, v44
	s_delay_alu instid0(VALU_DEP_2) | instskip(NEXT) | instid1(VALU_DEP_2)
	v_xor_b32_e32 v13, v13, v44
	v_sub_co_u32 v30, vcc_lo, v28, v44
	s_delay_alu instid0(VALU_DEP_2)
	v_sub_co_ci_u32_e32 v31, vcc_lo, v13, v44, vcc_lo
                                        ; implicit-def: $vgpr28_vgpr29
.LBB35_48:                              ;   in Loop: Header=BB35_33 Depth=2
	s_and_not1_saveexec_b32 s1, s35
	s_cbranch_execz .LBB35_31
; %bb.49:                               ;   in Loop: Header=BB35_33 Depth=2
	v_cvt_f32_u32_e32 v13, s8
	s_sub_i32 s19, 0, s8
	v_mov_b32_e32 v31, v12
	s_delay_alu instid0(VALU_DEP_2) | instskip(SKIP_2) | instid1(VALU_DEP_1)
	v_rcp_iflag_f32_e32 v13, v13
	s_waitcnt_depctr 0xfff
	v_mul_f32_e32 v13, 0x4f7ffffe, v13
	v_cvt_u32_f32_e32 v13, v13
	s_delay_alu instid0(VALU_DEP_1) | instskip(NEXT) | instid1(VALU_DEP_1)
	v_mul_lo_u32 v29, s19, v13
	v_mul_hi_u32 v29, v13, v29
	s_delay_alu instid0(VALU_DEP_1) | instskip(NEXT) | instid1(VALU_DEP_1)
	v_add_nc_u32_e32 v13, v13, v29
	v_mul_hi_u32 v13, v28, v13
	s_delay_alu instid0(VALU_DEP_1) | instskip(NEXT) | instid1(VALU_DEP_1)
	v_mul_lo_u32 v13, v13, s8
	v_sub_nc_u32_e32 v13, v28, v13
	s_delay_alu instid0(VALU_DEP_1) | instskip(SKIP_1) | instid1(VALU_DEP_2)
	v_subrev_nc_u32_e32 v28, s8, v13
	v_cmp_le_u32_e32 vcc_lo, s8, v13
	v_cndmask_b32_e32 v13, v13, v28, vcc_lo
	s_delay_alu instid0(VALU_DEP_1) | instskip(SKIP_1) | instid1(VALU_DEP_2)
	v_subrev_nc_u32_e32 v28, s8, v13
	v_cmp_le_u32_e32 vcc_lo, s8, v13
	v_cndmask_b32_e32 v30, v13, v28, vcc_lo
	s_branch .LBB35_31
.LBB35_50:                              ;   in Loop: Header=BB35_10 Depth=1
	s_add_u32 s20, s8, s18
	s_mov_b32 s19, s18
	s_addc_u32 s21, s9, s18
	s_delay_alu instid0(SALU_CYCLE_1) | instskip(NEXT) | instid1(SALU_CYCLE_1)
	s_xor_b64 s[20:21], s[20:21], s[18:19]
	v_cvt_f32_u32_e32 v13, s20
	v_cvt_f32_u32_e32 v20, s21
	s_sub_u32 s1, 0, s20
	s_subb_u32 s19, 0, s21
	s_delay_alu instid0(VALU_DEP_1) | instskip(NEXT) | instid1(VALU_DEP_1)
	v_fmac_f32_e32 v13, 0x4f800000, v20
	v_rcp_f32_e32 v13, v13
	s_waitcnt_depctr 0xfff
	v_mul_f32_e32 v13, 0x5f7ffffc, v13
	s_delay_alu instid0(VALU_DEP_1) | instskip(NEXT) | instid1(VALU_DEP_1)
	v_mul_f32_e32 v20, 0x2f800000, v13
	v_trunc_f32_e32 v20, v20
	s_delay_alu instid0(VALU_DEP_1) | instskip(SKIP_1) | instid1(VALU_DEP_2)
	v_fmac_f32_e32 v13, 0xcf800000, v20
	v_cvt_u32_f32_e32 v20, v20
	v_cvt_u32_f32_e32 v13, v13
	s_delay_alu instid0(VALU_DEP_2) | instskip(NEXT) | instid1(VALU_DEP_2)
	v_mul_lo_u32 v21, s1, v20
	v_mul_hi_u32 v22, s1, v13
	v_mul_lo_u32 v23, s19, v13
	s_delay_alu instid0(VALU_DEP_2) | instskip(SKIP_1) | instid1(VALU_DEP_2)
	v_add_nc_u32_e32 v21, v22, v21
	v_mul_lo_u32 v22, s1, v13
	v_add_nc_u32_e32 v21, v21, v23
	s_delay_alu instid0(VALU_DEP_2) | instskip(NEXT) | instid1(VALU_DEP_2)
	v_mul_hi_u32 v23, v13, v22
	v_mul_lo_u32 v24, v13, v21
	v_mul_hi_u32 v25, v13, v21
	v_mul_hi_u32 v26, v20, v22
	v_mul_lo_u32 v22, v20, v22
	v_mul_hi_u32 v27, v20, v21
	v_mul_lo_u32 v21, v20, v21
	v_add_co_u32 v23, vcc_lo, v23, v24
	v_add_co_ci_u32_e32 v24, vcc_lo, 0, v25, vcc_lo
	s_delay_alu instid0(VALU_DEP_2) | instskip(NEXT) | instid1(VALU_DEP_2)
	v_add_co_u32 v22, vcc_lo, v23, v22
	v_add_co_ci_u32_e32 v22, vcc_lo, v24, v26, vcc_lo
	v_add_co_ci_u32_e32 v23, vcc_lo, 0, v27, vcc_lo
	v_ashrrev_i32_e32 v26, 31, v19
	s_delay_alu instid0(VALU_DEP_3) | instskip(NEXT) | instid1(VALU_DEP_3)
	v_add_co_u32 v21, vcc_lo, v22, v21
	v_add_co_ci_u32_e32 v22, vcc_lo, 0, v23, vcc_lo
	s_delay_alu instid0(VALU_DEP_2) | instskip(NEXT) | instid1(VALU_DEP_2)
	v_add_co_u32 v13, vcc_lo, v13, v21
	v_add_co_ci_u32_e32 v20, vcc_lo, v20, v22, vcc_lo
	s_delay_alu instid0(VALU_DEP_2) | instskip(SKIP_1) | instid1(VALU_DEP_3)
	v_mul_hi_u32 v21, s1, v13
	v_mul_lo_u32 v23, s19, v13
	v_mul_lo_u32 v22, s1, v20
	s_delay_alu instid0(VALU_DEP_1) | instskip(SKIP_1) | instid1(VALU_DEP_2)
	v_add_nc_u32_e32 v21, v21, v22
	v_mul_lo_u32 v22, s1, v13
	v_add_nc_u32_e32 v21, v21, v23
	s_delay_alu instid0(VALU_DEP_2) | instskip(NEXT) | instid1(VALU_DEP_2)
	v_mul_hi_u32 v23, v13, v22
	v_mul_lo_u32 v24, v13, v21
	v_mul_hi_u32 v25, v13, v21
	v_mul_hi_u32 v27, v20, v22
	v_mul_lo_u32 v22, v20, v22
	v_mul_hi_u32 v28, v20, v21
	v_mul_lo_u32 v21, v20, v21
	v_add_co_u32 v23, vcc_lo, v23, v24
	v_add_co_ci_u32_e32 v24, vcc_lo, 0, v25, vcc_lo
	s_delay_alu instid0(VALU_DEP_2) | instskip(NEXT) | instid1(VALU_DEP_2)
	v_add_co_u32 v22, vcc_lo, v23, v22
	v_add_co_ci_u32_e32 v22, vcc_lo, v24, v27, vcc_lo
	v_add_co_ci_u32_e32 v23, vcc_lo, 0, v28, vcc_lo
	v_add_co_u32 v24, vcc_lo, v18, v26
	v_add_co_ci_u32_e32 v25, vcc_lo, v19, v26, vcc_lo
	s_delay_alu instid0(VALU_DEP_4) | instskip(NEXT) | instid1(VALU_DEP_4)
	v_add_co_u32 v21, vcc_lo, v22, v21
	v_add_co_ci_u32_e32 v22, vcc_lo, 0, v23, vcc_lo
	s_delay_alu instid0(VALU_DEP_4) | instskip(NEXT) | instid1(VALU_DEP_3)
	v_xor_b32_e32 v27, v24, v26
	v_add_co_u32 v13, vcc_lo, v13, v21
	s_delay_alu instid0(VALU_DEP_3) | instskip(SKIP_1) | instid1(VALU_DEP_3)
	v_add_co_ci_u32_e32 v28, vcc_lo, v20, v22, vcc_lo
	v_xor_b32_e32 v29, v25, v26
	v_mul_hi_u32 v30, v27, v13
	s_delay_alu instid0(VALU_DEP_3) | instskip(NEXT) | instid1(VALU_DEP_3)
	v_mad_u64_u32 v[20:21], null, v27, v28, 0
	v_mad_u64_u32 v[22:23], null, v29, v13, 0
	;; [unrolled: 1-line block ×3, first 2 shown]
	s_delay_alu instid0(VALU_DEP_3) | instskip(NEXT) | instid1(VALU_DEP_4)
	v_add_co_u32 v13, vcc_lo, v30, v20
	v_add_co_ci_u32_e32 v20, vcc_lo, 0, v21, vcc_lo
	s_delay_alu instid0(VALU_DEP_2) | instskip(NEXT) | instid1(VALU_DEP_2)
	v_add_co_u32 v13, vcc_lo, v13, v22
	v_add_co_ci_u32_e32 v13, vcc_lo, v20, v23, vcc_lo
	v_add_co_ci_u32_e32 v20, vcc_lo, 0, v25, vcc_lo
	s_delay_alu instid0(VALU_DEP_2) | instskip(NEXT) | instid1(VALU_DEP_2)
	v_add_co_u32 v13, vcc_lo, v13, v24
	v_add_co_ci_u32_e32 v22, vcc_lo, 0, v20, vcc_lo
	s_delay_alu instid0(VALU_DEP_2) | instskip(SKIP_1) | instid1(VALU_DEP_3)
	v_mul_lo_u32 v23, s21, v13
	v_mad_u64_u32 v[20:21], null, s20, v13, 0
	v_mul_lo_u32 v24, s20, v22
	s_delay_alu instid0(VALU_DEP_2) | instskip(NEXT) | instid1(VALU_DEP_2)
	v_sub_co_u32 v20, vcc_lo, v27, v20
	v_add3_u32 v21, v21, v24, v23
	s_delay_alu instid0(VALU_DEP_1) | instskip(NEXT) | instid1(VALU_DEP_1)
	v_sub_nc_u32_e32 v23, v29, v21
	v_subrev_co_ci_u32_e64 v23, s1, s21, v23, vcc_lo
	v_add_co_u32 v24, s1, v13, 2
	s_delay_alu instid0(VALU_DEP_1) | instskip(SKIP_3) | instid1(VALU_DEP_3)
	v_add_co_ci_u32_e64 v25, s1, 0, v22, s1
	v_sub_co_u32 v27, s1, v20, s20
	v_sub_co_ci_u32_e32 v21, vcc_lo, v29, v21, vcc_lo
	v_subrev_co_ci_u32_e64 v23, s1, 0, v23, s1
	v_cmp_le_u32_e32 vcc_lo, s20, v27
	s_delay_alu instid0(VALU_DEP_3) | instskip(SKIP_1) | instid1(VALU_DEP_4)
	v_cmp_eq_u32_e64 s1, s21, v21
	v_cndmask_b32_e64 v27, 0, -1, vcc_lo
	v_cmp_le_u32_e32 vcc_lo, s21, v23
	v_cndmask_b32_e64 v28, 0, -1, vcc_lo
	v_cmp_le_u32_e32 vcc_lo, s20, v20
	;; [unrolled: 2-line block ×3, first 2 shown]
	v_cndmask_b32_e64 v29, 0, -1, vcc_lo
	v_cmp_eq_u32_e32 vcc_lo, s21, v23
	s_delay_alu instid0(VALU_DEP_2) | instskip(SKIP_3) | instid1(VALU_DEP_3)
	v_cndmask_b32_e64 v20, v29, v20, s1
	v_cndmask_b32_e32 v23, v28, v27, vcc_lo
	v_add_co_u32 v27, vcc_lo, v13, 1
	v_add_co_ci_u32_e32 v28, vcc_lo, 0, v22, vcc_lo
	v_cmp_ne_u32_e32 vcc_lo, 0, v23
	s_delay_alu instid0(VALU_DEP_2) | instskip(NEXT) | instid1(VALU_DEP_4)
	v_cndmask_b32_e32 v21, v28, v25, vcc_lo
	v_cndmask_b32_e32 v23, v27, v24, vcc_lo
	v_cmp_ne_u32_e32 vcc_lo, 0, v20
	v_xor_b32_e32 v24, s18, v26
	s_delay_alu instid0(VALU_DEP_3) | instskip(NEXT) | instid1(VALU_DEP_1)
	v_dual_cndmask_b32 v13, v13, v23 :: v_dual_cndmask_b32 v20, v22, v21
	v_xor_b32_e32 v13, v13, v24
	s_delay_alu instid0(VALU_DEP_2) | instskip(NEXT) | instid1(VALU_DEP_2)
	v_xor_b32_e32 v21, v20, v24
	v_sub_co_u32 v20, vcc_lo, v13, v24
	s_delay_alu instid0(VALU_DEP_2)
	v_sub_co_ci_u32_e32 v21, vcc_lo, v21, v24, vcc_lo
	s_and_not1_saveexec_b32 s1, s23
	s_cbranch_execz .LBB35_26
.LBB35_51:                              ;   in Loop: Header=BB35_10 Depth=1
	v_cvt_f32_u32_e32 v13, s8
	s_sub_i32 s19, 0, s8
	s_delay_alu instid0(VALU_DEP_1) | instskip(SKIP_2) | instid1(VALU_DEP_1)
	v_rcp_iflag_f32_e32 v13, v13
	s_waitcnt_depctr 0xfff
	v_mul_f32_e32 v13, 0x4f7ffffe, v13
	v_cvt_u32_f32_e32 v13, v13
	s_delay_alu instid0(VALU_DEP_1) | instskip(NEXT) | instid1(VALU_DEP_1)
	v_mul_lo_u32 v20, s19, v13
	v_mul_hi_u32 v20, v13, v20
	s_delay_alu instid0(VALU_DEP_1) | instskip(NEXT) | instid1(VALU_DEP_1)
	v_add_nc_u32_e32 v13, v13, v20
	v_mul_hi_u32 v13, v18, v13
	s_delay_alu instid0(VALU_DEP_1) | instskip(SKIP_1) | instid1(VALU_DEP_2)
	v_mul_lo_u32 v20, v13, s8
	v_add_nc_u32_e32 v21, 1, v13
	v_sub_nc_u32_e32 v20, v18, v20
	s_delay_alu instid0(VALU_DEP_1) | instskip(SKIP_1) | instid1(VALU_DEP_2)
	v_subrev_nc_u32_e32 v22, s8, v20
	v_cmp_le_u32_e32 vcc_lo, s8, v20
	v_dual_cndmask_b32 v20, v20, v22 :: v_dual_cndmask_b32 v13, v13, v21
	s_delay_alu instid0(VALU_DEP_1) | instskip(NEXT) | instid1(VALU_DEP_2)
	v_cmp_le_u32_e32 vcc_lo, s8, v20
	v_add_nc_u32_e32 v21, 1, v13
	s_delay_alu instid0(VALU_DEP_1) | instskip(SKIP_1) | instid1(SALU_CYCLE_1)
	v_dual_cndmask_b32 v20, v13, v21 :: v_dual_mov_b32 v21, v12
	s_or_b32 exec_lo, exec_lo, s1
	s_mov_b32 s1, exec_lo
	s_delay_alu instid0(VALU_DEP_1)
	v_cmpx_ge_i64_e64 v[20:21], v[16:17]
	s_cbranch_execnz .LBB35_27
	s_branch .LBB35_28
.LBB35_52:
	s_nop 0
	s_sendmsg sendmsg(MSG_DEALLOC_VGPRS)
	s_endpgm
	.section	.rodata,"a",@progbits
	.p2align	6, 0x0
	.amdhsa_kernel _ZN9rocsparseL21csr2bsr_65_inf_kernelILj32EillEEv20rocsparse_direction_T2_S2_S2_S2_S2_S2_21rocsparse_index_base_PKT0_PKT1_PKS2_S3_PS4_PS7_PS2_SD_SE_SC_
		.amdhsa_group_segment_fixed_size 0
		.amdhsa_private_segment_fixed_size 0
		.amdhsa_kernarg_size 144
		.amdhsa_user_sgpr_count 15
		.amdhsa_user_sgpr_dispatch_ptr 0
		.amdhsa_user_sgpr_queue_ptr 0
		.amdhsa_user_sgpr_kernarg_segment_ptr 1
		.amdhsa_user_sgpr_dispatch_id 0
		.amdhsa_user_sgpr_private_segment_size 0
		.amdhsa_wavefront_size32 1
		.amdhsa_uses_dynamic_stack 0
		.amdhsa_enable_private_segment 0
		.amdhsa_system_sgpr_workgroup_id_x 1
		.amdhsa_system_sgpr_workgroup_id_y 0
		.amdhsa_system_sgpr_workgroup_id_z 0
		.amdhsa_system_sgpr_workgroup_info 0
		.amdhsa_system_vgpr_workitem_id 0
		.amdhsa_next_free_vgpr 52
		.amdhsa_next_free_sgpr 37
		.amdhsa_reserve_vcc 1
		.amdhsa_float_round_mode_32 0
		.amdhsa_float_round_mode_16_64 0
		.amdhsa_float_denorm_mode_32 3
		.amdhsa_float_denorm_mode_16_64 3
		.amdhsa_dx10_clamp 1
		.amdhsa_ieee_mode 1
		.amdhsa_fp16_overflow 0
		.amdhsa_workgroup_processor_mode 1
		.amdhsa_memory_ordered 1
		.amdhsa_forward_progress 0
		.amdhsa_shared_vgpr_count 0
		.amdhsa_exception_fp_ieee_invalid_op 0
		.amdhsa_exception_fp_denorm_src 0
		.amdhsa_exception_fp_ieee_div_zero 0
		.amdhsa_exception_fp_ieee_overflow 0
		.amdhsa_exception_fp_ieee_underflow 0
		.amdhsa_exception_fp_ieee_inexact 0
		.amdhsa_exception_int_div_zero 0
	.end_amdhsa_kernel
	.section	.text._ZN9rocsparseL21csr2bsr_65_inf_kernelILj32EillEEv20rocsparse_direction_T2_S2_S2_S2_S2_S2_21rocsparse_index_base_PKT0_PKT1_PKS2_S3_PS4_PS7_PS2_SD_SE_SC_,"axG",@progbits,_ZN9rocsparseL21csr2bsr_65_inf_kernelILj32EillEEv20rocsparse_direction_T2_S2_S2_S2_S2_S2_21rocsparse_index_base_PKT0_PKT1_PKS2_S3_PS4_PS7_PS2_SD_SE_SC_,comdat
.Lfunc_end35:
	.size	_ZN9rocsparseL21csr2bsr_65_inf_kernelILj32EillEEv20rocsparse_direction_T2_S2_S2_S2_S2_S2_21rocsparse_index_base_PKT0_PKT1_PKS2_S3_PS4_PS7_PS2_SD_SE_SC_, .Lfunc_end35-_ZN9rocsparseL21csr2bsr_65_inf_kernelILj32EillEEv20rocsparse_direction_T2_S2_S2_S2_S2_S2_21rocsparse_index_base_PKT0_PKT1_PKS2_S3_PS4_PS7_PS2_SD_SE_SC_
                                        ; -- End function
	.section	.AMDGPU.csdata,"",@progbits
; Kernel info:
; codeLenInByte = 6384
; NumSgprs: 39
; NumVgprs: 52
; ScratchSize: 0
; MemoryBound: 0
; FloatMode: 240
; IeeeMode: 1
; LDSByteSize: 0 bytes/workgroup (compile time only)
; SGPRBlocks: 4
; VGPRBlocks: 6
; NumSGPRsForWavesPerEU: 39
; NumVGPRsForWavesPerEU: 52
; Occupancy: 16
; WaveLimiterHint : 1
; COMPUTE_PGM_RSRC2:SCRATCH_EN: 0
; COMPUTE_PGM_RSRC2:USER_SGPR: 15
; COMPUTE_PGM_RSRC2:TRAP_HANDLER: 0
; COMPUTE_PGM_RSRC2:TGID_X_EN: 1
; COMPUTE_PGM_RSRC2:TGID_Y_EN: 0
; COMPUTE_PGM_RSRC2:TGID_Z_EN: 0
; COMPUTE_PGM_RSRC2:TIDIG_COMP_CNT: 0
	.section	.text._ZN9rocsparseL35csr2bsr_block_dim_equals_one_kernelILj256EfiiEEvT2_S1_S1_S1_21rocsparse_index_base_PKT0_PKT1_PKS1_S2_PS3_PS6_PS1_,"axG",@progbits,_ZN9rocsparseL35csr2bsr_block_dim_equals_one_kernelILj256EfiiEEvT2_S1_S1_S1_21rocsparse_index_base_PKT0_PKT1_PKS1_S2_PS3_PS6_PS1_,comdat
	.globl	_ZN9rocsparseL35csr2bsr_block_dim_equals_one_kernelILj256EfiiEEvT2_S1_S1_S1_21rocsparse_index_base_PKT0_PKT1_PKS1_S2_PS3_PS6_PS1_ ; -- Begin function _ZN9rocsparseL35csr2bsr_block_dim_equals_one_kernelILj256EfiiEEvT2_S1_S1_S1_21rocsparse_index_base_PKT0_PKT1_PKS1_S2_PS3_PS6_PS1_
	.p2align	8
	.type	_ZN9rocsparseL35csr2bsr_block_dim_equals_one_kernelILj256EfiiEEvT2_S1_S1_S1_21rocsparse_index_base_PKT0_PKT1_PKS1_S2_PS3_PS6_PS1_,@function
_ZN9rocsparseL35csr2bsr_block_dim_equals_one_kernelILj256EfiiEEvT2_S1_S1_S1_21rocsparse_index_base_PKT0_PKT1_PKS1_S2_PS3_PS6_PS1_: ; @_ZN9rocsparseL35csr2bsr_block_dim_equals_one_kernelILj256EfiiEEvT2_S1_S1_S1_21rocsparse_index_base_PKT0_PKT1_PKS1_S2_PS3_PS6_PS1_
; %bb.0:
	s_clause 0x1
	s_load_b32 s2, s[0:1], 0x0
	s_load_b128 s[4:7], s[0:1], 0x18
	v_lshl_or_b32 v0, s15, 8, v0
	s_waitcnt lgkmcnt(0)
	s_ashr_i32 s3, s2, 31
	s_delay_alu instid0(SALU_CYCLE_1) | instskip(NEXT) | instid1(SALU_CYCLE_1)
	s_lshl_b64 s[2:3], s[2:3], 2
	s_add_u32 s2, s6, s2
	s_addc_u32 s3, s7, s3
	s_clause 0x1
	s_load_b32 s2, s[2:3], 0x0
	s_load_b32 s3, s[6:7], 0x0
	s_waitcnt lgkmcnt(0)
	s_sub_i32 s10, s2, s3
	s_mov_b32 s2, exec_lo
	v_cmpx_gt_i32_e64 s10, v0
	s_cbranch_execz .LBB36_3
; %bb.1:
	s_clause 0x5
	s_load_b32 s11, s[0:1], 0x30
	s_load_b64 s[2:3], s[0:1], 0x38
	s_load_b32 s12, s[0:1], 0x10
	s_load_b32 s13, s[0:1], 0x50
	s_load_b64 s[6:7], s[0:1], 0x28
	s_load_b64 s[8:9], s[0:1], 0x48
	s_waitcnt lgkmcnt(0)
	s_sub_i32 s1, s11, s12
	s_lshl_b32 s11, s13, 8
	s_mov_b32 s12, 0
	.p2align	6
.LBB36_2:                               ; =>This Inner Loop Header: Depth=1
	v_ashrrev_i32_e32 v1, 31, v0
	s_delay_alu instid0(VALU_DEP_1) | instskip(SKIP_1) | instid1(VALU_DEP_2)
	v_lshlrev_b64 v[1:2], 2, v[0:1]
	v_add_nc_u32_e32 v0, s11, v0
	v_add_co_u32 v3, vcc_lo, s6, v1
	s_delay_alu instid0(VALU_DEP_3)
	v_add_co_ci_u32_e32 v4, vcc_lo, s7, v2, vcc_lo
	global_load_b32 v5, v[3:4], off
	v_add_co_u32 v3, vcc_lo, s4, v1
	v_add_co_ci_u32_e32 v4, vcc_lo, s5, v2, vcc_lo
	v_cmp_le_i32_e32 vcc_lo, s10, v0
	global_load_b32 v6, v[3:4], off
	v_add_co_u32 v3, s0, s8, v1
	s_delay_alu instid0(VALU_DEP_1) | instskip(SKIP_1) | instid1(VALU_DEP_1)
	v_add_co_ci_u32_e64 v4, s0, s9, v2, s0
	v_add_co_u32 v1, s0, s2, v1
	v_add_co_ci_u32_e64 v2, s0, s3, v2, s0
	s_or_b32 s12, vcc_lo, s12
	s_waitcnt vmcnt(1)
	v_add_nc_u32_e32 v5, s1, v5
	global_store_b32 v[3:4], v5, off
	s_waitcnt vmcnt(0)
	global_store_b32 v[1:2], v6, off
	s_and_not1_b32 exec_lo, exec_lo, s12
	s_cbranch_execnz .LBB36_2
.LBB36_3:
	s_nop 0
	s_sendmsg sendmsg(MSG_DEALLOC_VGPRS)
	s_endpgm
	.section	.rodata,"a",@progbits
	.p2align	6, 0x0
	.amdhsa_kernel _ZN9rocsparseL35csr2bsr_block_dim_equals_one_kernelILj256EfiiEEvT2_S1_S1_S1_21rocsparse_index_base_PKT0_PKT1_PKS1_S2_PS3_PS6_PS1_
		.amdhsa_group_segment_fixed_size 0
		.amdhsa_private_segment_fixed_size 0
		.amdhsa_kernarg_size 336
		.amdhsa_user_sgpr_count 15
		.amdhsa_user_sgpr_dispatch_ptr 0
		.amdhsa_user_sgpr_queue_ptr 0
		.amdhsa_user_sgpr_kernarg_segment_ptr 1
		.amdhsa_user_sgpr_dispatch_id 0
		.amdhsa_user_sgpr_private_segment_size 0
		.amdhsa_wavefront_size32 1
		.amdhsa_uses_dynamic_stack 0
		.amdhsa_enable_private_segment 0
		.amdhsa_system_sgpr_workgroup_id_x 1
		.amdhsa_system_sgpr_workgroup_id_y 0
		.amdhsa_system_sgpr_workgroup_id_z 0
		.amdhsa_system_sgpr_workgroup_info 0
		.amdhsa_system_vgpr_workitem_id 0
		.amdhsa_next_free_vgpr 7
		.amdhsa_next_free_sgpr 16
		.amdhsa_reserve_vcc 1
		.amdhsa_float_round_mode_32 0
		.amdhsa_float_round_mode_16_64 0
		.amdhsa_float_denorm_mode_32 3
		.amdhsa_float_denorm_mode_16_64 3
		.amdhsa_dx10_clamp 1
		.amdhsa_ieee_mode 1
		.amdhsa_fp16_overflow 0
		.amdhsa_workgroup_processor_mode 1
		.amdhsa_memory_ordered 1
		.amdhsa_forward_progress 0
		.amdhsa_shared_vgpr_count 0
		.amdhsa_exception_fp_ieee_invalid_op 0
		.amdhsa_exception_fp_denorm_src 0
		.amdhsa_exception_fp_ieee_div_zero 0
		.amdhsa_exception_fp_ieee_overflow 0
		.amdhsa_exception_fp_ieee_underflow 0
		.amdhsa_exception_fp_ieee_inexact 0
		.amdhsa_exception_int_div_zero 0
	.end_amdhsa_kernel
	.section	.text._ZN9rocsparseL35csr2bsr_block_dim_equals_one_kernelILj256EfiiEEvT2_S1_S1_S1_21rocsparse_index_base_PKT0_PKT1_PKS1_S2_PS3_PS6_PS1_,"axG",@progbits,_ZN9rocsparseL35csr2bsr_block_dim_equals_one_kernelILj256EfiiEEvT2_S1_S1_S1_21rocsparse_index_base_PKT0_PKT1_PKS1_S2_PS3_PS6_PS1_,comdat
.Lfunc_end36:
	.size	_ZN9rocsparseL35csr2bsr_block_dim_equals_one_kernelILj256EfiiEEvT2_S1_S1_S1_21rocsparse_index_base_PKT0_PKT1_PKS1_S2_PS3_PS6_PS1_, .Lfunc_end36-_ZN9rocsparseL35csr2bsr_block_dim_equals_one_kernelILj256EfiiEEvT2_S1_S1_S1_21rocsparse_index_base_PKT0_PKT1_PKS1_S2_PS3_PS6_PS1_
                                        ; -- End function
	.section	.AMDGPU.csdata,"",@progbits
; Kernel info:
; codeLenInByte = 320
; NumSgprs: 18
; NumVgprs: 7
; ScratchSize: 0
; MemoryBound: 0
; FloatMode: 240
; IeeeMode: 1
; LDSByteSize: 0 bytes/workgroup (compile time only)
; SGPRBlocks: 2
; VGPRBlocks: 0
; NumSGPRsForWavesPerEU: 18
; NumVGPRsForWavesPerEU: 7
; Occupancy: 16
; WaveLimiterHint : 0
; COMPUTE_PGM_RSRC2:SCRATCH_EN: 0
; COMPUTE_PGM_RSRC2:USER_SGPR: 15
; COMPUTE_PGM_RSRC2:TRAP_HANDLER: 0
; COMPUTE_PGM_RSRC2:TGID_X_EN: 1
; COMPUTE_PGM_RSRC2:TGID_Y_EN: 0
; COMPUTE_PGM_RSRC2:TGID_Z_EN: 0
; COMPUTE_PGM_RSRC2:TIDIG_COMP_CNT: 0
	.section	.text._ZN9rocsparseL42csr2bsr_wavefront_per_row_multipass_kernelILj256ELj16ELj4EfiiEEv20rocsparse_direction_T4_S2_S2_S2_S2_21rocsparse_index_base_PKT2_PKT3_PKS2_S3_PS4_PS7_PS2_,"axG",@progbits,_ZN9rocsparseL42csr2bsr_wavefront_per_row_multipass_kernelILj256ELj16ELj4EfiiEEv20rocsparse_direction_T4_S2_S2_S2_S2_21rocsparse_index_base_PKT2_PKT3_PKS2_S3_PS4_PS7_PS2_,comdat
	.globl	_ZN9rocsparseL42csr2bsr_wavefront_per_row_multipass_kernelILj256ELj16ELj4EfiiEEv20rocsparse_direction_T4_S2_S2_S2_S2_21rocsparse_index_base_PKT2_PKT3_PKS2_S3_PS4_PS7_PS2_ ; -- Begin function _ZN9rocsparseL42csr2bsr_wavefront_per_row_multipass_kernelILj256ELj16ELj4EfiiEEv20rocsparse_direction_T4_S2_S2_S2_S2_21rocsparse_index_base_PKT2_PKT3_PKS2_S3_PS4_PS7_PS2_
	.p2align	8
	.type	_ZN9rocsparseL42csr2bsr_wavefront_per_row_multipass_kernelILj256ELj16ELj4EfiiEEv20rocsparse_direction_T4_S2_S2_S2_S2_21rocsparse_index_base_PKT2_PKT3_PKS2_S3_PS4_PS7_PS2_,@function
_ZN9rocsparseL42csr2bsr_wavefront_per_row_multipass_kernelILj256ELj16ELj4EfiiEEv20rocsparse_direction_T4_S2_S2_S2_S2_21rocsparse_index_base_PKT2_PKT3_PKS2_S3_PS4_PS7_PS2_: ; @_ZN9rocsparseL42csr2bsr_wavefront_per_row_multipass_kernelILj256ELj16ELj4EfiiEEv20rocsparse_direction_T4_S2_S2_S2_S2_21rocsparse_index_base_PKT2_PKT3_PKS2_S3_PS4_PS7_PS2_
; %bb.0:
	s_clause 0x1
	s_load_b128 s[4:7], s[0:1], 0xc
	s_load_b64 s[10:11], s[0:1], 0x0
	v_lshrrev_b32_e32 v7, 4, v0
	v_bfe_u32 v4, v0, 2, 2
	s_load_b64 s[8:9], s[0:1], 0x28
	v_dual_mov_b32 v8, 0 :: v_dual_mov_b32 v11, 0
	s_delay_alu instid0(VALU_DEP_3) | instskip(SKIP_1) | instid1(VALU_DEP_1)
	v_lshl_or_b32 v2, s15, 4, v7
	s_waitcnt lgkmcnt(0)
	v_mad_u64_u32 v[5:6], null, v2, s6, v[4:5]
	v_cmp_gt_i32_e32 vcc_lo, s6, v4
	s_delay_alu instid0(VALU_DEP_2) | instskip(NEXT) | instid1(VALU_DEP_1)
	v_cmp_gt_i32_e64 s2, s11, v5
	s_and_b32 s3, vcc_lo, s2
	s_delay_alu instid0(SALU_CYCLE_1)
	s_and_saveexec_b32 s11, s3
	s_cbranch_execz .LBB37_2
; %bb.1:
	v_ashrrev_i32_e32 v6, 31, v5
	s_delay_alu instid0(VALU_DEP_1) | instskip(NEXT) | instid1(VALU_DEP_1)
	v_lshlrev_b64 v[9:10], 2, v[5:6]
	v_add_co_u32 v9, s2, s8, v9
	s_delay_alu instid0(VALU_DEP_1)
	v_add_co_ci_u32_e64 v10, s2, s9, v10, s2
	global_load_b32 v1, v[9:10], off
	s_waitcnt vmcnt(0)
	v_subrev_nc_u32_e32 v11, s7, v1
.LBB37_2:
	s_or_b32 exec_lo, exec_lo, s11
	s_and_saveexec_b32 s11, s3
	s_cbranch_execz .LBB37_4
; %bb.3:
	v_ashrrev_i32_e32 v6, 31, v5
	s_delay_alu instid0(VALU_DEP_1) | instskip(NEXT) | instid1(VALU_DEP_1)
	v_lshlrev_b64 v[5:6], 2, v[5:6]
	v_add_co_u32 v5, s2, s8, v5
	s_delay_alu instid0(VALU_DEP_1)
	v_add_co_ci_u32_e64 v6, s2, s9, v6, s2
	global_load_b32 v1, v[5:6], off offset:4
	s_waitcnt vmcnt(0)
	v_subrev_nc_u32_e32 v8, s7, v1
.LBB37_4:
	s_or_b32 exec_lo, exec_lo, s11
	s_load_b32 s12, s[0:1], 0x38
	v_mov_b32_e32 v1, 0
	s_mov_b32 s3, exec_lo
	v_cmpx_gt_i32_e64 s4, v2
	s_cbranch_execz .LBB37_6
; %bb.5:
	s_load_b64 s[8:9], s[0:1], 0x48
	v_ashrrev_i32_e32 v3, 31, v2
	s_delay_alu instid0(VALU_DEP_1) | instskip(SKIP_1) | instid1(VALU_DEP_1)
	v_lshlrev_b64 v[1:2], 2, v[2:3]
	s_waitcnt lgkmcnt(0)
	v_add_co_u32 v1, s2, s8, v1
	s_delay_alu instid0(VALU_DEP_1)
	v_add_co_ci_u32_e64 v2, s2, s9, v2, s2
	global_load_b32 v1, v[1:2], off
	s_waitcnt vmcnt(0)
	v_subrev_nc_u32_e32 v1, s12, v1
.LBB37_6:
	s_or_b32 exec_lo, exec_lo, s3
	s_cmp_lt_i32 s5, 1
	s_cbranch_scc1 .LBB37_21
; %bb.7:
	v_and_b32_e32 v9, 3, v0
	s_load_b64 s[14:15], s[0:1], 0x40
	v_mov_b32_e32 v3, 0
	s_delay_alu instid0(VALU_DEP_2) | instskip(SKIP_1) | instid1(VALU_DEP_1)
	v_mul_lo_u32 v2, v9, s6
	v_cmp_gt_u32_e64 s2, s6, v9
	s_and_b32 s4, vcc_lo, s2
	s_load_b64 s[2:3], s[0:1], 0x50
	s_delay_alu instid0(VALU_DEP_2)
	v_lshlrev_b64 v[5:6], 2, v[2:3]
	v_mul_lo_u32 v2, v4, s6
	v_lshlrev_b32_e32 v4, 2, v4
	s_load_b64 s[8:9], s[0:1], 0x30
	s_cmp_eq_u32 s10, 0
	s_load_b64 s[10:11], s[0:1], 0x20
	s_mov_b32 s1, 0
	v_and_or_b32 v0, 0xf0, v0, v4
	s_delay_alu instid0(VALU_DEP_3) | instskip(SKIP_3) | instid1(VALU_DEP_3)
	v_lshlrev_b64 v[12:13], 2, v[2:3]
	s_waitcnt lgkmcnt(0)
	v_add_co_u32 v2, vcc_lo, s14, v5
	v_add_co_ci_u32_e32 v5, vcc_lo, s15, v6, vcc_lo
	v_add_co_u32 v6, vcc_lo, s14, v12
	s_delay_alu instid0(VALU_DEP_4) | instskip(NEXT) | instid1(VALU_DEP_4)
	v_add_co_ci_u32_e32 v12, vcc_lo, s15, v13, vcc_lo
	v_add_co_u32 v2, vcc_lo, v2, v4
	s_delay_alu instid0(VALU_DEP_4) | instskip(SKIP_3) | instid1(VALU_DEP_2)
	v_add_co_ci_u32_e32 v5, vcc_lo, 0, v5, vcc_lo
	v_lshlrev_b32_e32 v10, 2, v9
	v_mbcnt_lo_u32_b32 v13, -1, 0
	s_mul_i32 s15, s6, s6
	v_add_co_u32 v6, vcc_lo, v6, v10
	v_add_co_ci_u32_e32 v19, vcc_lo, 0, v12, vcc_lo
	s_cselect_b32 vcc_lo, -1, 0
	s_abs_i32 s13, s6
	v_xor_b32_e32 v4, 2, v13
	s_delay_alu instid0(VALU_DEP_2)
	v_cndmask_b32_e32 v19, v5, v19, vcc_lo
	v_cvt_f32_u32_e32 v10, s13
	v_xor_b32_e32 v14, 1, v13
	v_xor_b32_e32 v16, 8, v13
	v_cmp_gt_i32_e64 s0, 32, v4
	s_sub_i32 s14, 0, s13
	v_rcp_iflag_f32_e32 v12, v10
	v_xor_b32_e32 v17, 4, v13
	v_dual_mov_b32 v10, 1 :: v_dual_lshlrev_b32 v15, 2, v13
	v_cndmask_b32_e64 v4, v13, v4, s0
	v_cmp_gt_i32_e64 s0, 32, v14
	v_or_b32_e32 v18, v0, v9
	s_ashr_i32 s16, s6, 31
	s_waitcnt_depctr 0xfff
	v_mul_f32_e32 v12, 0x4f7ffffe, v12
	v_cndmask_b32_e64 v22, v13, v14, s0
	v_cmp_gt_i32_e64 s0, 32, v16
	v_lshlrev_b32_e32 v14, 2, v18
	s_delay_alu instid0(VALU_DEP_4) | instskip(SKIP_1) | instid1(VALU_DEP_4)
	v_cvt_u32_f32_e32 v21, v12
	v_or_b32_e32 v12, 12, v15
	v_cndmask_b32_e64 v23, v13, v16, s0
	v_cmp_gt_i32_e64 s0, 32, v17
	v_lshlrev_b32_e32 v16, 2, v22
	v_mul_lo_u32 v20, s14, v21
	s_mul_hi_u32 s14, s6, s6
	s_delay_alu instid0(VALU_DEP_3)
	v_cndmask_b32_e64 v24, v13, v17, s0
	v_or_b32_e32 v13, 60, v15
	v_lshlrev_b32_e32 v15, 2, v4
	v_lshlrev_b32_e32 v17, 2, v23
	v_mov_b32_e32 v23, 0
	v_mul_hi_u32 v25, v21, v20
	v_cndmask_b32_e32 v20, v2, v6, vcc_lo
	v_lshlrev_b32_e32 v18, 2, v24
	s_delay_alu instid0(VALU_DEP_3)
	v_add_nc_u32_e32 v21, v21, v25
	s_branch .LBB37_10
.LBB37_8:                               ;   in Loop: Header=BB37_10 Depth=1
	s_or_b32 exec_lo, exec_lo, s17
	v_mov_b32_e32 v2, 1
.LBB37_9:                               ;   in Loop: Header=BB37_10 Depth=1
	s_or_b32 exec_lo, exec_lo, s0
	ds_bpermute_b32 v4, v17, v22
	v_add_nc_u32_e32 v1, v2, v1
	s_waitcnt lgkmcnt(0)
	s_waitcnt_vscnt null, 0x0
	buffer_gl0_inv
	buffer_gl0_inv
	v_min_i32_e32 v4, v4, v22
	ds_bpermute_b32 v5, v18, v4
	s_waitcnt lgkmcnt(0)
	v_min_i32_e32 v4, v5, v4
	ds_bpermute_b32 v5, v15, v4
	s_waitcnt lgkmcnt(0)
	;; [unrolled: 3-line block ×4, first 2 shown]
	v_cmp_le_i32_e32 vcc_lo, s5, v23
	s_or_b32 s1, vcc_lo, s1
	s_delay_alu instid0(SALU_CYCLE_1)
	s_and_not1_b32 exec_lo, exec_lo, s1
	s_cbranch_execz .LBB37_21
.LBB37_10:                              ; =>This Loop Header: Depth=1
                                        ;     Child Loop BB37_13 Depth 2
	v_dual_mov_b32 v11, v8 :: v_dual_add_nc_u32 v4, v11, v9
	v_mov_b32_e32 v22, s5
	s_mov_b32 s17, exec_lo
	ds_store_b8 v7, v3 offset:1024
	ds_store_b32 v14, v3
	s_waitcnt lgkmcnt(0)
	buffer_gl0_inv
	v_cmpx_lt_i32_e64 v4, v8
	s_cbranch_execz .LBB37_18
; %bb.11:                               ;   in Loop: Header=BB37_10 Depth=1
	v_mul_lo_u32 v2, v23, s6
	v_dual_mov_b32 v22, s5 :: v_dual_mov_b32 v11, v8
	s_mov_b32 s18, 0
	s_branch .LBB37_13
.LBB37_12:                              ;   in Loop: Header=BB37_13 Depth=2
	s_or_b32 exec_lo, exec_lo, s19
	v_add_nc_u32_e32 v4, 4, v4
	s_xor_b32 s19, vcc_lo, -1
	s_delay_alu instid0(VALU_DEP_1) | instskip(NEXT) | instid1(VALU_DEP_1)
	v_cmp_ge_i32_e64 s0, v4, v8
	s_or_b32 s0, s19, s0
	s_delay_alu instid0(SALU_CYCLE_1) | instskip(NEXT) | instid1(SALU_CYCLE_1)
	s_and_b32 s0, exec_lo, s0
	s_or_b32 s18, s0, s18
	s_delay_alu instid0(SALU_CYCLE_1)
	s_and_not1_b32 exec_lo, exec_lo, s18
	s_cbranch_execz .LBB37_17
.LBB37_13:                              ;   Parent Loop BB37_10 Depth=1
                                        ; =>  This Inner Loop Header: Depth=2
	v_ashrrev_i32_e32 v5, 31, v4
	s_delay_alu instid0(VALU_DEP_1) | instskip(NEXT) | instid1(VALU_DEP_1)
	v_lshlrev_b64 v[5:6], 2, v[4:5]
	v_add_co_u32 v24, vcc_lo, s8, v5
	s_delay_alu instid0(VALU_DEP_2) | instskip(SKIP_3) | instid1(VALU_DEP_1)
	v_add_co_ci_u32_e32 v25, vcc_lo, s9, v6, vcc_lo
	global_load_b32 v24, v[24:25], off
	s_waitcnt vmcnt(0)
	v_subrev_nc_u32_e32 v24, s7, v24
	v_sub_nc_u32_e32 v25, 0, v24
	s_delay_alu instid0(VALU_DEP_1) | instskip(NEXT) | instid1(VALU_DEP_1)
	v_max_i32_e32 v25, v24, v25
	v_mul_hi_u32 v26, v25, v21
	s_delay_alu instid0(VALU_DEP_1) | instskip(NEXT) | instid1(VALU_DEP_1)
	v_mul_lo_u32 v27, v26, s13
	v_sub_nc_u32_e32 v25, v25, v27
	v_add_nc_u32_e32 v27, 1, v26
	s_delay_alu instid0(VALU_DEP_2) | instskip(SKIP_1) | instid1(VALU_DEP_2)
	v_subrev_nc_u32_e32 v28, s13, v25
	v_cmp_le_u32_e32 vcc_lo, s13, v25
	v_dual_cndmask_b32 v26, v26, v27 :: v_dual_cndmask_b32 v25, v25, v28
	v_ashrrev_i32_e32 v27, 31, v24
	s_delay_alu instid0(VALU_DEP_2) | instskip(NEXT) | instid1(VALU_DEP_3)
	v_add_nc_u32_e32 v28, 1, v26
	v_cmp_le_u32_e32 vcc_lo, s13, v25
	s_delay_alu instid0(VALU_DEP_3) | instskip(NEXT) | instid1(VALU_DEP_3)
	v_xor_b32_e32 v27, s16, v27
	v_cndmask_b32_e32 v25, v26, v28, vcc_lo
	s_delay_alu instid0(VALU_DEP_1) | instskip(NEXT) | instid1(VALU_DEP_1)
	v_xor_b32_e32 v25, v25, v27
	v_sub_nc_u32_e32 v26, v25, v27
	v_mov_b32_e32 v25, v11
	s_delay_alu instid0(VALU_DEP_2) | instskip(SKIP_1) | instid1(VALU_DEP_1)
	v_cmp_eq_u32_e32 vcc_lo, v26, v23
	v_cmp_ne_u32_e64 s0, v26, v23
	s_and_saveexec_b32 s19, s0
	s_delay_alu instid0(SALU_CYCLE_1)
	s_xor_b32 s0, exec_lo, s19
; %bb.14:                               ;   in Loop: Header=BB37_13 Depth=2
	v_min_i32_e32 v22, v26, v22
                                        ; implicit-def: $vgpr5_vgpr6
                                        ; implicit-def: $vgpr24
                                        ; implicit-def: $vgpr25
; %bb.15:                               ;   in Loop: Header=BB37_13 Depth=2
	s_or_saveexec_b32 s19, s0
	v_mov_b32_e32 v11, v4
	s_xor_b32 exec_lo, exec_lo, s19
	s_cbranch_execz .LBB37_12
; %bb.16:                               ;   in Loop: Header=BB37_13 Depth=2
	v_add_co_u32 v5, s0, s10, v5
	s_delay_alu instid0(VALU_DEP_1) | instskip(SKIP_3) | instid1(VALU_DEP_1)
	v_add_co_ci_u32_e64 v6, s0, s11, v6, s0
	v_mov_b32_e32 v11, v25
	global_load_b32 v5, v[5:6], off
	v_sub_nc_u32_e32 v6, v24, v2
	v_add_lshl_u32 v6, v6, v0, 2
	ds_store_b8 v7, v10 offset:1024
	s_waitcnt vmcnt(0)
	ds_store_b32 v6, v5
	s_branch .LBB37_12
.LBB37_17:                              ;   in Loop: Header=BB37_10 Depth=1
	s_or_b32 exec_lo, exec_lo, s18
.LBB37_18:                              ;   in Loop: Header=BB37_10 Depth=1
	s_delay_alu instid0(SALU_CYCLE_1)
	s_or_b32 exec_lo, exec_lo, s17
	ds_bpermute_b32 v2, v15, v11
	s_waitcnt lgkmcnt(0)
	buffer_gl0_inv
	ds_load_u8 v5, v7 offset:1024
	v_min_i32_e32 v2, v2, v11
	ds_bpermute_b32 v4, v16, v2
	s_waitcnt lgkmcnt(0)
	v_min_i32_e32 v2, v4, v2
	ds_bpermute_b32 v11, v12, v2
	v_and_b32_e32 v2, 1, v5
	s_delay_alu instid0(VALU_DEP_1)
	v_cmp_eq_u32_e32 vcc_lo, 1, v2
	v_mov_b32_e32 v2, 0
	s_and_saveexec_b32 s0, vcc_lo
	s_cbranch_execz .LBB37_9
; %bb.19:                               ;   in Loop: Header=BB37_10 Depth=1
	v_ashrrev_i32_e32 v2, 31, v1
	v_add_nc_u32_e32 v6, s12, v23
	s_delay_alu instid0(VALU_DEP_2) | instskip(NEXT) | instid1(VALU_DEP_1)
	v_lshlrev_b64 v[4:5], 2, v[1:2]
	v_add_co_u32 v4, vcc_lo, s2, v4
	s_delay_alu instid0(VALU_DEP_2)
	v_add_co_ci_u32_e32 v5, vcc_lo, s3, v5, vcc_lo
	global_store_b32 v[4:5], v6, off
	s_and_saveexec_b32 s17, s4
	s_cbranch_execz .LBB37_8
; %bb.20:                               ;   in Loop: Header=BB37_10 Depth=1
	v_mul_lo_u32 v6, s14, v1
	v_mul_lo_u32 v2, s15, v2
	v_mad_u64_u32 v[4:5], null, s15, v1, 0
	ds_load_b32 v23, v14
	v_add3_u32 v5, v5, v2, v6
	s_delay_alu instid0(VALU_DEP_1) | instskip(NEXT) | instid1(VALU_DEP_1)
	v_lshlrev_b64 v[4:5], 2, v[4:5]
	v_add_co_u32 v4, vcc_lo, v20, v4
	s_delay_alu instid0(VALU_DEP_2)
	v_add_co_ci_u32_e32 v5, vcc_lo, v19, v5, vcc_lo
	s_waitcnt lgkmcnt(0)
	global_store_b32 v[4:5], v23, off
	s_branch .LBB37_8
.LBB37_21:
	s_endpgm
	.section	.rodata,"a",@progbits
	.p2align	6, 0x0
	.amdhsa_kernel _ZN9rocsparseL42csr2bsr_wavefront_per_row_multipass_kernelILj256ELj16ELj4EfiiEEv20rocsparse_direction_T4_S2_S2_S2_S2_21rocsparse_index_base_PKT2_PKT3_PKS2_S3_PS4_PS7_PS2_
		.amdhsa_group_segment_fixed_size 1040
		.amdhsa_private_segment_fixed_size 0
		.amdhsa_kernarg_size 88
		.amdhsa_user_sgpr_count 15
		.amdhsa_user_sgpr_dispatch_ptr 0
		.amdhsa_user_sgpr_queue_ptr 0
		.amdhsa_user_sgpr_kernarg_segment_ptr 1
		.amdhsa_user_sgpr_dispatch_id 0
		.amdhsa_user_sgpr_private_segment_size 0
		.amdhsa_wavefront_size32 1
		.amdhsa_uses_dynamic_stack 0
		.amdhsa_enable_private_segment 0
		.amdhsa_system_sgpr_workgroup_id_x 1
		.amdhsa_system_sgpr_workgroup_id_y 0
		.amdhsa_system_sgpr_workgroup_id_z 0
		.amdhsa_system_sgpr_workgroup_info 0
		.amdhsa_system_vgpr_workitem_id 0
		.amdhsa_next_free_vgpr 29
		.amdhsa_next_free_sgpr 20
		.amdhsa_reserve_vcc 1
		.amdhsa_float_round_mode_32 0
		.amdhsa_float_round_mode_16_64 0
		.amdhsa_float_denorm_mode_32 3
		.amdhsa_float_denorm_mode_16_64 3
		.amdhsa_dx10_clamp 1
		.amdhsa_ieee_mode 1
		.amdhsa_fp16_overflow 0
		.amdhsa_workgroup_processor_mode 1
		.amdhsa_memory_ordered 1
		.amdhsa_forward_progress 0
		.amdhsa_shared_vgpr_count 0
		.amdhsa_exception_fp_ieee_invalid_op 0
		.amdhsa_exception_fp_denorm_src 0
		.amdhsa_exception_fp_ieee_div_zero 0
		.amdhsa_exception_fp_ieee_overflow 0
		.amdhsa_exception_fp_ieee_underflow 0
		.amdhsa_exception_fp_ieee_inexact 0
		.amdhsa_exception_int_div_zero 0
	.end_amdhsa_kernel
	.section	.text._ZN9rocsparseL42csr2bsr_wavefront_per_row_multipass_kernelILj256ELj16ELj4EfiiEEv20rocsparse_direction_T4_S2_S2_S2_S2_21rocsparse_index_base_PKT2_PKT3_PKS2_S3_PS4_PS7_PS2_,"axG",@progbits,_ZN9rocsparseL42csr2bsr_wavefront_per_row_multipass_kernelILj256ELj16ELj4EfiiEEv20rocsparse_direction_T4_S2_S2_S2_S2_21rocsparse_index_base_PKT2_PKT3_PKS2_S3_PS4_PS7_PS2_,comdat
.Lfunc_end37:
	.size	_ZN9rocsparseL42csr2bsr_wavefront_per_row_multipass_kernelILj256ELj16ELj4EfiiEEv20rocsparse_direction_T4_S2_S2_S2_S2_21rocsparse_index_base_PKT2_PKT3_PKS2_S3_PS4_PS7_PS2_, .Lfunc_end37-_ZN9rocsparseL42csr2bsr_wavefront_per_row_multipass_kernelILj256ELj16ELj4EfiiEEv20rocsparse_direction_T4_S2_S2_S2_S2_21rocsparse_index_base_PKT2_PKT3_PKS2_S3_PS4_PS7_PS2_
                                        ; -- End function
	.section	.AMDGPU.csdata,"",@progbits
; Kernel info:
; codeLenInByte = 1504
; NumSgprs: 22
; NumVgprs: 29
; ScratchSize: 0
; MemoryBound: 0
; FloatMode: 240
; IeeeMode: 1
; LDSByteSize: 1040 bytes/workgroup (compile time only)
; SGPRBlocks: 2
; VGPRBlocks: 3
; NumSGPRsForWavesPerEU: 22
; NumVGPRsForWavesPerEU: 29
; Occupancy: 16
; WaveLimiterHint : 0
; COMPUTE_PGM_RSRC2:SCRATCH_EN: 0
; COMPUTE_PGM_RSRC2:USER_SGPR: 15
; COMPUTE_PGM_RSRC2:TRAP_HANDLER: 0
; COMPUTE_PGM_RSRC2:TGID_X_EN: 1
; COMPUTE_PGM_RSRC2:TGID_Y_EN: 0
; COMPUTE_PGM_RSRC2:TGID_Z_EN: 0
; COMPUTE_PGM_RSRC2:TIDIG_COMP_CNT: 0
	.section	.text._ZN9rocsparseL42csr2bsr_wavefront_per_row_multipass_kernelILj256ELj64ELj8EfiiEEv20rocsparse_direction_T4_S2_S2_S2_S2_21rocsparse_index_base_PKT2_PKT3_PKS2_S3_PS4_PS7_PS2_,"axG",@progbits,_ZN9rocsparseL42csr2bsr_wavefront_per_row_multipass_kernelILj256ELj64ELj8EfiiEEv20rocsparse_direction_T4_S2_S2_S2_S2_21rocsparse_index_base_PKT2_PKT3_PKS2_S3_PS4_PS7_PS2_,comdat
	.globl	_ZN9rocsparseL42csr2bsr_wavefront_per_row_multipass_kernelILj256ELj64ELj8EfiiEEv20rocsparse_direction_T4_S2_S2_S2_S2_21rocsparse_index_base_PKT2_PKT3_PKS2_S3_PS4_PS7_PS2_ ; -- Begin function _ZN9rocsparseL42csr2bsr_wavefront_per_row_multipass_kernelILj256ELj64ELj8EfiiEEv20rocsparse_direction_T4_S2_S2_S2_S2_21rocsparse_index_base_PKT2_PKT3_PKS2_S3_PS4_PS7_PS2_
	.p2align	8
	.type	_ZN9rocsparseL42csr2bsr_wavefront_per_row_multipass_kernelILj256ELj64ELj8EfiiEEv20rocsparse_direction_T4_S2_S2_S2_S2_21rocsparse_index_base_PKT2_PKT3_PKS2_S3_PS4_PS7_PS2_,@function
_ZN9rocsparseL42csr2bsr_wavefront_per_row_multipass_kernelILj256ELj64ELj8EfiiEEv20rocsparse_direction_T4_S2_S2_S2_S2_21rocsparse_index_base_PKT2_PKT3_PKS2_S3_PS4_PS7_PS2_: ; @_ZN9rocsparseL42csr2bsr_wavefront_per_row_multipass_kernelILj256ELj64ELj8EfiiEEv20rocsparse_direction_T4_S2_S2_S2_S2_21rocsparse_index_base_PKT2_PKT3_PKS2_S3_PS4_PS7_PS2_
; %bb.0:
	s_clause 0x1
	s_load_b128 s[4:7], s[0:1], 0xc
	s_load_b64 s[10:11], s[0:1], 0x0
	v_lshrrev_b32_e32 v7, 6, v0
	v_bfe_u32 v4, v0, 3, 3
	s_load_b64 s[8:9], s[0:1], 0x28
	v_mov_b32_e32 v8, 0
	v_mov_b32_e32 v10, 0
	v_lshl_or_b32 v2, s15, 2, v7
	s_waitcnt lgkmcnt(0)
	s_delay_alu instid0(VALU_DEP_1) | instskip(SKIP_1) | instid1(VALU_DEP_2)
	v_mad_u64_u32 v[5:6], null, v2, s6, v[4:5]
	v_cmp_gt_i32_e32 vcc_lo, s6, v4
	v_cmp_gt_i32_e64 s2, s11, v5
	s_delay_alu instid0(VALU_DEP_1) | instskip(NEXT) | instid1(SALU_CYCLE_1)
	s_and_b32 s3, vcc_lo, s2
	s_and_saveexec_b32 s11, s3
	s_cbranch_execz .LBB38_2
; %bb.1:
	v_ashrrev_i32_e32 v6, 31, v5
	s_delay_alu instid0(VALU_DEP_1) | instskip(NEXT) | instid1(VALU_DEP_1)
	v_lshlrev_b64 v[9:10], 2, v[5:6]
	v_add_co_u32 v9, s2, s8, v9
	s_delay_alu instid0(VALU_DEP_1)
	v_add_co_ci_u32_e64 v10, s2, s9, v10, s2
	global_load_b32 v1, v[9:10], off
	s_waitcnt vmcnt(0)
	v_subrev_nc_u32_e32 v10, s7, v1
.LBB38_2:
	s_or_b32 exec_lo, exec_lo, s11
	s_and_saveexec_b32 s11, s3
	s_cbranch_execz .LBB38_4
; %bb.3:
	v_ashrrev_i32_e32 v6, 31, v5
	s_delay_alu instid0(VALU_DEP_1) | instskip(NEXT) | instid1(VALU_DEP_1)
	v_lshlrev_b64 v[5:6], 2, v[5:6]
	v_add_co_u32 v5, s2, s8, v5
	s_delay_alu instid0(VALU_DEP_1)
	v_add_co_ci_u32_e64 v6, s2, s9, v6, s2
	global_load_b32 v1, v[5:6], off offset:4
	s_waitcnt vmcnt(0)
	v_subrev_nc_u32_e32 v8, s7, v1
.LBB38_4:
	s_or_b32 exec_lo, exec_lo, s11
	s_load_b32 s12, s[0:1], 0x38
	v_mov_b32_e32 v1, 0
	s_mov_b32 s3, exec_lo
	v_cmpx_gt_i32_e64 s4, v2
	s_cbranch_execz .LBB38_6
; %bb.5:
	s_load_b64 s[8:9], s[0:1], 0x48
	v_ashrrev_i32_e32 v3, 31, v2
	s_delay_alu instid0(VALU_DEP_1) | instskip(SKIP_1) | instid1(VALU_DEP_1)
	v_lshlrev_b64 v[1:2], 2, v[2:3]
	s_waitcnt lgkmcnt(0)
	v_add_co_u32 v1, s2, s8, v1
	s_delay_alu instid0(VALU_DEP_1)
	v_add_co_ci_u32_e64 v2, s2, s9, v2, s2
	global_load_b32 v1, v[1:2], off
	s_waitcnt vmcnt(0)
	v_subrev_nc_u32_e32 v1, s12, v1
.LBB38_6:
	s_or_b32 exec_lo, exec_lo, s3
	s_cmp_lt_i32 s5, 1
	s_cbranch_scc1 .LBB38_21
; %bb.7:
	v_and_b32_e32 v9, 7, v0
	s_load_b64 s[14:15], s[0:1], 0x40
	v_mov_b32_e32 v3, 0
	v_lshlrev_b32_e32 v13, 2, v4
	s_delay_alu instid0(VALU_DEP_3) | instskip(SKIP_2) | instid1(VALU_DEP_1)
	v_dual_mov_b32 v25, 0 :: v_dual_lshlrev_b32 v14, 2, v9
	v_mul_lo_u32 v2, v9, s6
	v_cmp_gt_u32_e64 s2, s6, v9
	s_and_b32 s4, vcc_lo, s2
	s_load_b64 s[2:3], s[0:1], 0x50
	s_delay_alu instid0(VALU_DEP_2)
	v_lshlrev_b64 v[5:6], 2, v[2:3]
	v_mul_lo_u32 v2, v4, s6
	s_load_b64 s[8:9], s[0:1], 0x30
	s_cmp_eq_u32 s10, 0
	s_load_b64 s[10:11], s[0:1], 0x20
	s_mov_b32 s1, 0
	s_delay_alu instid0(VALU_DEP_1) | instskip(SKIP_3) | instid1(VALU_DEP_3)
	v_lshlrev_b64 v[11:12], 2, v[2:3]
	s_waitcnt lgkmcnt(0)
	v_add_co_u32 v2, vcc_lo, s14, v5
	v_add_co_ci_u32_e32 v5, vcc_lo, s15, v6, vcc_lo
	v_add_co_u32 v6, vcc_lo, s14, v11
	s_delay_alu instid0(VALU_DEP_4) | instskip(NEXT) | instid1(VALU_DEP_4)
	v_add_co_ci_u32_e32 v11, vcc_lo, s15, v12, vcc_lo
	v_add_co_u32 v2, vcc_lo, v2, v13
	s_delay_alu instid0(VALU_DEP_4) | instskip(NEXT) | instid1(VALU_DEP_4)
	v_add_co_ci_u32_e32 v5, vcc_lo, 0, v5, vcc_lo
	v_add_co_u32 v6, vcc_lo, v6, v14
	s_delay_alu instid0(VALU_DEP_4)
	v_add_co_ci_u32_e32 v21, vcc_lo, 0, v11, vcc_lo
	s_cselect_b32 vcc_lo, -1, 0
	s_abs_i32 s13, s6
	v_and_b32_e32 v12, 0xc0, v0
	v_cvt_f32_u32_e32 v11, s13
	v_mbcnt_lo_u32_b32 v14, -1, 0
	s_sub_i32 s14, 0, s13
	v_bfrev_b32_e32 v0, 0.5
	v_cndmask_b32_e32 v21, v5, v21, vcc_lo
	v_rcp_iflag_f32_e32 v15, v11
	v_mov_b32_e32 v11, 1
	v_lshl_or_b32 v12, v4, 3, v12
	v_xor_b32_e32 v4, 4, v14
	v_xor_b32_e32 v16, 2, v14
	;; [unrolled: 1-line block ×3, first 2 shown]
	v_or_b32_e32 v18, 32, v14
	v_xor_b32_e32 v19, 16, v14
	v_cmp_gt_i32_e64 s0, 32, v4
	v_xor_b32_e32 v20, 8, v14
	v_or_b32_e32 v22, v12, v9
	v_mul_f32_e32 v15, 0x4f7ffffe, v15
	v_lshl_or_b32 v13, v14, 2, 28
	v_cndmask_b32_e64 v4, v14, v4, s0
	v_cmp_gt_i32_e64 s0, 32, v16
	s_mul_i32 s15, s6, s6
	s_ashr_i32 s16, s6, 31
	s_delay_alu instid0(VALU_DEP_1) | instskip(SKIP_1) | instid1(VALU_DEP_2)
	v_cndmask_b32_e64 v16, v14, v16, s0
	v_cmp_gt_i32_e64 s0, 32, v17
	v_lshlrev_b32_e32 v16, 2, v16
	s_delay_alu instid0(VALU_DEP_2) | instskip(SKIP_1) | instid1(VALU_DEP_2)
	v_cndmask_b32_e64 v17, v14, v17, s0
	v_cmp_gt_i32_e64 s0, 32, v18
	v_lshlrev_b32_e32 v17, 2, v17
	s_delay_alu instid0(VALU_DEP_2) | instskip(SKIP_1) | instid1(VALU_DEP_2)
	;; [unrolled: 4-line block ×3, first 2 shown]
	v_cndmask_b32_e64 v19, v14, v19, s0
	v_cmp_gt_i32_e64 s0, 32, v20
	v_lshlrev_b32_e32 v19, 2, v19
	s_delay_alu instid0(VALU_DEP_2) | instskip(SKIP_3) | instid1(VALU_DEP_4)
	v_cndmask_b32_e64 v20, v14, v20, s0
	v_lshlrev_b32_e32 v14, 2, v22
	v_cvt_u32_f32_e32 v23, v15
	v_dual_cndmask_b32 v22, v2, v6 :: v_dual_lshlrev_b32 v15, 2, v4
	v_lshlrev_b32_e32 v20, 2, v20
	s_delay_alu instid0(VALU_DEP_3) | instskip(SKIP_1) | instid1(VALU_DEP_1)
	v_mul_lo_u32 v24, s14, v23
	s_mul_hi_u32 s14, s6, s6
	v_mul_hi_u32 v4, v23, v24
	s_delay_alu instid0(VALU_DEP_1)
	v_add_nc_u32_e32 v23, v23, v4
	s_branch .LBB38_10
.LBB38_8:                               ;   in Loop: Header=BB38_10 Depth=1
	s_or_b32 exec_lo, exec_lo, s17
	v_mov_b32_e32 v2, 1
.LBB38_9:                               ;   in Loop: Header=BB38_10 Depth=1
	s_or_b32 exec_lo, exec_lo, s0
	ds_bpermute_b32 v4, v18, v24
	v_add_nc_u32_e32 v1, v2, v1
	s_waitcnt lgkmcnt(0)
	s_waitcnt_vscnt null, 0x0
	buffer_gl0_inv
	buffer_gl0_inv
	v_min_i32_e32 v4, v4, v24
	ds_bpermute_b32 v5, v19, v4
	s_waitcnt lgkmcnt(0)
	v_min_i32_e32 v4, v5, v4
	ds_bpermute_b32 v5, v20, v4
	s_waitcnt lgkmcnt(0)
	;; [unrolled: 3-line block ×6, first 2 shown]
	v_cmp_le_i32_e32 vcc_lo, s5, v25
	s_or_b32 s1, vcc_lo, s1
	s_delay_alu instid0(SALU_CYCLE_1)
	s_and_not1_b32 exec_lo, exec_lo, s1
	s_cbranch_execz .LBB38_21
.LBB38_10:                              ; =>This Loop Header: Depth=1
                                        ;     Child Loop BB38_13 Depth 2
	v_add_nc_u32_e32 v4, v10, v9
	v_mov_b32_e32 v24, s5
	v_mov_b32_e32 v10, v8
	s_mov_b32 s17, exec_lo
	ds_store_b8 v7, v3 offset:1024
	ds_store_b32 v14, v3
	s_waitcnt lgkmcnt(0)
	buffer_gl0_inv
	v_cmpx_lt_i32_e64 v4, v8
	s_cbranch_execz .LBB38_18
; %bb.11:                               ;   in Loop: Header=BB38_10 Depth=1
	v_mul_lo_u32 v2, v25, s6
	v_mov_b32_e32 v24, s5
	v_mov_b32_e32 v10, v8
	s_mov_b32 s18, 0
	s_branch .LBB38_13
.LBB38_12:                              ;   in Loop: Header=BB38_13 Depth=2
	s_or_b32 exec_lo, exec_lo, s19
	v_add_nc_u32_e32 v4, 8, v4
	s_xor_b32 s19, vcc_lo, -1
	s_delay_alu instid0(VALU_DEP_1) | instskip(NEXT) | instid1(VALU_DEP_1)
	v_cmp_ge_i32_e64 s0, v4, v8
	s_or_b32 s0, s19, s0
	s_delay_alu instid0(SALU_CYCLE_1) | instskip(NEXT) | instid1(SALU_CYCLE_1)
	s_and_b32 s0, exec_lo, s0
	s_or_b32 s18, s0, s18
	s_delay_alu instid0(SALU_CYCLE_1)
	s_and_not1_b32 exec_lo, exec_lo, s18
	s_cbranch_execz .LBB38_17
.LBB38_13:                              ;   Parent Loop BB38_10 Depth=1
                                        ; =>  This Inner Loop Header: Depth=2
	v_ashrrev_i32_e32 v5, 31, v4
	s_delay_alu instid0(VALU_DEP_1) | instskip(NEXT) | instid1(VALU_DEP_1)
	v_lshlrev_b64 v[5:6], 2, v[4:5]
	v_add_co_u32 v26, vcc_lo, s8, v5
	s_delay_alu instid0(VALU_DEP_2) | instskip(SKIP_3) | instid1(VALU_DEP_1)
	v_add_co_ci_u32_e32 v27, vcc_lo, s9, v6, vcc_lo
	global_load_b32 v26, v[26:27], off
	s_waitcnt vmcnt(0)
	v_subrev_nc_u32_e32 v26, s7, v26
	v_sub_nc_u32_e32 v27, 0, v26
	s_delay_alu instid0(VALU_DEP_1) | instskip(NEXT) | instid1(VALU_DEP_1)
	v_max_i32_e32 v27, v26, v27
	v_mul_hi_u32 v28, v27, v23
	s_delay_alu instid0(VALU_DEP_1) | instskip(NEXT) | instid1(VALU_DEP_1)
	v_mul_lo_u32 v29, v28, s13
	v_sub_nc_u32_e32 v27, v27, v29
	v_add_nc_u32_e32 v29, 1, v28
	s_delay_alu instid0(VALU_DEP_2) | instskip(SKIP_1) | instid1(VALU_DEP_2)
	v_subrev_nc_u32_e32 v30, s13, v27
	v_cmp_le_u32_e32 vcc_lo, s13, v27
	v_dual_cndmask_b32 v28, v28, v29 :: v_dual_cndmask_b32 v27, v27, v30
	v_ashrrev_i32_e32 v29, 31, v26
	s_delay_alu instid0(VALU_DEP_2) | instskip(NEXT) | instid1(VALU_DEP_3)
	v_add_nc_u32_e32 v30, 1, v28
	v_cmp_le_u32_e32 vcc_lo, s13, v27
	s_delay_alu instid0(VALU_DEP_3) | instskip(NEXT) | instid1(VALU_DEP_3)
	v_xor_b32_e32 v29, s16, v29
	v_cndmask_b32_e32 v27, v28, v30, vcc_lo
	s_delay_alu instid0(VALU_DEP_1) | instskip(NEXT) | instid1(VALU_DEP_1)
	v_xor_b32_e32 v27, v27, v29
	v_sub_nc_u32_e32 v28, v27, v29
	v_mov_b32_e32 v27, v10
	s_delay_alu instid0(VALU_DEP_2) | instskip(SKIP_1) | instid1(VALU_DEP_1)
	v_cmp_eq_u32_e32 vcc_lo, v28, v25
	v_cmp_ne_u32_e64 s0, v28, v25
	s_and_saveexec_b32 s19, s0
	s_delay_alu instid0(SALU_CYCLE_1)
	s_xor_b32 s0, exec_lo, s19
; %bb.14:                               ;   in Loop: Header=BB38_13 Depth=2
	v_min_i32_e32 v24, v28, v24
                                        ; implicit-def: $vgpr5_vgpr6
                                        ; implicit-def: $vgpr26
                                        ; implicit-def: $vgpr27
; %bb.15:                               ;   in Loop: Header=BB38_13 Depth=2
	s_or_saveexec_b32 s19, s0
	v_mov_b32_e32 v10, v4
	s_xor_b32 exec_lo, exec_lo, s19
	s_cbranch_execz .LBB38_12
; %bb.16:                               ;   in Loop: Header=BB38_13 Depth=2
	v_add_co_u32 v5, s0, s10, v5
	s_delay_alu instid0(VALU_DEP_1) | instskip(SKIP_3) | instid1(VALU_DEP_1)
	v_add_co_ci_u32_e64 v6, s0, s11, v6, s0
	v_mov_b32_e32 v10, v27
	global_load_b32 v5, v[5:6], off
	v_sub_nc_u32_e32 v6, v26, v2
	v_add_lshl_u32 v6, v6, v12, 2
	ds_store_b8 v7, v11 offset:1024
	s_waitcnt vmcnt(0)
	ds_store_b32 v6, v5
	s_branch .LBB38_12
.LBB38_17:                              ;   in Loop: Header=BB38_10 Depth=1
	s_or_b32 exec_lo, exec_lo, s18
.LBB38_18:                              ;   in Loop: Header=BB38_10 Depth=1
	s_delay_alu instid0(SALU_CYCLE_1)
	s_or_b32 exec_lo, exec_lo, s17
	ds_bpermute_b32 v2, v15, v10
	s_waitcnt lgkmcnt(0)
	buffer_gl0_inv
	ds_load_u8 v5, v7 offset:1024
	v_min_i32_e32 v2, v2, v10
	ds_bpermute_b32 v4, v16, v2
	s_waitcnt lgkmcnt(0)
	v_min_i32_e32 v2, v4, v2
	ds_bpermute_b32 v4, v17, v2
	s_waitcnt lgkmcnt(0)
	v_min_i32_e32 v2, v4, v2
	ds_bpermute_b32 v10, v13, v2
	v_and_b32_e32 v2, 1, v5
	s_delay_alu instid0(VALU_DEP_1)
	v_cmp_eq_u32_e32 vcc_lo, 1, v2
	v_mov_b32_e32 v2, 0
	s_and_saveexec_b32 s0, vcc_lo
	s_cbranch_execz .LBB38_9
; %bb.19:                               ;   in Loop: Header=BB38_10 Depth=1
	v_ashrrev_i32_e32 v2, 31, v1
	v_add_nc_u32_e32 v6, s12, v25
	s_delay_alu instid0(VALU_DEP_2) | instskip(NEXT) | instid1(VALU_DEP_1)
	v_lshlrev_b64 v[4:5], 2, v[1:2]
	v_add_co_u32 v4, vcc_lo, s2, v4
	s_delay_alu instid0(VALU_DEP_2)
	v_add_co_ci_u32_e32 v5, vcc_lo, s3, v5, vcc_lo
	global_store_b32 v[4:5], v6, off
	s_and_saveexec_b32 s17, s4
	s_cbranch_execz .LBB38_8
; %bb.20:                               ;   in Loop: Header=BB38_10 Depth=1
	v_mul_lo_u32 v6, s14, v1
	v_mul_lo_u32 v2, s15, v2
	v_mad_u64_u32 v[4:5], null, s15, v1, 0
	ds_load_b32 v25, v14
	v_add3_u32 v5, v5, v2, v6
	s_delay_alu instid0(VALU_DEP_1) | instskip(NEXT) | instid1(VALU_DEP_1)
	v_lshlrev_b64 v[4:5], 2, v[4:5]
	v_add_co_u32 v4, vcc_lo, v22, v4
	s_delay_alu instid0(VALU_DEP_2)
	v_add_co_ci_u32_e32 v5, vcc_lo, v21, v5, vcc_lo
	s_waitcnt lgkmcnt(0)
	global_store_b32 v[4:5], v25, off
	s_branch .LBB38_8
.LBB38_21:
	s_endpgm
	.section	.rodata,"a",@progbits
	.p2align	6, 0x0
	.amdhsa_kernel _ZN9rocsparseL42csr2bsr_wavefront_per_row_multipass_kernelILj256ELj64ELj8EfiiEEv20rocsparse_direction_T4_S2_S2_S2_S2_21rocsparse_index_base_PKT2_PKT3_PKS2_S3_PS4_PS7_PS2_
		.amdhsa_group_segment_fixed_size 1028
		.amdhsa_private_segment_fixed_size 0
		.amdhsa_kernarg_size 88
		.amdhsa_user_sgpr_count 15
		.amdhsa_user_sgpr_dispatch_ptr 0
		.amdhsa_user_sgpr_queue_ptr 0
		.amdhsa_user_sgpr_kernarg_segment_ptr 1
		.amdhsa_user_sgpr_dispatch_id 0
		.amdhsa_user_sgpr_private_segment_size 0
		.amdhsa_wavefront_size32 1
		.amdhsa_uses_dynamic_stack 0
		.amdhsa_enable_private_segment 0
		.amdhsa_system_sgpr_workgroup_id_x 1
		.amdhsa_system_sgpr_workgroup_id_y 0
		.amdhsa_system_sgpr_workgroup_id_z 0
		.amdhsa_system_sgpr_workgroup_info 0
		.amdhsa_system_vgpr_workitem_id 0
		.amdhsa_next_free_vgpr 31
		.amdhsa_next_free_sgpr 20
		.amdhsa_reserve_vcc 1
		.amdhsa_float_round_mode_32 0
		.amdhsa_float_round_mode_16_64 0
		.amdhsa_float_denorm_mode_32 3
		.amdhsa_float_denorm_mode_16_64 3
		.amdhsa_dx10_clamp 1
		.amdhsa_ieee_mode 1
		.amdhsa_fp16_overflow 0
		.amdhsa_workgroup_processor_mode 1
		.amdhsa_memory_ordered 1
		.amdhsa_forward_progress 0
		.amdhsa_shared_vgpr_count 0
		.amdhsa_exception_fp_ieee_invalid_op 0
		.amdhsa_exception_fp_denorm_src 0
		.amdhsa_exception_fp_ieee_div_zero 0
		.amdhsa_exception_fp_ieee_overflow 0
		.amdhsa_exception_fp_ieee_underflow 0
		.amdhsa_exception_fp_ieee_inexact 0
		.amdhsa_exception_int_div_zero 0
	.end_amdhsa_kernel
	.section	.text._ZN9rocsparseL42csr2bsr_wavefront_per_row_multipass_kernelILj256ELj64ELj8EfiiEEv20rocsparse_direction_T4_S2_S2_S2_S2_21rocsparse_index_base_PKT2_PKT3_PKS2_S3_PS4_PS7_PS2_,"axG",@progbits,_ZN9rocsparseL42csr2bsr_wavefront_per_row_multipass_kernelILj256ELj64ELj8EfiiEEv20rocsparse_direction_T4_S2_S2_S2_S2_21rocsparse_index_base_PKT2_PKT3_PKS2_S3_PS4_PS7_PS2_,comdat
.Lfunc_end38:
	.size	_ZN9rocsparseL42csr2bsr_wavefront_per_row_multipass_kernelILj256ELj64ELj8EfiiEEv20rocsparse_direction_T4_S2_S2_S2_S2_21rocsparse_index_base_PKT2_PKT3_PKS2_S3_PS4_PS7_PS2_, .Lfunc_end38-_ZN9rocsparseL42csr2bsr_wavefront_per_row_multipass_kernelILj256ELj64ELj8EfiiEEv20rocsparse_direction_T4_S2_S2_S2_S2_21rocsparse_index_base_PKT2_PKT3_PKS2_S3_PS4_PS7_PS2_
                                        ; -- End function
	.section	.AMDGPU.csdata,"",@progbits
; Kernel info:
; codeLenInByte = 1612
; NumSgprs: 22
; NumVgprs: 31
; ScratchSize: 0
; MemoryBound: 0
; FloatMode: 240
; IeeeMode: 1
; LDSByteSize: 1028 bytes/workgroup (compile time only)
; SGPRBlocks: 2
; VGPRBlocks: 3
; NumSGPRsForWavesPerEU: 22
; NumVGPRsForWavesPerEU: 31
; Occupancy: 16
; WaveLimiterHint : 0
; COMPUTE_PGM_RSRC2:SCRATCH_EN: 0
; COMPUTE_PGM_RSRC2:USER_SGPR: 15
; COMPUTE_PGM_RSRC2:TRAP_HANDLER: 0
; COMPUTE_PGM_RSRC2:TGID_X_EN: 1
; COMPUTE_PGM_RSRC2:TGID_Y_EN: 0
; COMPUTE_PGM_RSRC2:TGID_Z_EN: 0
; COMPUTE_PGM_RSRC2:TIDIG_COMP_CNT: 0
	.section	.text._ZN9rocsparseL42csr2bsr_wavefront_per_row_multipass_kernelILj256ELj32ELj8EfiiEEv20rocsparse_direction_T4_S2_S2_S2_S2_21rocsparse_index_base_PKT2_PKT3_PKS2_S3_PS4_PS7_PS2_,"axG",@progbits,_ZN9rocsparseL42csr2bsr_wavefront_per_row_multipass_kernelILj256ELj32ELj8EfiiEEv20rocsparse_direction_T4_S2_S2_S2_S2_21rocsparse_index_base_PKT2_PKT3_PKS2_S3_PS4_PS7_PS2_,comdat
	.globl	_ZN9rocsparseL42csr2bsr_wavefront_per_row_multipass_kernelILj256ELj32ELj8EfiiEEv20rocsparse_direction_T4_S2_S2_S2_S2_21rocsparse_index_base_PKT2_PKT3_PKS2_S3_PS4_PS7_PS2_ ; -- Begin function _ZN9rocsparseL42csr2bsr_wavefront_per_row_multipass_kernelILj256ELj32ELj8EfiiEEv20rocsparse_direction_T4_S2_S2_S2_S2_21rocsparse_index_base_PKT2_PKT3_PKS2_S3_PS4_PS7_PS2_
	.p2align	8
	.type	_ZN9rocsparseL42csr2bsr_wavefront_per_row_multipass_kernelILj256ELj32ELj8EfiiEEv20rocsparse_direction_T4_S2_S2_S2_S2_21rocsparse_index_base_PKT2_PKT3_PKS2_S3_PS4_PS7_PS2_,@function
_ZN9rocsparseL42csr2bsr_wavefront_per_row_multipass_kernelILj256ELj32ELj8EfiiEEv20rocsparse_direction_T4_S2_S2_S2_S2_21rocsparse_index_base_PKT2_PKT3_PKS2_S3_PS4_PS7_PS2_: ; @_ZN9rocsparseL42csr2bsr_wavefront_per_row_multipass_kernelILj256ELj32ELj8EfiiEEv20rocsparse_direction_T4_S2_S2_S2_S2_21rocsparse_index_base_PKT2_PKT3_PKS2_S3_PS4_PS7_PS2_
; %bb.0:
	s_clause 0x1
	s_load_b128 s[4:7], s[0:1], 0xc
	s_load_b64 s[12:13], s[0:1], 0x0
	v_lshrrev_b32_e32 v11, 5, v0
	v_bfe_u32 v4, v0, 2, 3
	s_load_b64 s[8:9], s[0:1], 0x28
	v_mov_b32_e32 v12, 0
	v_mov_b32_e32 v8, 0
	v_lshl_or_b32 v2, s15, 3, v11
	s_waitcnt lgkmcnt(0)
	s_delay_alu instid0(VALU_DEP_1) | instskip(SKIP_1) | instid1(VALU_DEP_2)
	v_mad_u64_u32 v[5:6], null, v2, s6, v[4:5]
	v_cmp_gt_i32_e32 vcc_lo, s6, v4
	v_cmp_gt_i32_e64 s2, s13, v5
	s_delay_alu instid0(VALU_DEP_1) | instskip(NEXT) | instid1(SALU_CYCLE_1)
	s_and_b32 s3, vcc_lo, s2
	s_and_saveexec_b32 s10, s3
	s_cbranch_execz .LBB39_2
; %bb.1:
	v_ashrrev_i32_e32 v6, 31, v5
	s_delay_alu instid0(VALU_DEP_1) | instskip(NEXT) | instid1(VALU_DEP_1)
	v_lshlrev_b64 v[6:7], 2, v[5:6]
	v_add_co_u32 v6, s2, s8, v6
	s_delay_alu instid0(VALU_DEP_1)
	v_add_co_ci_u32_e64 v7, s2, s9, v7, s2
	global_load_b32 v1, v[6:7], off
	s_waitcnt vmcnt(0)
	v_subrev_nc_u32_e32 v8, s7, v1
.LBB39_2:
	s_or_b32 exec_lo, exec_lo, s10
	s_and_saveexec_b32 s10, s3
	s_cbranch_execz .LBB39_4
; %bb.3:
	v_ashrrev_i32_e32 v6, 31, v5
	s_delay_alu instid0(VALU_DEP_1) | instskip(NEXT) | instid1(VALU_DEP_1)
	v_lshlrev_b64 v[5:6], 2, v[5:6]
	v_add_co_u32 v5, s2, s8, v5
	s_delay_alu instid0(VALU_DEP_1)
	v_add_co_ci_u32_e64 v6, s2, s9, v6, s2
	global_load_b32 v1, v[5:6], off offset:4
	s_waitcnt vmcnt(0)
	v_subrev_nc_u32_e32 v12, s7, v1
.LBB39_4:
	s_or_b32 exec_lo, exec_lo, s10
	s_load_b32 s13, s[0:1], 0x38
	v_mov_b32_e32 v1, 0
	s_mov_b32 s3, exec_lo
	v_cmpx_gt_i32_e64 s4, v2
	s_cbranch_execz .LBB39_6
; %bb.5:
	s_load_b64 s[8:9], s[0:1], 0x48
	v_ashrrev_i32_e32 v3, 31, v2
	s_delay_alu instid0(VALU_DEP_1) | instskip(SKIP_1) | instid1(VALU_DEP_1)
	v_lshlrev_b64 v[1:2], 2, v[2:3]
	s_waitcnt lgkmcnt(0)
	v_add_co_u32 v1, s2, s8, v1
	s_delay_alu instid0(VALU_DEP_1)
	v_add_co_ci_u32_e64 v2, s2, s9, v2, s2
	global_load_b32 v1, v[1:2], off
	s_waitcnt vmcnt(0)
	v_subrev_nc_u32_e32 v1, s13, v1
.LBB39_6:
	s_or_b32 exec_lo, exec_lo, s3
	s_cmp_lt_i32 s5, 1
	s_cbranch_scc1 .LBB39_30
; %bb.7:
	v_mbcnt_lo_u32_b32 v6, -1, 0
	s_clause 0x3
	s_load_b64 s[2:3], s[0:1], 0x20
	s_load_b64 s[8:9], s[0:1], 0x50
	;; [unrolled: 1-line block ×4, first 2 shown]
	v_lshlrev_b32_e32 v2, 6, v11
	s_cmp_lg_u32 s12, 0
	v_xor_b32_e32 v3, 2, v6
	s_cselect_b32 s12, -1, 0
	s_abs_i32 s14, s6
	v_dual_mov_b32 v30, 0 :: v_dual_lshlrev_b32 v9, 2, v4
	s_delay_alu instid0(VALU_DEP_2)
	v_cmp_gt_i32_e64 s0, 32, v3
	v_cvt_f32_u32_e32 v7, s14
	s_sub_i32 s1, 0, s14
	v_lshl_or_b32 v16, v6, 2, 12
	s_mov_b32 s4, 0
	v_cndmask_b32_e64 v3, v6, v3, s0
	v_rcp_iflag_f32_e32 v7, v7
	v_and_b32_e32 v0, 3, v0
	s_mul_hi_u32 s15, s6, s6
	s_mul_i32 s16, s6, s6
	v_dual_mov_b32 v3, 0 :: v_dual_lshlrev_b32 v14, 2, v3
	v_lshl_or_b32 v13, v4, 3, v2
	v_xor_b32_e32 v2, 1, v6
	v_dual_mov_b32 v24, 0x7c :: v_dual_mov_b32 v27, 1
	s_waitcnt_depctr 0xfff
	v_mul_f32_e32 v7, 0x4f7ffffe, v7
	v_or_b32_e32 v10, 4, v0
	v_cmp_gt_i32_e64 s0, 32, v2
	v_lshlrev_b32_e32 v28, 2, v0
	s_delay_alu instid0(VALU_DEP_2) | instskip(SKIP_3) | instid1(VALU_DEP_1)
	v_cndmask_b32_e64 v5, v6, v2, s0
	v_mul_lo_u32 v2, v4, s6
	s_waitcnt lgkmcnt(0)
	v_add_co_u32 v17, s0, s18, v9
	v_add_co_ci_u32_e64 v18, null, s19, 0, s0
	v_lshlrev_b32_e32 v15, 2, v5
	s_delay_alu instid0(VALU_DEP_4) | instskip(SKIP_1) | instid1(VALU_DEP_2)
	v_lshlrev_b64 v[4:5], 2, v[2:3]
	v_xor_b32_e32 v2, 16, v6
	v_add_co_u32 v19, s0, s18, v4
	s_delay_alu instid0(VALU_DEP_1) | instskip(SKIP_1) | instid1(VALU_DEP_4)
	v_add_co_ci_u32_e64 v20, s0, s19, v5, s0
	v_xor_b32_e32 v4, 8, v6
	v_cmp_gt_i32_e64 s0, 32, v2
	v_cvt_u32_f32_e32 v5, v7
	v_xor_b32_e32 v7, 4, v6
	s_ashr_i32 s18, s6, 31
	s_delay_alu instid0(VALU_DEP_3) | instskip(SKIP_3) | instid1(VALU_DEP_4)
	v_cndmask_b32_e64 v2, v6, v2, s0
	v_cmp_gt_i32_e64 s0, 32, v4
	v_mul_lo_u32 v9, s1, v5
	v_cmp_gt_u32_e64 s1, s6, v10
	v_lshlrev_b32_e32 v21, 2, v2
	s_delay_alu instid0(VALU_DEP_4)
	v_cndmask_b32_e64 v4, v6, v4, s0
	v_cmp_gt_i32_e64 s0, 32, v7
	v_mul_lo_u32 v2, v0, s6
	s_and_b32 s1, vcc_lo, s1
	v_mul_hi_u32 v9, v5, v9
	v_lshlrev_b32_e32 v22, 2, v4
	v_cndmask_b32_e64 v6, v6, v7, s0
	v_or_b32_e32 v4, v13, v0
	v_mov_b32_e32 v7, v3
	v_cmp_gt_u32_e64 s0, s6, v0
	s_delay_alu instid0(VALU_DEP_4)
	v_lshlrev_b32_e32 v23, 2, v6
	v_lshl_add_u32 v6, s6, 2, v2
	v_lshlrev_b32_e32 v25, 2, v4
	v_add_nc_u32_e32 v26, v5, v9
	v_lshlrev_b64 v[4:5], 2, v[2:3]
	s_and_b32 s17, s0, vcc_lo
	v_lshlrev_b64 v[6:7], 2, v[6:7]
	s_branch .LBB39_11
.LBB39_8:                               ;   in Loop: Header=BB39_11 Depth=1
	v_mov_b32_e32 v31, s20
.LBB39_9:                               ;   in Loop: Header=BB39_11 Depth=1
	s_or_b32 exec_lo, exec_lo, s19
.LBB39_10:                              ;   in Loop: Header=BB39_11 Depth=1
	s_delay_alu instid0(SALU_CYCLE_1)
	s_or_b32 exec_lo, exec_lo, s0
	ds_bpermute_b32 v2, v21, v29
	v_add_nc_u32_e32 v1, v31, v1
	s_waitcnt lgkmcnt(0)
	s_waitcnt_vscnt null, 0x0
	buffer_gl0_inv
	buffer_gl0_inv
	v_min_i32_e32 v2, v2, v29
	ds_bpermute_b32 v9, v22, v2
	s_waitcnt lgkmcnt(0)
	v_min_i32_e32 v2, v9, v2
	ds_bpermute_b32 v9, v23, v2
	s_waitcnt lgkmcnt(0)
	;; [unrolled: 3-line block ×5, first 2 shown]
	v_cmp_le_i32_e32 vcc_lo, s5, v30
	s_or_b32 s4, vcc_lo, s4
	s_delay_alu instid0(SALU_CYCLE_1)
	s_and_not1_b32 exec_lo, exec_lo, s4
	s_cbranch_execz .LBB39_30
.LBB39_11:                              ; =>This Loop Header: Depth=1
                                        ;     Child Loop BB39_14 Depth 2
	v_dual_mov_b32 v29, s5 :: v_dual_add_nc_u32 v8, v8, v0
	v_mov_b32_e32 v31, v12
	s_mov_b32 s19, exec_lo
	ds_store_b8 v11, v3 offset:2048
	ds_store_2addr_b32 v25, v3, v3 offset1:4
	s_waitcnt lgkmcnt(0)
	buffer_gl0_inv
	v_cmpx_lt_i32_e64 v8, v12
	s_cbranch_execz .LBB39_19
; %bb.12:                               ;   in Loop: Header=BB39_11 Depth=1
	v_mul_lo_u32 v2, v30, s6
	v_mov_b32_e32 v29, s5
	v_mov_b32_e32 v31, v12
	s_mov_b32 s20, 0
	s_branch .LBB39_14
.LBB39_13:                              ;   in Loop: Header=BB39_14 Depth=2
	s_or_b32 exec_lo, exec_lo, s21
	v_add_nc_u32_e32 v8, 4, v8
	s_xor_b32 s21, vcc_lo, -1
	s_delay_alu instid0(VALU_DEP_1) | instskip(NEXT) | instid1(VALU_DEP_1)
	v_cmp_ge_i32_e64 s0, v8, v12
	s_or_b32 s0, s21, s0
	s_delay_alu instid0(SALU_CYCLE_1) | instskip(NEXT) | instid1(SALU_CYCLE_1)
	s_and_b32 s0, exec_lo, s0
	s_or_b32 s20, s0, s20
	s_delay_alu instid0(SALU_CYCLE_1)
	s_and_not1_b32 exec_lo, exec_lo, s20
	s_cbranch_execz .LBB39_18
.LBB39_14:                              ;   Parent Loop BB39_11 Depth=1
                                        ; =>  This Inner Loop Header: Depth=2
	v_ashrrev_i32_e32 v9, 31, v8
	s_delay_alu instid0(VALU_DEP_1) | instskip(NEXT) | instid1(VALU_DEP_1)
	v_lshlrev_b64 v[9:10], 2, v[8:9]
	v_add_co_u32 v32, vcc_lo, s10, v9
	s_delay_alu instid0(VALU_DEP_2) | instskip(SKIP_3) | instid1(VALU_DEP_1)
	v_add_co_ci_u32_e32 v33, vcc_lo, s11, v10, vcc_lo
	global_load_b32 v32, v[32:33], off
	s_waitcnt vmcnt(0)
	v_subrev_nc_u32_e32 v32, s7, v32
	v_sub_nc_u32_e32 v33, 0, v32
	s_delay_alu instid0(VALU_DEP_1) | instskip(NEXT) | instid1(VALU_DEP_1)
	v_max_i32_e32 v33, v32, v33
	v_mul_hi_u32 v34, v33, v26
	s_delay_alu instid0(VALU_DEP_1) | instskip(NEXT) | instid1(VALU_DEP_1)
	v_mul_lo_u32 v35, v34, s14
	v_sub_nc_u32_e32 v33, v33, v35
	v_add_nc_u32_e32 v35, 1, v34
	s_delay_alu instid0(VALU_DEP_2) | instskip(SKIP_1) | instid1(VALU_DEP_2)
	v_subrev_nc_u32_e32 v36, s14, v33
	v_cmp_le_u32_e32 vcc_lo, s14, v33
	v_dual_cndmask_b32 v34, v34, v35 :: v_dual_cndmask_b32 v33, v33, v36
	v_ashrrev_i32_e32 v35, 31, v32
	s_delay_alu instid0(VALU_DEP_2) | instskip(NEXT) | instid1(VALU_DEP_3)
	v_add_nc_u32_e32 v36, 1, v34
	v_cmp_le_u32_e32 vcc_lo, s14, v33
	s_delay_alu instid0(VALU_DEP_3) | instskip(NEXT) | instid1(VALU_DEP_3)
	v_xor_b32_e32 v35, s18, v35
	v_cndmask_b32_e32 v33, v34, v36, vcc_lo
	s_delay_alu instid0(VALU_DEP_1) | instskip(NEXT) | instid1(VALU_DEP_1)
	v_xor_b32_e32 v33, v33, v35
	v_sub_nc_u32_e32 v34, v33, v35
	v_mov_b32_e32 v33, v31
	s_delay_alu instid0(VALU_DEP_2) | instskip(SKIP_1) | instid1(VALU_DEP_1)
	v_cmp_eq_u32_e32 vcc_lo, v34, v30
	v_cmp_ne_u32_e64 s0, v34, v30
	s_and_saveexec_b32 s21, s0
	s_delay_alu instid0(SALU_CYCLE_1)
	s_xor_b32 s0, exec_lo, s21
; %bb.15:                               ;   in Loop: Header=BB39_14 Depth=2
	v_min_i32_e32 v29, v34, v29
                                        ; implicit-def: $vgpr9_vgpr10
                                        ; implicit-def: $vgpr32
                                        ; implicit-def: $vgpr33
; %bb.16:                               ;   in Loop: Header=BB39_14 Depth=2
	s_or_saveexec_b32 s21, s0
	v_mov_b32_e32 v31, v8
	s_xor_b32 exec_lo, exec_lo, s21
	s_cbranch_execz .LBB39_13
; %bb.17:                               ;   in Loop: Header=BB39_14 Depth=2
	v_add_co_u32 v9, s0, s2, v9
	s_delay_alu instid0(VALU_DEP_1) | instskip(SKIP_3) | instid1(VALU_DEP_1)
	v_add_co_ci_u32_e64 v10, s0, s3, v10, s0
	v_mov_b32_e32 v31, v33
	global_load_b32 v9, v[9:10], off
	v_sub_nc_u32_e32 v10, v32, v2
	v_add_lshl_u32 v10, v13, v10, 2
	ds_store_b8 v11, v27 offset:2048
	s_waitcnt vmcnt(0)
	ds_store_b32 v10, v9
	s_branch .LBB39_13
.LBB39_18:                              ;   in Loop: Header=BB39_11 Depth=1
	s_or_b32 exec_lo, exec_lo, s20
.LBB39_19:                              ;   in Loop: Header=BB39_11 Depth=1
	s_delay_alu instid0(SALU_CYCLE_1)
	s_or_b32 exec_lo, exec_lo, s19
	ds_bpermute_b32 v2, v14, v31
	s_waitcnt lgkmcnt(0)
	buffer_gl0_inv
	ds_load_u8 v9, v11 offset:2048
	s_mov_b32 s0, exec_lo
	v_min_i32_e32 v2, v2, v31
	v_mov_b32_e32 v31, 0
	ds_bpermute_b32 v8, v15, v2
	s_waitcnt lgkmcnt(0)
	v_min_i32_e32 v2, v8, v2
	ds_bpermute_b32 v8, v16, v2
	v_and_b32_e32 v2, 1, v9
	s_delay_alu instid0(VALU_DEP_1)
	v_cmpx_eq_u32_e32 1, v2
	s_cbranch_execz .LBB39_10
; %bb.20:                               ;   in Loop: Header=BB39_11 Depth=1
	v_ashrrev_i32_e32 v2, 31, v1
	v_mul_lo_u32 v31, s15, v1
	v_mad_u64_u32 v[9:10], null, s16, v1, 0
	v_add_nc_u32_e32 v35, s13, v30
	s_delay_alu instid0(VALU_DEP_4) | instskip(NEXT) | instid1(VALU_DEP_1)
	v_mul_lo_u32 v32, s16, v2
	v_add3_u32 v10, v10, v32, v31
	v_lshlrev_b64 v[31:32], 2, v[1:2]
	s_delay_alu instid0(VALU_DEP_2) | instskip(NEXT) | instid1(VALU_DEP_2)
	v_lshlrev_b64 v[33:34], 2, v[9:10]
	v_add_co_u32 v31, vcc_lo, s8, v31
	s_delay_alu instid0(VALU_DEP_3) | instskip(NEXT) | instid1(VALU_DEP_3)
	v_add_co_ci_u32_e32 v32, vcc_lo, s9, v32, vcc_lo
	v_add_co_u32 v10, vcc_lo, v17, v33
	s_delay_alu instid0(VALU_DEP_4)
	v_add_co_ci_u32_e32 v30, vcc_lo, v18, v34, vcc_lo
	v_add_co_u32 v2, vcc_lo, v19, v33
	v_add_co_ci_u32_e32 v9, vcc_lo, v20, v34, vcc_lo
	global_store_b32 v[31:32], v35, off
	s_and_saveexec_b32 s19, s17
	s_cbranch_execz .LBB39_24
; %bb.21:                               ;   in Loop: Header=BB39_11 Depth=1
	s_and_b32 vcc_lo, exec_lo, s12
	s_cbranch_vccz .LBB39_27
; %bb.22:                               ;   in Loop: Header=BB39_11 Depth=1
	ds_load_b32 v33, v25
	v_add_co_u32 v31, vcc_lo, v10, v4
	v_add_co_ci_u32_e32 v32, vcc_lo, v30, v5, vcc_lo
	s_waitcnt lgkmcnt(0)
	global_store_b32 v[31:32], v33, off
	s_cbranch_execnz .LBB39_24
.LBB39_23:                              ;   in Loop: Header=BB39_11 Depth=1
	ds_load_b32 v33, v25
	v_add_co_u32 v31, vcc_lo, v2, v28
	v_add_co_ci_u32_e32 v32, vcc_lo, 0, v9, vcc_lo
	s_waitcnt lgkmcnt(0)
	global_store_b32 v[31:32], v33, off
.LBB39_24:                              ;   in Loop: Header=BB39_11 Depth=1
	s_or_b32 exec_lo, exec_lo, s19
	v_mov_b32_e32 v31, 1
	s_and_saveexec_b32 s19, s1
	s_cbranch_execz .LBB39_9
; %bb.25:                               ;   in Loop: Header=BB39_11 Depth=1
	s_and_not1_b32 vcc_lo, exec_lo, s12
	s_cbranch_vccnz .LBB39_28
; %bb.26:                               ;   in Loop: Header=BB39_11 Depth=1
	ds_load_b32 v33, v25 offset:16
	v_add_co_u32 v31, vcc_lo, v10, v6
	v_add_co_ci_u32_e32 v32, vcc_lo, v30, v7, vcc_lo
	s_mov_b32 s20, 1
	s_waitcnt lgkmcnt(0)
	global_store_b32 v[31:32], v33, off
	s_cbranch_execnz .LBB39_8
	s_branch .LBB39_29
.LBB39_27:                              ;   in Loop: Header=BB39_11 Depth=1
	s_branch .LBB39_23
.LBB39_28:                              ;   in Loop: Header=BB39_11 Depth=1
                                        ; implicit-def: $sgpr20
.LBB39_29:                              ;   in Loop: Header=BB39_11 Depth=1
	ds_load_b32 v10, v25 offset:16
	v_add_co_u32 v30, vcc_lo, v2, v28
	v_add_co_ci_u32_e32 v31, vcc_lo, 0, v9, vcc_lo
	s_mov_b32 s20, 1
	s_waitcnt lgkmcnt(0)
	global_store_b32 v[30:31], v10, off offset:16
	s_branch .LBB39_8
.LBB39_30:
	s_endpgm
	.section	.rodata,"a",@progbits
	.p2align	6, 0x0
	.amdhsa_kernel _ZN9rocsparseL42csr2bsr_wavefront_per_row_multipass_kernelILj256ELj32ELj8EfiiEEv20rocsparse_direction_T4_S2_S2_S2_S2_21rocsparse_index_base_PKT2_PKT3_PKS2_S3_PS4_PS7_PS2_
		.amdhsa_group_segment_fixed_size 2056
		.amdhsa_private_segment_fixed_size 0
		.amdhsa_kernarg_size 88
		.amdhsa_user_sgpr_count 15
		.amdhsa_user_sgpr_dispatch_ptr 0
		.amdhsa_user_sgpr_queue_ptr 0
		.amdhsa_user_sgpr_kernarg_segment_ptr 1
		.amdhsa_user_sgpr_dispatch_id 0
		.amdhsa_user_sgpr_private_segment_size 0
		.amdhsa_wavefront_size32 1
		.amdhsa_uses_dynamic_stack 0
		.amdhsa_enable_private_segment 0
		.amdhsa_system_sgpr_workgroup_id_x 1
		.amdhsa_system_sgpr_workgroup_id_y 0
		.amdhsa_system_sgpr_workgroup_id_z 0
		.amdhsa_system_sgpr_workgroup_info 0
		.amdhsa_system_vgpr_workitem_id 0
		.amdhsa_next_free_vgpr 37
		.amdhsa_next_free_sgpr 22
		.amdhsa_reserve_vcc 1
		.amdhsa_float_round_mode_32 0
		.amdhsa_float_round_mode_16_64 0
		.amdhsa_float_denorm_mode_32 3
		.amdhsa_float_denorm_mode_16_64 3
		.amdhsa_dx10_clamp 1
		.amdhsa_ieee_mode 1
		.amdhsa_fp16_overflow 0
		.amdhsa_workgroup_processor_mode 1
		.amdhsa_memory_ordered 1
		.amdhsa_forward_progress 0
		.amdhsa_shared_vgpr_count 0
		.amdhsa_exception_fp_ieee_invalid_op 0
		.amdhsa_exception_fp_denorm_src 0
		.amdhsa_exception_fp_ieee_div_zero 0
		.amdhsa_exception_fp_ieee_overflow 0
		.amdhsa_exception_fp_ieee_underflow 0
		.amdhsa_exception_fp_ieee_inexact 0
		.amdhsa_exception_int_div_zero 0
	.end_amdhsa_kernel
	.section	.text._ZN9rocsparseL42csr2bsr_wavefront_per_row_multipass_kernelILj256ELj32ELj8EfiiEEv20rocsparse_direction_T4_S2_S2_S2_S2_21rocsparse_index_base_PKT2_PKT3_PKS2_S3_PS4_PS7_PS2_,"axG",@progbits,_ZN9rocsparseL42csr2bsr_wavefront_per_row_multipass_kernelILj256ELj32ELj8EfiiEEv20rocsparse_direction_T4_S2_S2_S2_S2_21rocsparse_index_base_PKT2_PKT3_PKS2_S3_PS4_PS7_PS2_,comdat
.Lfunc_end39:
	.size	_ZN9rocsparseL42csr2bsr_wavefront_per_row_multipass_kernelILj256ELj32ELj8EfiiEEv20rocsparse_direction_T4_S2_S2_S2_S2_21rocsparse_index_base_PKT2_PKT3_PKS2_S3_PS4_PS7_PS2_, .Lfunc_end39-_ZN9rocsparseL42csr2bsr_wavefront_per_row_multipass_kernelILj256ELj32ELj8EfiiEEv20rocsparse_direction_T4_S2_S2_S2_S2_21rocsparse_index_base_PKT2_PKT3_PKS2_S3_PS4_PS7_PS2_
                                        ; -- End function
	.section	.AMDGPU.csdata,"",@progbits
; Kernel info:
; codeLenInByte = 1732
; NumSgprs: 24
; NumVgprs: 37
; ScratchSize: 0
; MemoryBound: 0
; FloatMode: 240
; IeeeMode: 1
; LDSByteSize: 2056 bytes/workgroup (compile time only)
; SGPRBlocks: 2
; VGPRBlocks: 4
; NumSGPRsForWavesPerEU: 24
; NumVGPRsForWavesPerEU: 37
; Occupancy: 16
; WaveLimiterHint : 0
; COMPUTE_PGM_RSRC2:SCRATCH_EN: 0
; COMPUTE_PGM_RSRC2:USER_SGPR: 15
; COMPUTE_PGM_RSRC2:TRAP_HANDLER: 0
; COMPUTE_PGM_RSRC2:TGID_X_EN: 1
; COMPUTE_PGM_RSRC2:TGID_Y_EN: 0
; COMPUTE_PGM_RSRC2:TGID_Z_EN: 0
; COMPUTE_PGM_RSRC2:TIDIG_COMP_CNT: 0
	.section	.text._ZN9rocsparseL42csr2bsr_wavefront_per_row_multipass_kernelILj256ELj64ELj16EfiiEEv20rocsparse_direction_T4_S2_S2_S2_S2_21rocsparse_index_base_PKT2_PKT3_PKS2_S3_PS4_PS7_PS2_,"axG",@progbits,_ZN9rocsparseL42csr2bsr_wavefront_per_row_multipass_kernelILj256ELj64ELj16EfiiEEv20rocsparse_direction_T4_S2_S2_S2_S2_21rocsparse_index_base_PKT2_PKT3_PKS2_S3_PS4_PS7_PS2_,comdat
	.globl	_ZN9rocsparseL42csr2bsr_wavefront_per_row_multipass_kernelILj256ELj64ELj16EfiiEEv20rocsparse_direction_T4_S2_S2_S2_S2_21rocsparse_index_base_PKT2_PKT3_PKS2_S3_PS4_PS7_PS2_ ; -- Begin function _ZN9rocsparseL42csr2bsr_wavefront_per_row_multipass_kernelILj256ELj64ELj16EfiiEEv20rocsparse_direction_T4_S2_S2_S2_S2_21rocsparse_index_base_PKT2_PKT3_PKS2_S3_PS4_PS7_PS2_
	.p2align	8
	.type	_ZN9rocsparseL42csr2bsr_wavefront_per_row_multipass_kernelILj256ELj64ELj16EfiiEEv20rocsparse_direction_T4_S2_S2_S2_S2_21rocsparse_index_base_PKT2_PKT3_PKS2_S3_PS4_PS7_PS2_,@function
_ZN9rocsparseL42csr2bsr_wavefront_per_row_multipass_kernelILj256ELj64ELj16EfiiEEv20rocsparse_direction_T4_S2_S2_S2_S2_21rocsparse_index_base_PKT2_PKT3_PKS2_S3_PS4_PS7_PS2_: ; @_ZN9rocsparseL42csr2bsr_wavefront_per_row_multipass_kernelILj256ELj64ELj16EfiiEEv20rocsparse_direction_T4_S2_S2_S2_S2_21rocsparse_index_base_PKT2_PKT3_PKS2_S3_PS4_PS7_PS2_
; %bb.0:
	s_clause 0x1
	s_load_b128 s[4:7], s[0:1], 0xc
	s_load_b64 s[16:17], s[0:1], 0x0
	v_lshrrev_b32_e32 v15, 6, v0
	v_bfe_u32 v4, v0, 2, 4
	s_load_b64 s[8:9], s[0:1], 0x28
	v_mov_b32_e32 v16, 0
	v_mov_b32_e32 v12, 0
	v_lshl_or_b32 v2, s15, 2, v15
	s_waitcnt lgkmcnt(0)
	s_delay_alu instid0(VALU_DEP_1) | instskip(SKIP_1) | instid1(VALU_DEP_2)
	v_mad_u64_u32 v[5:6], null, v2, s6, v[4:5]
	v_cmp_gt_i32_e32 vcc_lo, s6, v4
	v_cmp_gt_i32_e64 s2, s17, v5
	s_delay_alu instid0(VALU_DEP_1) | instskip(NEXT) | instid1(SALU_CYCLE_1)
	s_and_b32 s3, vcc_lo, s2
	s_and_saveexec_b32 s10, s3
	s_cbranch_execz .LBB40_2
; %bb.1:
	v_ashrrev_i32_e32 v6, 31, v5
	s_delay_alu instid0(VALU_DEP_1) | instskip(NEXT) | instid1(VALU_DEP_1)
	v_lshlrev_b64 v[6:7], 2, v[5:6]
	v_add_co_u32 v6, s2, s8, v6
	s_delay_alu instid0(VALU_DEP_1)
	v_add_co_ci_u32_e64 v7, s2, s9, v7, s2
	global_load_b32 v1, v[6:7], off
	s_waitcnt vmcnt(0)
	v_subrev_nc_u32_e32 v12, s7, v1
.LBB40_2:
	s_or_b32 exec_lo, exec_lo, s10
	s_and_saveexec_b32 s10, s3
	s_cbranch_execz .LBB40_4
; %bb.3:
	v_ashrrev_i32_e32 v6, 31, v5
	s_delay_alu instid0(VALU_DEP_1) | instskip(NEXT) | instid1(VALU_DEP_1)
	v_lshlrev_b64 v[5:6], 2, v[5:6]
	v_add_co_u32 v5, s2, s8, v5
	s_delay_alu instid0(VALU_DEP_1)
	v_add_co_ci_u32_e64 v6, s2, s9, v6, s2
	global_load_b32 v1, v[5:6], off offset:4
	s_waitcnt vmcnt(0)
	v_subrev_nc_u32_e32 v16, s7, v1
.LBB40_4:
	s_or_b32 exec_lo, exec_lo, s10
	s_load_b32 s14, s[0:1], 0x38
	v_mov_b32_e32 v1, 0
	s_mov_b32 s3, exec_lo
	v_cmpx_gt_i32_e64 s4, v2
	s_cbranch_execz .LBB40_6
; %bb.5:
	s_load_b64 s[8:9], s[0:1], 0x48
	v_ashrrev_i32_e32 v3, 31, v2
	s_delay_alu instid0(VALU_DEP_1) | instskip(SKIP_1) | instid1(VALU_DEP_1)
	v_lshlrev_b64 v[1:2], 2, v[2:3]
	s_waitcnt lgkmcnt(0)
	v_add_co_u32 v1, s2, s8, v1
	s_delay_alu instid0(VALU_DEP_1)
	v_add_co_ci_u32_e64 v2, s2, s9, v2, s2
	global_load_b32 v1, v[1:2], off
	s_waitcnt vmcnt(0)
	v_subrev_nc_u32_e32 v1, s14, v1
.LBB40_6:
	s_or_b32 exec_lo, exec_lo, s3
	s_cmp_lt_i32 s5, 1
	s_cbranch_scc1 .LBB40_40
; %bb.7:
	v_mbcnt_lo_u32_b32 v6, -1, 0
	s_clause 0x3
	s_load_b64 s[8:9], s[0:1], 0x20
	s_load_b64 s[10:11], s[0:1], 0x50
	;; [unrolled: 1-line block ×4, first 2 shown]
	v_and_b32_e32 v0, 3, v0
	v_dual_mov_b32 v32, 1 :: v_dual_lshlrev_b32 v5, 8, v15
	v_xor_b32_e32 v2, 2, v6
	v_xor_b32_e32 v3, 1, v6
	v_lshlrev_b32_e32 v7, 2, v4
	s_delay_alu instid0(VALU_DEP_4)
	v_lshl_or_b32 v17, v4, 4, v5
	s_cmp_lg_u32 s16, 0
	v_cmp_gt_i32_e64 s0, 32, v2
	s_cselect_b32 s15, -1, 0
	s_abs_i32 s18, s6
	v_xor_b32_e32 v8, 4, v6
	s_lshl_b32 s19, s6, 2
	v_cndmask_b32_e64 v2, v6, v2, s0
	v_cmp_gt_i32_e64 s0, 32, v3
	v_lshl_or_b32 v20, v6, 2, 12
	v_bfrev_b32_e32 v29, 0.5
	s_mov_b32 s4, 0
	s_mul_hi_u32 s16, s6, s6
	v_cndmask_b32_e64 v3, v6, v3, s0
	s_waitcnt lgkmcnt(0)
	v_add_co_u32 v21, s0, s2, v7
	s_delay_alu instid0(VALU_DEP_1) | instskip(NEXT) | instid1(VALU_DEP_3)
	v_add_co_ci_u32_e64 v22, null, s3, 0, s0
	v_lshlrev_b32_e32 v19, 2, v3
	v_dual_mov_b32 v3, 0 :: v_dual_lshlrev_b32 v18, 2, v2
	v_mul_lo_u32 v2, v4, s6
	v_xor_b32_e32 v7, 8, v6
	v_or_b32_e32 v10, 12, v0
	v_lshlrev_b32_e32 v33, 2, v0
	s_mul_i32 s17, s6, s6
	s_ashr_i32 s20, s6, 31
	v_mov_b32_e32 v35, 0
	v_mov_b32_e32 v11, v3
	v_lshlrev_b64 v[4:5], 2, v[2:3]
	v_or_b32_e32 v2, 32, v6
	s_delay_alu instid0(VALU_DEP_2) | instskip(NEXT) | instid1(VALU_DEP_1)
	v_add_co_u32 v23, s0, s2, v4
	v_add_co_ci_u32_e64 v24, s0, s3, v5, s0
	v_xor_b32_e32 v4, 16, v6
	s_delay_alu instid0(VALU_DEP_4) | instskip(SKIP_2) | instid1(VALU_DEP_3)
	v_cmp_gt_i32_e64 s0, 32, v2
	v_cvt_f32_u32_e32 v5, s18
	v_cmp_gt_u32_e64 s3, s6, v10
	v_cndmask_b32_e64 v2, v6, v2, s0
	v_cmp_gt_i32_e64 s0, 32, v4
	s_delay_alu instid0(VALU_DEP_4) | instskip(NEXT) | instid1(VALU_DEP_3)
	v_rcp_iflag_f32_e32 v5, v5
	s_and_b32 s3, vcc_lo, s3
	s_delay_alu instid0(VALU_DEP_2) | instskip(NEXT) | instid1(VALU_DEP_2)
	v_lshlrev_b32_e32 v25, 2, v2
	v_cndmask_b32_e64 v4, v6, v4, s0
	v_cmp_gt_i32_e64 s0, 32, v7
	s_delay_alu instid0(VALU_DEP_2) | instskip(NEXT) | instid1(VALU_DEP_2)
	v_lshlrev_b32_e32 v26, 2, v4
	v_cndmask_b32_e64 v7, v6, v7, s0
	v_cmp_gt_i32_e64 s0, 32, v8
	s_delay_alu instid0(TRANS32_DEP_1) | instskip(SKIP_1) | instid1(VALU_DEP_4)
	v_mul_f32_e32 v4, 0x4f7ffffe, v5
	v_or_b32_e32 v5, v17, v0
	v_lshlrev_b32_e32 v27, 2, v7
	s_delay_alu instid0(VALU_DEP_4) | instskip(NEXT) | instid1(VALU_DEP_4)
	v_cndmask_b32_e64 v2, v6, v8, s0
	v_cvt_u32_f32_e32 v4, v4
	s_sub_i32 s0, 0, s18
	v_lshlrev_b32_e32 v30, 2, v5
	v_or_b32_e32 v5, 4, v0
	v_lshlrev_b32_e32 v28, 2, v2
	v_mul_lo_u32 v2, v0, s6
	v_mul_lo_u32 v9, s0, v4
	v_mov_b32_e32 v7, v3
	v_cmp_gt_u32_e64 s1, s6, v5
	v_or_b32_e32 v5, 8, v0
	v_cmp_gt_u32_e64 s0, s6, v0
	v_add_nc_u32_e32 v6, s19, v2
	v_mul_hi_u32 v13, v4, v9
	v_mov_b32_e32 v9, v3
	v_cmp_gt_u32_e64 s2, s6, v5
	s_and_b32 s1, vcc_lo, s1
	v_add_nc_u32_e32 v8, s19, v6
	v_lshlrev_b64 v[6:7], 2, v[6:7]
	s_delay_alu instid0(VALU_DEP_3) | instskip(SKIP_1) | instid1(VALU_DEP_3)
	s_and_b32 s2, vcc_lo, s2
	v_add_nc_u32_e32 v31, v4, v13
	v_add_nc_u32_e32 v10, s19, v8
	v_lshlrev_b64 v[4:5], 2, v[2:3]
	v_lshlrev_b64 v[8:9], 2, v[8:9]
	s_and_b32 s19, s0, vcc_lo
	s_delay_alu instid0(VALU_DEP_3)
	v_lshlrev_b64 v[10:11], 2, v[10:11]
	s_branch .LBB40_11
.LBB40_8:                               ;   in Loop: Header=BB40_11 Depth=1
	v_mov_b32_e32 v36, s22
.LBB40_9:                               ;   in Loop: Header=BB40_11 Depth=1
	s_or_b32 exec_lo, exec_lo, s21
.LBB40_10:                              ;   in Loop: Header=BB40_11 Depth=1
	s_delay_alu instid0(SALU_CYCLE_1)
	s_or_b32 exec_lo, exec_lo, s0
	ds_bpermute_b32 v2, v25, v34
	v_add_nc_u32_e32 v1, v36, v1
	s_waitcnt lgkmcnt(0)
	s_waitcnt_vscnt null, 0x0
	buffer_gl0_inv
	buffer_gl0_inv
	v_min_i32_e32 v2, v2, v34
	ds_bpermute_b32 v13, v26, v2
	s_waitcnt lgkmcnt(0)
	v_min_i32_e32 v2, v13, v2
	ds_bpermute_b32 v13, v27, v2
	s_waitcnt lgkmcnt(0)
	;; [unrolled: 3-line block ×6, first 2 shown]
	v_cmp_le_i32_e32 vcc_lo, s5, v35
	s_or_b32 s4, vcc_lo, s4
	s_delay_alu instid0(SALU_CYCLE_1)
	s_and_not1_b32 exec_lo, exec_lo, s4
	s_cbranch_execz .LBB40_40
.LBB40_11:                              ; =>This Loop Header: Depth=1
                                        ;     Child Loop BB40_14 Depth 2
	v_add_nc_u32_e32 v12, v12, v0
	v_mov_b32_e32 v34, s5
	v_mov_b32_e32 v36, v16
	s_mov_b32 s21, exec_lo
	ds_store_b8 v15, v3 offset:4096
	ds_store_2addr_b32 v30, v3, v3 offset1:4
	ds_store_2addr_b32 v30, v3, v3 offset0:8 offset1:12
	s_waitcnt lgkmcnt(0)
	buffer_gl0_inv
	v_cmpx_lt_i32_e64 v12, v16
	s_cbranch_execz .LBB40_19
; %bb.12:                               ;   in Loop: Header=BB40_11 Depth=1
	v_mul_lo_u32 v2, v35, s6
	v_mov_b32_e32 v34, s5
	v_mov_b32_e32 v36, v16
	s_mov_b32 s22, 0
	s_branch .LBB40_14
.LBB40_13:                              ;   in Loop: Header=BB40_14 Depth=2
	s_or_b32 exec_lo, exec_lo, s23
	v_add_nc_u32_e32 v12, 4, v12
	s_xor_b32 s23, vcc_lo, -1
	s_delay_alu instid0(VALU_DEP_1) | instskip(NEXT) | instid1(VALU_DEP_1)
	v_cmp_ge_i32_e64 s0, v12, v16
	s_or_b32 s0, s23, s0
	s_delay_alu instid0(SALU_CYCLE_1) | instskip(NEXT) | instid1(SALU_CYCLE_1)
	s_and_b32 s0, exec_lo, s0
	s_or_b32 s22, s0, s22
	s_delay_alu instid0(SALU_CYCLE_1)
	s_and_not1_b32 exec_lo, exec_lo, s22
	s_cbranch_execz .LBB40_18
.LBB40_14:                              ;   Parent Loop BB40_11 Depth=1
                                        ; =>  This Inner Loop Header: Depth=2
	v_ashrrev_i32_e32 v13, 31, v12
	s_delay_alu instid0(VALU_DEP_1) | instskip(NEXT) | instid1(VALU_DEP_1)
	v_lshlrev_b64 v[13:14], 2, v[12:13]
	v_add_co_u32 v37, vcc_lo, s12, v13
	s_delay_alu instid0(VALU_DEP_2) | instskip(SKIP_3) | instid1(VALU_DEP_1)
	v_add_co_ci_u32_e32 v38, vcc_lo, s13, v14, vcc_lo
	global_load_b32 v37, v[37:38], off
	s_waitcnt vmcnt(0)
	v_subrev_nc_u32_e32 v37, s7, v37
	v_sub_nc_u32_e32 v38, 0, v37
	s_delay_alu instid0(VALU_DEP_1) | instskip(NEXT) | instid1(VALU_DEP_1)
	v_max_i32_e32 v38, v37, v38
	v_mul_hi_u32 v39, v38, v31
	s_delay_alu instid0(VALU_DEP_1) | instskip(NEXT) | instid1(VALU_DEP_1)
	v_mul_lo_u32 v40, v39, s18
	v_sub_nc_u32_e32 v38, v38, v40
	v_add_nc_u32_e32 v40, 1, v39
	s_delay_alu instid0(VALU_DEP_2) | instskip(SKIP_1) | instid1(VALU_DEP_2)
	v_subrev_nc_u32_e32 v41, s18, v38
	v_cmp_le_u32_e32 vcc_lo, s18, v38
	v_dual_cndmask_b32 v39, v39, v40 :: v_dual_cndmask_b32 v38, v38, v41
	v_ashrrev_i32_e32 v40, 31, v37
	s_delay_alu instid0(VALU_DEP_2) | instskip(NEXT) | instid1(VALU_DEP_3)
	v_add_nc_u32_e32 v41, 1, v39
	v_cmp_le_u32_e32 vcc_lo, s18, v38
	s_delay_alu instid0(VALU_DEP_3) | instskip(NEXT) | instid1(VALU_DEP_3)
	v_xor_b32_e32 v40, s20, v40
	v_cndmask_b32_e32 v38, v39, v41, vcc_lo
	s_delay_alu instid0(VALU_DEP_1) | instskip(NEXT) | instid1(VALU_DEP_1)
	v_xor_b32_e32 v38, v38, v40
	v_sub_nc_u32_e32 v39, v38, v40
	v_mov_b32_e32 v38, v36
	s_delay_alu instid0(VALU_DEP_2) | instskip(SKIP_1) | instid1(VALU_DEP_1)
	v_cmp_eq_u32_e32 vcc_lo, v39, v35
	v_cmp_ne_u32_e64 s0, v39, v35
	s_and_saveexec_b32 s23, s0
	s_delay_alu instid0(SALU_CYCLE_1)
	s_xor_b32 s0, exec_lo, s23
; %bb.15:                               ;   in Loop: Header=BB40_14 Depth=2
	v_min_i32_e32 v34, v39, v34
                                        ; implicit-def: $vgpr13_vgpr14
                                        ; implicit-def: $vgpr37
                                        ; implicit-def: $vgpr38
; %bb.16:                               ;   in Loop: Header=BB40_14 Depth=2
	s_or_saveexec_b32 s23, s0
	v_mov_b32_e32 v36, v12
	s_xor_b32 exec_lo, exec_lo, s23
	s_cbranch_execz .LBB40_13
; %bb.17:                               ;   in Loop: Header=BB40_14 Depth=2
	v_add_co_u32 v13, s0, s8, v13
	s_delay_alu instid0(VALU_DEP_1) | instskip(SKIP_3) | instid1(VALU_DEP_1)
	v_add_co_ci_u32_e64 v14, s0, s9, v14, s0
	v_mov_b32_e32 v36, v38
	global_load_b32 v13, v[13:14], off
	v_sub_nc_u32_e32 v14, v37, v2
	v_add_lshl_u32 v14, v17, v14, 2
	ds_store_b8 v15, v32 offset:4096
	s_waitcnt vmcnt(0)
	ds_store_b32 v14, v13
	s_branch .LBB40_13
.LBB40_18:                              ;   in Loop: Header=BB40_11 Depth=1
	s_or_b32 exec_lo, exec_lo, s22
.LBB40_19:                              ;   in Loop: Header=BB40_11 Depth=1
	s_delay_alu instid0(SALU_CYCLE_1)
	s_or_b32 exec_lo, exec_lo, s21
	ds_bpermute_b32 v2, v18, v36
	s_waitcnt lgkmcnt(0)
	buffer_gl0_inv
	ds_load_u8 v13, v15 offset:4096
	s_mov_b32 s0, exec_lo
	v_min_i32_e32 v2, v2, v36
	v_mov_b32_e32 v36, 0
	ds_bpermute_b32 v12, v19, v2
	s_waitcnt lgkmcnt(0)
	v_min_i32_e32 v2, v12, v2
	ds_bpermute_b32 v12, v20, v2
	v_and_b32_e32 v2, 1, v13
	s_delay_alu instid0(VALU_DEP_1)
	v_cmpx_eq_u32_e32 1, v2
	s_cbranch_execz .LBB40_10
; %bb.20:                               ;   in Loop: Header=BB40_11 Depth=1
	v_ashrrev_i32_e32 v2, 31, v1
	v_mul_lo_u32 v36, s16, v1
	v_mad_u64_u32 v[13:14], null, s17, v1, 0
	v_add_nc_u32_e32 v40, s14, v35
	s_delay_alu instid0(VALU_DEP_4) | instskip(NEXT) | instid1(VALU_DEP_1)
	v_mul_lo_u32 v37, s17, v2
	v_add3_u32 v14, v14, v37, v36
	v_lshlrev_b64 v[36:37], 2, v[1:2]
	s_delay_alu instid0(VALU_DEP_2) | instskip(NEXT) | instid1(VALU_DEP_2)
	v_lshlrev_b64 v[38:39], 2, v[13:14]
	v_add_co_u32 v36, vcc_lo, s10, v36
	s_delay_alu instid0(VALU_DEP_3) | instskip(NEXT) | instid1(VALU_DEP_3)
	v_add_co_ci_u32_e32 v37, vcc_lo, s11, v37, vcc_lo
	v_add_co_u32 v14, vcc_lo, v21, v38
	s_delay_alu instid0(VALU_DEP_4)
	v_add_co_ci_u32_e32 v35, vcc_lo, v22, v39, vcc_lo
	v_add_co_u32 v2, vcc_lo, v23, v38
	v_add_co_ci_u32_e32 v13, vcc_lo, v24, v39, vcc_lo
	global_store_b32 v[36:37], v40, off
	s_and_saveexec_b32 s21, s19
	s_cbranch_execz .LBB40_24
; %bb.21:                               ;   in Loop: Header=BB40_11 Depth=1
	s_and_b32 vcc_lo, exec_lo, s15
	s_cbranch_vccz .LBB40_35
; %bb.22:                               ;   in Loop: Header=BB40_11 Depth=1
	ds_load_b32 v38, v30
	v_add_co_u32 v36, vcc_lo, v14, v4
	v_add_co_ci_u32_e32 v37, vcc_lo, v35, v5, vcc_lo
	s_waitcnt lgkmcnt(0)
	global_store_b32 v[36:37], v38, off
	s_cbranch_execnz .LBB40_24
.LBB40_23:                              ;   in Loop: Header=BB40_11 Depth=1
	ds_load_b32 v38, v30
	v_add_co_u32 v36, vcc_lo, v2, v33
	v_add_co_ci_u32_e32 v37, vcc_lo, 0, v13, vcc_lo
	s_waitcnt lgkmcnt(0)
	global_store_b32 v[36:37], v38, off
.LBB40_24:                              ;   in Loop: Header=BB40_11 Depth=1
	s_or_b32 exec_lo, exec_lo, s21
	s_and_saveexec_b32 s21, s1
	s_cbranch_execz .LBB40_28
; %bb.25:                               ;   in Loop: Header=BB40_11 Depth=1
	s_and_not1_b32 vcc_lo, exec_lo, s15
	s_cbranch_vccnz .LBB40_36
; %bb.26:                               ;   in Loop: Header=BB40_11 Depth=1
	ds_load_b32 v38, v30 offset:16
	v_add_co_u32 v36, vcc_lo, v14, v6
	v_add_co_ci_u32_e32 v37, vcc_lo, v35, v7, vcc_lo
	s_waitcnt lgkmcnt(0)
	global_store_b32 v[36:37], v38, off
	s_cbranch_execnz .LBB40_28
.LBB40_27:                              ;   in Loop: Header=BB40_11 Depth=1
	ds_load_b32 v38, v30 offset:16
	v_add_co_u32 v36, vcc_lo, v2, v33
	v_add_co_ci_u32_e32 v37, vcc_lo, 0, v13, vcc_lo
	s_waitcnt lgkmcnt(0)
	global_store_b32 v[36:37], v38, off offset:16
.LBB40_28:                              ;   in Loop: Header=BB40_11 Depth=1
	s_or_b32 exec_lo, exec_lo, s21
	s_and_saveexec_b32 s21, s2
	s_cbranch_execz .LBB40_32
; %bb.29:                               ;   in Loop: Header=BB40_11 Depth=1
	s_and_not1_b32 vcc_lo, exec_lo, s15
	s_cbranch_vccnz .LBB40_37
; %bb.30:                               ;   in Loop: Header=BB40_11 Depth=1
	ds_load_b32 v38, v30 offset:32
	v_add_co_u32 v36, vcc_lo, v14, v8
	v_add_co_ci_u32_e32 v37, vcc_lo, v35, v9, vcc_lo
	s_waitcnt lgkmcnt(0)
	global_store_b32 v[36:37], v38, off
	s_cbranch_execnz .LBB40_32
.LBB40_31:                              ;   in Loop: Header=BB40_11 Depth=1
	ds_load_b32 v38, v30 offset:32
	v_add_co_u32 v36, vcc_lo, v2, v33
	v_add_co_ci_u32_e32 v37, vcc_lo, 0, v13, vcc_lo
	s_waitcnt lgkmcnt(0)
	global_store_b32 v[36:37], v38, off offset:32
.LBB40_32:                              ;   in Loop: Header=BB40_11 Depth=1
	s_or_b32 exec_lo, exec_lo, s21
	v_mov_b32_e32 v36, 1
	s_and_saveexec_b32 s21, s3
	s_cbranch_execz .LBB40_9
; %bb.33:                               ;   in Loop: Header=BB40_11 Depth=1
	s_and_not1_b32 vcc_lo, exec_lo, s15
	s_cbranch_vccnz .LBB40_38
; %bb.34:                               ;   in Loop: Header=BB40_11 Depth=1
	ds_load_b32 v38, v30 offset:48
	v_add_co_u32 v36, vcc_lo, v14, v10
	v_add_co_ci_u32_e32 v37, vcc_lo, v35, v11, vcc_lo
	s_mov_b32 s22, 1
	s_waitcnt lgkmcnt(0)
	global_store_b32 v[36:37], v38, off
	s_cbranch_execnz .LBB40_8
	s_branch .LBB40_39
.LBB40_35:                              ;   in Loop: Header=BB40_11 Depth=1
	s_branch .LBB40_23
.LBB40_36:                              ;   in Loop: Header=BB40_11 Depth=1
	s_branch .LBB40_27
.LBB40_37:                              ;   in Loop: Header=BB40_11 Depth=1
	s_branch .LBB40_31
.LBB40_38:                              ;   in Loop: Header=BB40_11 Depth=1
                                        ; implicit-def: $sgpr22
.LBB40_39:                              ;   in Loop: Header=BB40_11 Depth=1
	ds_load_b32 v14, v30 offset:48
	v_add_co_u32 v35, vcc_lo, v2, v33
	v_add_co_ci_u32_e32 v36, vcc_lo, 0, v13, vcc_lo
	s_mov_b32 s22, 1
	s_waitcnt lgkmcnt(0)
	global_store_b32 v[35:36], v14, off offset:48
	s_branch .LBB40_8
.LBB40_40:
	s_endpgm
	.section	.rodata,"a",@progbits
	.p2align	6, 0x0
	.amdhsa_kernel _ZN9rocsparseL42csr2bsr_wavefront_per_row_multipass_kernelILj256ELj64ELj16EfiiEEv20rocsparse_direction_T4_S2_S2_S2_S2_21rocsparse_index_base_PKT2_PKT3_PKS2_S3_PS4_PS7_PS2_
		.amdhsa_group_segment_fixed_size 4100
		.amdhsa_private_segment_fixed_size 0
		.amdhsa_kernarg_size 88
		.amdhsa_user_sgpr_count 15
		.amdhsa_user_sgpr_dispatch_ptr 0
		.amdhsa_user_sgpr_queue_ptr 0
		.amdhsa_user_sgpr_kernarg_segment_ptr 1
		.amdhsa_user_sgpr_dispatch_id 0
		.amdhsa_user_sgpr_private_segment_size 0
		.amdhsa_wavefront_size32 1
		.amdhsa_uses_dynamic_stack 0
		.amdhsa_enable_private_segment 0
		.amdhsa_system_sgpr_workgroup_id_x 1
		.amdhsa_system_sgpr_workgroup_id_y 0
		.amdhsa_system_sgpr_workgroup_id_z 0
		.amdhsa_system_sgpr_workgroup_info 0
		.amdhsa_system_vgpr_workitem_id 0
		.amdhsa_next_free_vgpr 42
		.amdhsa_next_free_sgpr 24
		.amdhsa_reserve_vcc 1
		.amdhsa_float_round_mode_32 0
		.amdhsa_float_round_mode_16_64 0
		.amdhsa_float_denorm_mode_32 3
		.amdhsa_float_denorm_mode_16_64 3
		.amdhsa_dx10_clamp 1
		.amdhsa_ieee_mode 1
		.amdhsa_fp16_overflow 0
		.amdhsa_workgroup_processor_mode 1
		.amdhsa_memory_ordered 1
		.amdhsa_forward_progress 0
		.amdhsa_shared_vgpr_count 0
		.amdhsa_exception_fp_ieee_invalid_op 0
		.amdhsa_exception_fp_denorm_src 0
		.amdhsa_exception_fp_ieee_div_zero 0
		.amdhsa_exception_fp_ieee_overflow 0
		.amdhsa_exception_fp_ieee_underflow 0
		.amdhsa_exception_fp_ieee_inexact 0
		.amdhsa_exception_int_div_zero 0
	.end_amdhsa_kernel
	.section	.text._ZN9rocsparseL42csr2bsr_wavefront_per_row_multipass_kernelILj256ELj64ELj16EfiiEEv20rocsparse_direction_T4_S2_S2_S2_S2_21rocsparse_index_base_PKT2_PKT3_PKS2_S3_PS4_PS7_PS2_,"axG",@progbits,_ZN9rocsparseL42csr2bsr_wavefront_per_row_multipass_kernelILj256ELj64ELj16EfiiEEv20rocsparse_direction_T4_S2_S2_S2_S2_21rocsparse_index_base_PKT2_PKT3_PKS2_S3_PS4_PS7_PS2_,comdat
.Lfunc_end40:
	.size	_ZN9rocsparseL42csr2bsr_wavefront_per_row_multipass_kernelILj256ELj64ELj16EfiiEEv20rocsparse_direction_T4_S2_S2_S2_S2_21rocsparse_index_base_PKT2_PKT3_PKS2_S3_PS4_PS7_PS2_, .Lfunc_end40-_ZN9rocsparseL42csr2bsr_wavefront_per_row_multipass_kernelILj256ELj64ELj16EfiiEEv20rocsparse_direction_T4_S2_S2_S2_S2_21rocsparse_index_base_PKT2_PKT3_PKS2_S3_PS4_PS7_PS2_
                                        ; -- End function
	.section	.AMDGPU.csdata,"",@progbits
; Kernel info:
; codeLenInByte = 2036
; NumSgprs: 26
; NumVgprs: 42
; ScratchSize: 0
; MemoryBound: 0
; FloatMode: 240
; IeeeMode: 1
; LDSByteSize: 4100 bytes/workgroup (compile time only)
; SGPRBlocks: 3
; VGPRBlocks: 5
; NumSGPRsForWavesPerEU: 26
; NumVGPRsForWavesPerEU: 42
; Occupancy: 16
; WaveLimiterHint : 0
; COMPUTE_PGM_RSRC2:SCRATCH_EN: 0
; COMPUTE_PGM_RSRC2:USER_SGPR: 15
; COMPUTE_PGM_RSRC2:TRAP_HANDLER: 0
; COMPUTE_PGM_RSRC2:TGID_X_EN: 1
; COMPUTE_PGM_RSRC2:TGID_Y_EN: 0
; COMPUTE_PGM_RSRC2:TGID_Z_EN: 0
; COMPUTE_PGM_RSRC2:TIDIG_COMP_CNT: 0
	.section	.text._ZN9rocsparseL42csr2bsr_wavefront_per_row_multipass_kernelILj256ELj32ELj16EfiiEEv20rocsparse_direction_T4_S2_S2_S2_S2_21rocsparse_index_base_PKT2_PKT3_PKS2_S3_PS4_PS7_PS2_,"axG",@progbits,_ZN9rocsparseL42csr2bsr_wavefront_per_row_multipass_kernelILj256ELj32ELj16EfiiEEv20rocsparse_direction_T4_S2_S2_S2_S2_21rocsparse_index_base_PKT2_PKT3_PKS2_S3_PS4_PS7_PS2_,comdat
	.globl	_ZN9rocsparseL42csr2bsr_wavefront_per_row_multipass_kernelILj256ELj32ELj16EfiiEEv20rocsparse_direction_T4_S2_S2_S2_S2_21rocsparse_index_base_PKT2_PKT3_PKS2_S3_PS4_PS7_PS2_ ; -- Begin function _ZN9rocsparseL42csr2bsr_wavefront_per_row_multipass_kernelILj256ELj32ELj16EfiiEEv20rocsparse_direction_T4_S2_S2_S2_S2_21rocsparse_index_base_PKT2_PKT3_PKS2_S3_PS4_PS7_PS2_
	.p2align	8
	.type	_ZN9rocsparseL42csr2bsr_wavefront_per_row_multipass_kernelILj256ELj32ELj16EfiiEEv20rocsparse_direction_T4_S2_S2_S2_S2_21rocsparse_index_base_PKT2_PKT3_PKS2_S3_PS4_PS7_PS2_,@function
_ZN9rocsparseL42csr2bsr_wavefront_per_row_multipass_kernelILj256ELj32ELj16EfiiEEv20rocsparse_direction_T4_S2_S2_S2_S2_21rocsparse_index_base_PKT2_PKT3_PKS2_S3_PS4_PS7_PS2_: ; @_ZN9rocsparseL42csr2bsr_wavefront_per_row_multipass_kernelILj256ELj32ELj16EfiiEEv20rocsparse_direction_T4_S2_S2_S2_S2_21rocsparse_index_base_PKT2_PKT3_PKS2_S3_PS4_PS7_PS2_
; %bb.0:
	s_clause 0x1
	s_load_b128 s[8:11], s[0:1], 0xc
	s_load_b64 s[4:5], s[0:1], 0x0
	v_lshrrev_b32_e32 v23, 5, v0
	v_bfe_u32 v4, v0, 1, 4
	s_load_b64 s[6:7], s[0:1], 0x28
	v_mov_b32_e32 v24, 0
	v_mov_b32_e32 v20, 0
	v_lshl_or_b32 v2, s15, 3, v23
	s_waitcnt lgkmcnt(0)
	s_delay_alu instid0(VALU_DEP_1) | instskip(SKIP_1) | instid1(VALU_DEP_2)
	v_mad_u64_u32 v[5:6], null, v2, s10, v[4:5]
	v_cmp_gt_i32_e32 vcc_lo, s10, v4
	v_cmp_gt_i32_e64 s2, s5, v5
	s_delay_alu instid0(VALU_DEP_1) | instskip(NEXT) | instid1(SALU_CYCLE_1)
	s_and_b32 s3, vcc_lo, s2
	s_and_saveexec_b32 s5, s3
	s_cbranch_execz .LBB41_2
; %bb.1:
	v_ashrrev_i32_e32 v6, 31, v5
	s_delay_alu instid0(VALU_DEP_1) | instskip(NEXT) | instid1(VALU_DEP_1)
	v_lshlrev_b64 v[6:7], 2, v[5:6]
	v_add_co_u32 v6, s2, s6, v6
	s_delay_alu instid0(VALU_DEP_1)
	v_add_co_ci_u32_e64 v7, s2, s7, v7, s2
	global_load_b32 v1, v[6:7], off
	s_waitcnt vmcnt(0)
	v_subrev_nc_u32_e32 v20, s11, v1
.LBB41_2:
	s_or_b32 exec_lo, exec_lo, s5
	s_and_saveexec_b32 s5, s3
	s_cbranch_execz .LBB41_4
; %bb.3:
	v_ashrrev_i32_e32 v6, 31, v5
	s_delay_alu instid0(VALU_DEP_1) | instskip(NEXT) | instid1(VALU_DEP_1)
	v_lshlrev_b64 v[5:6], 2, v[5:6]
	v_add_co_u32 v5, s2, s6, v5
	s_delay_alu instid0(VALU_DEP_1)
	v_add_co_ci_u32_e64 v6, s2, s7, v6, s2
	global_load_b32 v1, v[5:6], off offset:4
	s_waitcnt vmcnt(0)
	v_subrev_nc_u32_e32 v24, s11, v1
.LBB41_4:
	s_or_b32 exec_lo, exec_lo, s5
	s_load_b32 s18, s[0:1], 0x38
	v_mov_b32_e32 v1, 0
	s_mov_b32 s3, exec_lo
	v_cmpx_gt_i32_e64 s8, v2
	s_cbranch_execz .LBB41_6
; %bb.5:
	s_load_b64 s[6:7], s[0:1], 0x48
	v_ashrrev_i32_e32 v3, 31, v2
	s_delay_alu instid0(VALU_DEP_1) | instskip(SKIP_1) | instid1(VALU_DEP_1)
	v_lshlrev_b64 v[1:2], 2, v[2:3]
	s_waitcnt lgkmcnt(0)
	v_add_co_u32 v1, s2, s6, v1
	s_delay_alu instid0(VALU_DEP_1)
	v_add_co_ci_u32_e64 v2, s2, s7, v2, s2
	global_load_b32 v1, v[1:2], off
	s_waitcnt vmcnt(0)
	v_subrev_nc_u32_e32 v1, s18, v1
.LBB41_6:
	s_or_b32 exec_lo, exec_lo, s3
	s_cmp_lt_i32 s9, 1
	s_cbranch_scc1 .LBB41_60
; %bb.7:
	v_mbcnt_lo_u32_b32 v6, -1, 0
	s_clause 0x3
	s_load_b64 s[12:13], s[0:1], 0x20
	s_load_b64 s[14:15], s[0:1], 0x50
	;; [unrolled: 1-line block ×4, first 2 shown]
	v_dual_mov_b32 v36, 0x7c :: v_dual_lshlrev_b32 v3, 8, v23
	v_xor_b32_e32 v2, 1, v6
	v_and_b32_e32 v0, 1, v0
	v_lshlrev_b32_e32 v7, 2, v4
	s_delay_alu instid0(VALU_DEP_4)
	v_lshl_or_b32 v25, v4, 4, v3
	v_mov_b32_e32 v3, 0
	v_cmp_gt_i32_e64 s0, 32, v2
	s_cmp_lg_u32 s4, 0
	v_lshl_or_b32 v26, v6, 2, 4
	s_cselect_b32 s19, -1, 0
	s_abs_i32 s22, s10
	v_cndmask_b32_e64 v5, v6, v2, s0
	v_mul_lo_u32 v2, v4, s10
	s_lshl_b32 s23, s10, 1
	v_or_b32_e32 v10, 6, v0
	v_or_b32_e32 v14, 10, v0
	v_lshlrev_b32_e32 v27, 2, v5
	s_waitcnt lgkmcnt(0)
	v_add_co_u32 v28, s0, s2, v7
	s_delay_alu instid0(VALU_DEP_1)
	v_add_co_ci_u32_e64 v29, null, s3, 0, s0
	v_lshlrev_b64 v[4:5], 2, v[2:3]
	v_xor_b32_e32 v2, 16, v6
	v_xor_b32_e32 v7, 2, v6
	s_sub_i32 s6, 0, s22
	v_cmp_gt_u32_e64 s5, s10, v14
	v_or_b32_e32 v18, 14, v0
	v_add_co_u32 v30, s0, s2, v4
	s_delay_alu instid0(VALU_DEP_1)
	v_add_co_ci_u32_e64 v31, s0, s3, v5, s0
	v_xor_b32_e32 v4, 8, v6
	v_cmp_gt_i32_e64 s0, 32, v2
	v_xor_b32_e32 v5, 4, v6
	v_cmp_gt_u32_e64 s3, s10, v10
	v_cmp_gt_u32_e64 s7, s10, v18
	s_mov_b32 s8, 0
	v_cndmask_b32_e64 v2, v6, v2, s0
	v_cmp_gt_i32_e64 s0, 32, v4
	s_mul_hi_u32 s20, s10, s10
	s_mul_i32 s21, s10, s10
	s_and_b32 s3, vcc_lo, s3
	v_lshlrev_b32_e32 v32, 2, v2
	v_cndmask_b32_e64 v4, v6, v4, s0
	v_cmp_gt_i32_e64 s0, 32, v5
	v_mul_lo_u32 v2, v0, s10
	s_and_b32 s5, vcc_lo, s5
	s_and_b32 s7, vcc_lo, s7
	v_lshlrev_b32_e32 v33, 2, v4
	v_cndmask_b32_e64 v5, v6, v5, s0
	v_cmp_gt_i32_e64 s0, 32, v7
	v_or_b32_e32 v4, v25, v0
	v_mov_b32_e32 v9, v3
	s_delay_alu instid0(VALU_DEP_4)
	v_dual_mov_b32 v11, v3 :: v_dual_lshlrev_b32 v34, 2, v5
	v_cvt_f32_u32_e32 v5, s22
	v_cndmask_b32_e64 v6, v6, v7, s0
	v_lshlrev_b32_e32 v37, 2, v4
	v_or_b32_e32 v4, 2, v0
	v_mov_b32_e32 v7, v3
	v_rcp_iflag_f32_e32 v5, v5
	v_lshlrev_b32_e32 v35, 2, v6
	v_add_nc_u32_e32 v6, s23, v2
	v_cmp_gt_u32_e64 s1, s10, v4
	v_or_b32_e32 v4, 4, v0
	v_mov_b32_e32 v13, v3
	v_cmp_gt_u32_e64 s0, s10, v0
	v_dual_mov_b32 v15, v3 :: v_dual_add_nc_u32 v8, s23, v6
	s_delay_alu instid0(VALU_DEP_4) | instskip(NEXT) | instid1(TRANS32_DEP_1)
	v_cmp_gt_u32_e64 s2, s10, v4
	v_mul_f32_e32 v5, 0x4f7ffffe, v5
	v_or_b32_e32 v4, 8, v0
	s_delay_alu instid0(VALU_DEP_4) | instskip(SKIP_2) | instid1(VALU_DEP_4)
	v_dual_mov_b32 v17, v3 :: v_dual_add_nc_u32 v10, s23, v8
	v_lshlrev_b64 v[6:7], 2, v[6:7]
	v_lshlrev_b64 v[8:9], 2, v[8:9]
	v_cmp_gt_u32_e64 s4, s10, v4
	v_cvt_u32_f32_e32 v4, v5
	v_add_nc_u32_e32 v12, s23, v10
	v_or_b32_e32 v5, 12, v0
	v_lshlrev_b64 v[10:11], 2, v[10:11]
	s_and_b32 s1, vcc_lo, s1
	v_mul_lo_u32 v19, s6, v4
	v_add_nc_u32_e32 v14, s23, v12
	v_cmp_gt_u32_e64 s6, s10, v5
	v_lshlrev_b64 v[12:13], 2, v[12:13]
	v_mov_b32_e32 v39, 1
	s_and_b32 s2, vcc_lo, s2
	v_add_nc_u32_e32 v16, s23, v14
	v_lshlrev_b64 v[14:15], 2, v[14:15]
	v_mul_hi_u32 v5, v4, v19
	v_mov_b32_e32 v19, v3
	s_delay_alu instid0(VALU_DEP_4) | instskip(SKIP_4) | instid1(VALU_DEP_4)
	v_dual_mov_b32 v41, 0 :: v_dual_add_nc_u32 v18, s23, v16
	v_lshlrev_b64 v[16:17], 2, v[16:17]
	s_and_b32 s23, s0, vcc_lo
	s_and_b32 s4, vcc_lo, s4
	s_and_b32 s6, vcc_lo, s6
	v_add_nc_u32_e32 v38, v4, v5
	v_lshlrev_b64 v[4:5], 2, v[2:3]
	v_lshlrev_b64 v[18:19], 2, v[18:19]
	s_ashr_i32 s24, s10, 31
	s_branch .LBB41_11
.LBB41_8:                               ;   in Loop: Header=BB41_11 Depth=1
	v_mov_b32_e32 v42, s26
.LBB41_9:                               ;   in Loop: Header=BB41_11 Depth=1
	s_or_b32 exec_lo, exec_lo, s25
.LBB41_10:                              ;   in Loop: Header=BB41_11 Depth=1
	s_delay_alu instid0(SALU_CYCLE_1)
	s_or_b32 exec_lo, exec_lo, s0
	ds_bpermute_b32 v2, v32, v40
	v_add_nc_u32_e32 v1, v42, v1
	s_waitcnt lgkmcnt(0)
	s_waitcnt_vscnt null, 0x0
	buffer_gl0_inv
	buffer_gl0_inv
	v_min_i32_e32 v2, v2, v40
	ds_bpermute_b32 v21, v33, v2
	s_waitcnt lgkmcnt(0)
	v_min_i32_e32 v2, v21, v2
	ds_bpermute_b32 v21, v34, v2
	s_waitcnt lgkmcnt(0)
	;; [unrolled: 3-line block ×5, first 2 shown]
	v_cmp_le_i32_e32 vcc_lo, s9, v41
	s_or_b32 s8, vcc_lo, s8
	s_delay_alu instid0(SALU_CYCLE_1)
	s_and_not1_b32 exec_lo, exec_lo, s8
	s_cbranch_execz .LBB41_60
.LBB41_11:                              ; =>This Loop Header: Depth=1
                                        ;     Child Loop BB41_14 Depth 2
	v_add_nc_u32_e32 v20, v20, v0
	v_mov_b32_e32 v40, s9
	v_mov_b32_e32 v42, v24
	s_mov_b32 s25, exec_lo
	ds_store_b8 v23, v3 offset:8192
	ds_store_2addr_b32 v37, v3, v3 offset1:2
	ds_store_2addr_b32 v37, v3, v3 offset0:4 offset1:6
	ds_store_2addr_b32 v37, v3, v3 offset0:8 offset1:10
	;; [unrolled: 1-line block ×3, first 2 shown]
	s_waitcnt lgkmcnt(0)
	buffer_gl0_inv
	v_cmpx_lt_i32_e64 v20, v24
	s_cbranch_execz .LBB41_19
; %bb.12:                               ;   in Loop: Header=BB41_11 Depth=1
	v_mul_lo_u32 v2, v41, s10
	v_mov_b32_e32 v40, s9
	v_mov_b32_e32 v42, v24
	s_mov_b32 s26, 0
	s_branch .LBB41_14
.LBB41_13:                              ;   in Loop: Header=BB41_14 Depth=2
	s_or_b32 exec_lo, exec_lo, s27
	v_add_nc_u32_e32 v20, 2, v20
	s_xor_b32 s27, vcc_lo, -1
	s_delay_alu instid0(VALU_DEP_1) | instskip(NEXT) | instid1(VALU_DEP_1)
	v_cmp_ge_i32_e64 s0, v20, v24
	s_or_b32 s0, s27, s0
	s_delay_alu instid0(SALU_CYCLE_1) | instskip(NEXT) | instid1(SALU_CYCLE_1)
	s_and_b32 s0, exec_lo, s0
	s_or_b32 s26, s0, s26
	s_delay_alu instid0(SALU_CYCLE_1)
	s_and_not1_b32 exec_lo, exec_lo, s26
	s_cbranch_execz .LBB41_18
.LBB41_14:                              ;   Parent Loop BB41_11 Depth=1
                                        ; =>  This Inner Loop Header: Depth=2
	v_ashrrev_i32_e32 v21, 31, v20
	s_delay_alu instid0(VALU_DEP_1) | instskip(NEXT) | instid1(VALU_DEP_1)
	v_lshlrev_b64 v[21:22], 2, v[20:21]
	v_add_co_u32 v43, vcc_lo, s16, v21
	s_delay_alu instid0(VALU_DEP_2) | instskip(SKIP_3) | instid1(VALU_DEP_1)
	v_add_co_ci_u32_e32 v44, vcc_lo, s17, v22, vcc_lo
	global_load_b32 v43, v[43:44], off
	s_waitcnt vmcnt(0)
	v_subrev_nc_u32_e32 v43, s11, v43
	v_sub_nc_u32_e32 v44, 0, v43
	s_delay_alu instid0(VALU_DEP_1) | instskip(NEXT) | instid1(VALU_DEP_1)
	v_max_i32_e32 v44, v43, v44
	v_mul_hi_u32 v45, v44, v38
	s_delay_alu instid0(VALU_DEP_1) | instskip(NEXT) | instid1(VALU_DEP_1)
	v_mul_lo_u32 v46, v45, s22
	v_sub_nc_u32_e32 v44, v44, v46
	v_add_nc_u32_e32 v46, 1, v45
	s_delay_alu instid0(VALU_DEP_2) | instskip(SKIP_1) | instid1(VALU_DEP_2)
	v_subrev_nc_u32_e32 v47, s22, v44
	v_cmp_le_u32_e32 vcc_lo, s22, v44
	v_dual_cndmask_b32 v45, v45, v46 :: v_dual_cndmask_b32 v44, v44, v47
	v_ashrrev_i32_e32 v46, 31, v43
	s_delay_alu instid0(VALU_DEP_2) | instskip(NEXT) | instid1(VALU_DEP_3)
	v_add_nc_u32_e32 v47, 1, v45
	v_cmp_le_u32_e32 vcc_lo, s22, v44
	s_delay_alu instid0(VALU_DEP_3) | instskip(NEXT) | instid1(VALU_DEP_3)
	v_xor_b32_e32 v46, s24, v46
	v_cndmask_b32_e32 v44, v45, v47, vcc_lo
	s_delay_alu instid0(VALU_DEP_1) | instskip(NEXT) | instid1(VALU_DEP_1)
	v_xor_b32_e32 v44, v44, v46
	v_sub_nc_u32_e32 v45, v44, v46
	v_mov_b32_e32 v44, v42
	s_delay_alu instid0(VALU_DEP_2) | instskip(SKIP_1) | instid1(VALU_DEP_1)
	v_cmp_eq_u32_e32 vcc_lo, v45, v41
	v_cmp_ne_u32_e64 s0, v45, v41
	s_and_saveexec_b32 s27, s0
	s_delay_alu instid0(SALU_CYCLE_1)
	s_xor_b32 s0, exec_lo, s27
; %bb.15:                               ;   in Loop: Header=BB41_14 Depth=2
	v_min_i32_e32 v40, v45, v40
                                        ; implicit-def: $vgpr21_vgpr22
                                        ; implicit-def: $vgpr43
                                        ; implicit-def: $vgpr44
; %bb.16:                               ;   in Loop: Header=BB41_14 Depth=2
	s_or_saveexec_b32 s27, s0
	v_mov_b32_e32 v42, v20
	s_xor_b32 exec_lo, exec_lo, s27
	s_cbranch_execz .LBB41_13
; %bb.17:                               ;   in Loop: Header=BB41_14 Depth=2
	v_add_co_u32 v21, s0, s12, v21
	s_delay_alu instid0(VALU_DEP_1) | instskip(SKIP_3) | instid1(VALU_DEP_1)
	v_add_co_ci_u32_e64 v22, s0, s13, v22, s0
	v_mov_b32_e32 v42, v44
	global_load_b32 v21, v[21:22], off
	v_sub_nc_u32_e32 v22, v43, v2
	v_add_lshl_u32 v22, v25, v22, 2
	ds_store_b8 v23, v39 offset:8192
	s_waitcnt vmcnt(0)
	ds_store_b32 v22, v21
	s_branch .LBB41_13
.LBB41_18:                              ;   in Loop: Header=BB41_11 Depth=1
	s_or_b32 exec_lo, exec_lo, s26
.LBB41_19:                              ;   in Loop: Header=BB41_11 Depth=1
	s_delay_alu instid0(SALU_CYCLE_1)
	s_or_b32 exec_lo, exec_lo, s25
	ds_bpermute_b32 v2, v27, v42
	s_waitcnt lgkmcnt(0)
	buffer_gl0_inv
	ds_load_u8 v21, v23 offset:8192
	s_mov_b32 s0, exec_lo
	v_min_i32_e32 v2, v2, v42
	v_mov_b32_e32 v42, 0
	ds_bpermute_b32 v20, v26, v2
	s_waitcnt lgkmcnt(1)
	v_and_b32_e32 v2, 1, v21
	s_delay_alu instid0(VALU_DEP_1)
	v_cmpx_eq_u32_e32 1, v2
	s_cbranch_execz .LBB41_10
; %bb.20:                               ;   in Loop: Header=BB41_11 Depth=1
	v_ashrrev_i32_e32 v2, 31, v1
	v_mul_lo_u32 v42, s20, v1
	v_mad_u64_u32 v[21:22], null, s21, v1, 0
	v_add_nc_u32_e32 v46, s18, v41
	s_delay_alu instid0(VALU_DEP_4) | instskip(NEXT) | instid1(VALU_DEP_1)
	v_mul_lo_u32 v43, s21, v2
	v_add3_u32 v22, v22, v43, v42
	v_lshlrev_b64 v[42:43], 2, v[1:2]
	s_delay_alu instid0(VALU_DEP_2) | instskip(NEXT) | instid1(VALU_DEP_2)
	v_lshlrev_b64 v[44:45], 2, v[21:22]
	v_add_co_u32 v42, vcc_lo, s14, v42
	s_delay_alu instid0(VALU_DEP_3) | instskip(NEXT) | instid1(VALU_DEP_3)
	v_add_co_ci_u32_e32 v43, vcc_lo, s15, v43, vcc_lo
	v_add_co_u32 v22, vcc_lo, v28, v44
	s_delay_alu instid0(VALU_DEP_4)
	v_add_co_ci_u32_e32 v41, vcc_lo, v29, v45, vcc_lo
	v_add_co_u32 v2, vcc_lo, v30, v44
	v_add_co_ci_u32_e32 v21, vcc_lo, v31, v45, vcc_lo
	global_store_b32 v[42:43], v46, off
	s_and_saveexec_b32 s25, s23
	s_cbranch_execz .LBB41_24
; %bb.21:                               ;   in Loop: Header=BB41_11 Depth=1
	s_and_b32 vcc_lo, exec_lo, s19
	s_cbranch_vccz .LBB41_51
; %bb.22:                               ;   in Loop: Header=BB41_11 Depth=1
	ds_load_b32 v44, v37
	v_add_co_u32 v42, vcc_lo, v22, v4
	v_add_co_ci_u32_e32 v43, vcc_lo, v41, v5, vcc_lo
	s_waitcnt lgkmcnt(0)
	global_store_b32 v[42:43], v44, off
	s_cbranch_execnz .LBB41_24
.LBB41_23:                              ;   in Loop: Header=BB41_11 Depth=1
	ds_load_b32 v44, v37
	v_lshlrev_b32_e32 v42, 2, v0
	s_delay_alu instid0(VALU_DEP_1)
	v_add_co_u32 v42, vcc_lo, v2, v42
	v_add_co_ci_u32_e32 v43, vcc_lo, 0, v21, vcc_lo
	s_waitcnt lgkmcnt(0)
	global_store_b32 v[42:43], v44, off
.LBB41_24:                              ;   in Loop: Header=BB41_11 Depth=1
	s_or_b32 exec_lo, exec_lo, s25
	s_and_saveexec_b32 s25, s1
	s_cbranch_execz .LBB41_28
; %bb.25:                               ;   in Loop: Header=BB41_11 Depth=1
	s_and_not1_b32 vcc_lo, exec_lo, s19
	s_cbranch_vccnz .LBB41_52
; %bb.26:                               ;   in Loop: Header=BB41_11 Depth=1
	ds_load_b32 v44, v37 offset:8
	v_add_co_u32 v42, vcc_lo, v22, v6
	v_add_co_ci_u32_e32 v43, vcc_lo, v41, v7, vcc_lo
	s_waitcnt lgkmcnt(0)
	global_store_b32 v[42:43], v44, off
	s_cbranch_execnz .LBB41_28
.LBB41_27:                              ;   in Loop: Header=BB41_11 Depth=1
	ds_load_b32 v44, v37 offset:8
	v_lshlrev_b32_e32 v42, 2, v0
	s_delay_alu instid0(VALU_DEP_1)
	v_add_co_u32 v42, vcc_lo, v2, v42
	v_add_co_ci_u32_e32 v43, vcc_lo, 0, v21, vcc_lo
	s_waitcnt lgkmcnt(0)
	global_store_b32 v[42:43], v44, off offset:8
.LBB41_28:                              ;   in Loop: Header=BB41_11 Depth=1
	s_or_b32 exec_lo, exec_lo, s25
	s_and_saveexec_b32 s25, s2
	s_cbranch_execz .LBB41_32
; %bb.29:                               ;   in Loop: Header=BB41_11 Depth=1
	s_and_not1_b32 vcc_lo, exec_lo, s19
	s_cbranch_vccnz .LBB41_53
; %bb.30:                               ;   in Loop: Header=BB41_11 Depth=1
	ds_load_b32 v44, v37 offset:16
	v_add_co_u32 v42, vcc_lo, v22, v8
	v_add_co_ci_u32_e32 v43, vcc_lo, v41, v9, vcc_lo
	s_waitcnt lgkmcnt(0)
	global_store_b32 v[42:43], v44, off
	s_cbranch_execnz .LBB41_32
.LBB41_31:                              ;   in Loop: Header=BB41_11 Depth=1
	ds_load_b32 v44, v37 offset:16
	v_lshlrev_b32_e32 v42, 2, v0
	s_delay_alu instid0(VALU_DEP_1)
	v_add_co_u32 v42, vcc_lo, v2, v42
	v_add_co_ci_u32_e32 v43, vcc_lo, 0, v21, vcc_lo
	s_waitcnt lgkmcnt(0)
	global_store_b32 v[42:43], v44, off offset:16
.LBB41_32:                              ;   in Loop: Header=BB41_11 Depth=1
	s_or_b32 exec_lo, exec_lo, s25
	s_and_saveexec_b32 s25, s3
	s_cbranch_execz .LBB41_36
; %bb.33:                               ;   in Loop: Header=BB41_11 Depth=1
	s_and_not1_b32 vcc_lo, exec_lo, s19
	s_cbranch_vccnz .LBB41_54
; %bb.34:                               ;   in Loop: Header=BB41_11 Depth=1
	ds_load_b32 v44, v37 offset:24
	v_add_co_u32 v42, vcc_lo, v22, v10
	v_add_co_ci_u32_e32 v43, vcc_lo, v41, v11, vcc_lo
	s_waitcnt lgkmcnt(0)
	global_store_b32 v[42:43], v44, off
	s_cbranch_execnz .LBB41_36
.LBB41_35:                              ;   in Loop: Header=BB41_11 Depth=1
	ds_load_b32 v44, v37 offset:24
	v_lshlrev_b32_e32 v42, 2, v0
	s_delay_alu instid0(VALU_DEP_1)
	v_add_co_u32 v42, vcc_lo, v2, v42
	v_add_co_ci_u32_e32 v43, vcc_lo, 0, v21, vcc_lo
	s_waitcnt lgkmcnt(0)
	global_store_b32 v[42:43], v44, off offset:24
.LBB41_36:                              ;   in Loop: Header=BB41_11 Depth=1
	s_or_b32 exec_lo, exec_lo, s25
	s_and_saveexec_b32 s25, s4
	s_cbranch_execz .LBB41_40
; %bb.37:                               ;   in Loop: Header=BB41_11 Depth=1
	s_and_not1_b32 vcc_lo, exec_lo, s19
	s_cbranch_vccnz .LBB41_55
; %bb.38:                               ;   in Loop: Header=BB41_11 Depth=1
	ds_load_b32 v44, v37 offset:32
	v_add_co_u32 v42, vcc_lo, v22, v12
	v_add_co_ci_u32_e32 v43, vcc_lo, v41, v13, vcc_lo
	s_waitcnt lgkmcnt(0)
	global_store_b32 v[42:43], v44, off
	s_cbranch_execnz .LBB41_40
.LBB41_39:                              ;   in Loop: Header=BB41_11 Depth=1
	ds_load_b32 v44, v37 offset:32
	v_lshlrev_b32_e32 v42, 2, v0
	s_delay_alu instid0(VALU_DEP_1)
	v_add_co_u32 v42, vcc_lo, v2, v42
	v_add_co_ci_u32_e32 v43, vcc_lo, 0, v21, vcc_lo
	s_waitcnt lgkmcnt(0)
	global_store_b32 v[42:43], v44, off offset:32
.LBB41_40:                              ;   in Loop: Header=BB41_11 Depth=1
	s_or_b32 exec_lo, exec_lo, s25
	s_and_saveexec_b32 s25, s5
	s_cbranch_execz .LBB41_44
; %bb.41:                               ;   in Loop: Header=BB41_11 Depth=1
	s_and_not1_b32 vcc_lo, exec_lo, s19
	s_cbranch_vccnz .LBB41_56
; %bb.42:                               ;   in Loop: Header=BB41_11 Depth=1
	ds_load_b32 v44, v37 offset:40
	v_add_co_u32 v42, vcc_lo, v22, v14
	v_add_co_ci_u32_e32 v43, vcc_lo, v41, v15, vcc_lo
	s_waitcnt lgkmcnt(0)
	global_store_b32 v[42:43], v44, off
	s_cbranch_execnz .LBB41_44
.LBB41_43:                              ;   in Loop: Header=BB41_11 Depth=1
	ds_load_b32 v44, v37 offset:40
	v_lshlrev_b32_e32 v42, 2, v0
	s_delay_alu instid0(VALU_DEP_1)
	v_add_co_u32 v42, vcc_lo, v2, v42
	v_add_co_ci_u32_e32 v43, vcc_lo, 0, v21, vcc_lo
	s_waitcnt lgkmcnt(0)
	global_store_b32 v[42:43], v44, off offset:40
.LBB41_44:                              ;   in Loop: Header=BB41_11 Depth=1
	s_or_b32 exec_lo, exec_lo, s25
	s_and_saveexec_b32 s25, s6
	s_cbranch_execz .LBB41_48
; %bb.45:                               ;   in Loop: Header=BB41_11 Depth=1
	s_and_not1_b32 vcc_lo, exec_lo, s19
	s_cbranch_vccnz .LBB41_57
; %bb.46:                               ;   in Loop: Header=BB41_11 Depth=1
	ds_load_b32 v44, v37 offset:48
	v_add_co_u32 v42, vcc_lo, v22, v16
	v_add_co_ci_u32_e32 v43, vcc_lo, v41, v17, vcc_lo
	s_waitcnt lgkmcnt(0)
	global_store_b32 v[42:43], v44, off
	s_cbranch_execnz .LBB41_48
.LBB41_47:                              ;   in Loop: Header=BB41_11 Depth=1
	ds_load_b32 v44, v37 offset:48
	v_lshlrev_b32_e32 v42, 2, v0
	s_delay_alu instid0(VALU_DEP_1)
	v_add_co_u32 v42, vcc_lo, v2, v42
	v_add_co_ci_u32_e32 v43, vcc_lo, 0, v21, vcc_lo
	s_waitcnt lgkmcnt(0)
	global_store_b32 v[42:43], v44, off offset:48
.LBB41_48:                              ;   in Loop: Header=BB41_11 Depth=1
	s_or_b32 exec_lo, exec_lo, s25
	v_mov_b32_e32 v42, 1
	s_and_saveexec_b32 s25, s7
	s_cbranch_execz .LBB41_9
; %bb.49:                               ;   in Loop: Header=BB41_11 Depth=1
	s_and_not1_b32 vcc_lo, exec_lo, s19
	s_cbranch_vccnz .LBB41_58
; %bb.50:                               ;   in Loop: Header=BB41_11 Depth=1
	ds_load_b32 v44, v37 offset:56
	v_add_co_u32 v42, vcc_lo, v22, v18
	v_add_co_ci_u32_e32 v43, vcc_lo, v41, v19, vcc_lo
	s_mov_b32 s26, 1
	s_waitcnt lgkmcnt(0)
	global_store_b32 v[42:43], v44, off
	s_cbranch_execnz .LBB41_8
	s_branch .LBB41_59
.LBB41_51:                              ;   in Loop: Header=BB41_11 Depth=1
	s_branch .LBB41_23
.LBB41_52:                              ;   in Loop: Header=BB41_11 Depth=1
	s_branch .LBB41_27
.LBB41_53:                              ;   in Loop: Header=BB41_11 Depth=1
	s_branch .LBB41_31
.LBB41_54:                              ;   in Loop: Header=BB41_11 Depth=1
	s_branch .LBB41_35
.LBB41_55:                              ;   in Loop: Header=BB41_11 Depth=1
	s_branch .LBB41_39
.LBB41_56:                              ;   in Loop: Header=BB41_11 Depth=1
	s_branch .LBB41_43
.LBB41_57:                              ;   in Loop: Header=BB41_11 Depth=1
	s_branch .LBB41_47
.LBB41_58:                              ;   in Loop: Header=BB41_11 Depth=1
                                        ; implicit-def: $sgpr26
.LBB41_59:                              ;   in Loop: Header=BB41_11 Depth=1
	ds_load_b32 v22, v37 offset:56
	v_lshlrev_b32_e32 v41, 2, v0
	s_mov_b32 s26, 1
	s_delay_alu instid0(VALU_DEP_1)
	v_add_co_u32 v41, vcc_lo, v2, v41
	v_add_co_ci_u32_e32 v42, vcc_lo, 0, v21, vcc_lo
	s_waitcnt lgkmcnt(0)
	global_store_b32 v[41:42], v22, off offset:56
	s_branch .LBB41_8
.LBB41_60:
	s_endpgm
	.section	.rodata,"a",@progbits
	.p2align	6, 0x0
	.amdhsa_kernel _ZN9rocsparseL42csr2bsr_wavefront_per_row_multipass_kernelILj256ELj32ELj16EfiiEEv20rocsparse_direction_T4_S2_S2_S2_S2_21rocsparse_index_base_PKT2_PKT3_PKS2_S3_PS4_PS7_PS2_
		.amdhsa_group_segment_fixed_size 8200
		.amdhsa_private_segment_fixed_size 0
		.amdhsa_kernarg_size 88
		.amdhsa_user_sgpr_count 15
		.amdhsa_user_sgpr_dispatch_ptr 0
		.amdhsa_user_sgpr_queue_ptr 0
		.amdhsa_user_sgpr_kernarg_segment_ptr 1
		.amdhsa_user_sgpr_dispatch_id 0
		.amdhsa_user_sgpr_private_segment_size 0
		.amdhsa_wavefront_size32 1
		.amdhsa_uses_dynamic_stack 0
		.amdhsa_enable_private_segment 0
		.amdhsa_system_sgpr_workgroup_id_x 1
		.amdhsa_system_sgpr_workgroup_id_y 0
		.amdhsa_system_sgpr_workgroup_id_z 0
		.amdhsa_system_sgpr_workgroup_info 0
		.amdhsa_system_vgpr_workitem_id 0
		.amdhsa_next_free_vgpr 48
		.amdhsa_next_free_sgpr 28
		.amdhsa_reserve_vcc 1
		.amdhsa_float_round_mode_32 0
		.amdhsa_float_round_mode_16_64 0
		.amdhsa_float_denorm_mode_32 3
		.amdhsa_float_denorm_mode_16_64 3
		.amdhsa_dx10_clamp 1
		.amdhsa_ieee_mode 1
		.amdhsa_fp16_overflow 0
		.amdhsa_workgroup_processor_mode 1
		.amdhsa_memory_ordered 1
		.amdhsa_forward_progress 0
		.amdhsa_shared_vgpr_count 0
		.amdhsa_exception_fp_ieee_invalid_op 0
		.amdhsa_exception_fp_denorm_src 0
		.amdhsa_exception_fp_ieee_div_zero 0
		.amdhsa_exception_fp_ieee_overflow 0
		.amdhsa_exception_fp_ieee_underflow 0
		.amdhsa_exception_fp_ieee_inexact 0
		.amdhsa_exception_int_div_zero 0
	.end_amdhsa_kernel
	.section	.text._ZN9rocsparseL42csr2bsr_wavefront_per_row_multipass_kernelILj256ELj32ELj16EfiiEEv20rocsparse_direction_T4_S2_S2_S2_S2_21rocsparse_index_base_PKT2_PKT3_PKS2_S3_PS4_PS7_PS2_,"axG",@progbits,_ZN9rocsparseL42csr2bsr_wavefront_per_row_multipass_kernelILj256ELj32ELj16EfiiEEv20rocsparse_direction_T4_S2_S2_S2_S2_21rocsparse_index_base_PKT2_PKT3_PKS2_S3_PS4_PS7_PS2_,comdat
.Lfunc_end41:
	.size	_ZN9rocsparseL42csr2bsr_wavefront_per_row_multipass_kernelILj256ELj32ELj16EfiiEEv20rocsparse_direction_T4_S2_S2_S2_S2_21rocsparse_index_base_PKT2_PKT3_PKS2_S3_PS4_PS7_PS2_, .Lfunc_end41-_ZN9rocsparseL42csr2bsr_wavefront_per_row_multipass_kernelILj256ELj32ELj16EfiiEEv20rocsparse_direction_T4_S2_S2_S2_S2_21rocsparse_index_base_PKT2_PKT3_PKS2_S3_PS4_PS7_PS2_
                                        ; -- End function
	.section	.AMDGPU.csdata,"",@progbits
; Kernel info:
; codeLenInByte = 2544
; NumSgprs: 30
; NumVgprs: 48
; ScratchSize: 0
; MemoryBound: 0
; FloatMode: 240
; IeeeMode: 1
; LDSByteSize: 8200 bytes/workgroup (compile time only)
; SGPRBlocks: 3
; VGPRBlocks: 5
; NumSGPRsForWavesPerEU: 30
; NumVGPRsForWavesPerEU: 48
; Occupancy: 16
; WaveLimiterHint : 0
; COMPUTE_PGM_RSRC2:SCRATCH_EN: 0
; COMPUTE_PGM_RSRC2:USER_SGPR: 15
; COMPUTE_PGM_RSRC2:TRAP_HANDLER: 0
; COMPUTE_PGM_RSRC2:TGID_X_EN: 1
; COMPUTE_PGM_RSRC2:TGID_Y_EN: 0
; COMPUTE_PGM_RSRC2:TGID_Z_EN: 0
; COMPUTE_PGM_RSRC2:TIDIG_COMP_CNT: 0
	.section	.text._ZN9rocsparseL38csr2bsr_block_per_row_multipass_kernelILj256ELj32EfiiEEv20rocsparse_direction_T3_S2_S2_S2_S2_21rocsparse_index_base_PKT1_PKT2_PKS2_S3_PS4_PS7_PS2_,"axG",@progbits,_ZN9rocsparseL38csr2bsr_block_per_row_multipass_kernelILj256ELj32EfiiEEv20rocsparse_direction_T3_S2_S2_S2_S2_21rocsparse_index_base_PKT1_PKT2_PKS2_S3_PS4_PS7_PS2_,comdat
	.globl	_ZN9rocsparseL38csr2bsr_block_per_row_multipass_kernelILj256ELj32EfiiEEv20rocsparse_direction_T3_S2_S2_S2_S2_21rocsparse_index_base_PKT1_PKT2_PKS2_S3_PS4_PS7_PS2_ ; -- Begin function _ZN9rocsparseL38csr2bsr_block_per_row_multipass_kernelILj256ELj32EfiiEEv20rocsparse_direction_T3_S2_S2_S2_S2_21rocsparse_index_base_PKT1_PKT2_PKS2_S3_PS4_PS7_PS2_
	.p2align	8
	.type	_ZN9rocsparseL38csr2bsr_block_per_row_multipass_kernelILj256ELj32EfiiEEv20rocsparse_direction_T3_S2_S2_S2_S2_21rocsparse_index_base_PKT1_PKT2_PKS2_S3_PS4_PS7_PS2_,@function
_ZN9rocsparseL38csr2bsr_block_per_row_multipass_kernelILj256ELj32EfiiEEv20rocsparse_direction_T3_S2_S2_S2_S2_21rocsparse_index_base_PKT1_PKT2_PKS2_S3_PS4_PS7_PS2_: ; @_ZN9rocsparseL38csr2bsr_block_per_row_multipass_kernelILj256ELj32EfiiEEv20rocsparse_direction_T3_S2_S2_S2_S2_21rocsparse_index_base_PKT1_PKT2_PKS2_S3_PS4_PS7_PS2_
; %bb.0:
	s_clause 0x1
	s_load_b128 s[16:19], s[0:1], 0x10
	s_load_b64 s[8:9], s[0:1], 0x0
	v_lshrrev_b32_e32 v1, 3, v0
	s_load_b64 s[6:7], s[0:1], 0x28
	s_mov_b32 s4, s15
	v_dual_mov_b32 v12, 0 :: v_dual_mov_b32 v9, 0
	s_waitcnt lgkmcnt(0)
	v_mad_u64_u32 v[2:3], null, s4, s17, v[1:2]
	v_cmp_gt_i32_e32 vcc_lo, s17, v1
	s_delay_alu instid0(VALU_DEP_2) | instskip(NEXT) | instid1(VALU_DEP_1)
	v_cmp_gt_i32_e64 s2, s9, v2
	s_and_b32 s3, vcc_lo, s2
	s_delay_alu instid0(SALU_CYCLE_1)
	s_and_saveexec_b32 s5, s3
	s_cbranch_execnz .LBB42_3
; %bb.1:
	s_or_b32 exec_lo, exec_lo, s5
	s_and_saveexec_b32 s5, s3
	s_cbranch_execnz .LBB42_4
.LBB42_2:
	s_or_b32 exec_lo, exec_lo, s5
	s_cmp_lt_i32 s16, 1
	s_cbranch_scc0 .LBB42_5
	s_branch .LBB42_41
.LBB42_3:
	v_ashrrev_i32_e32 v3, 31, v2
	s_delay_alu instid0(VALU_DEP_1) | instskip(NEXT) | instid1(VALU_DEP_1)
	v_lshlrev_b64 v[3:4], 2, v[2:3]
	v_add_co_u32 v3, s2, s6, v3
	s_delay_alu instid0(VALU_DEP_1)
	v_add_co_ci_u32_e64 v4, s2, s7, v4, s2
	global_load_b32 v3, v[3:4], off
	s_waitcnt vmcnt(0)
	v_subrev_nc_u32_e32 v9, s18, v3
	s_or_b32 exec_lo, exec_lo, s5
	s_and_saveexec_b32 s5, s3
	s_cbranch_execz .LBB42_2
.LBB42_4:
	v_ashrrev_i32_e32 v3, 31, v2
	s_delay_alu instid0(VALU_DEP_1) | instskip(NEXT) | instid1(VALU_DEP_1)
	v_lshlrev_b64 v[2:3], 2, v[2:3]
	v_add_co_u32 v2, s2, s6, v2
	s_delay_alu instid0(VALU_DEP_1)
	v_add_co_ci_u32_e64 v3, s2, s7, v3, s2
	global_load_b32 v2, v[2:3], off offset:4
	s_waitcnt vmcnt(0)
	v_subrev_nc_u32_e32 v12, s18, v2
	s_or_b32 exec_lo, exec_lo, s5
	s_cmp_lt_i32 s16, 1
	s_cbranch_scc1 .LBB42_41
.LBB42_5:
	s_clause 0x4
	s_load_b128 s[20:23], s[0:1], 0x40
	s_load_b64 s[14:15], s[0:1], 0x50
	s_load_b64 s[24:25], s[0:1], 0x20
	;; [unrolled: 1-line block ×3, first 2 shown]
	s_load_b32 s19, s[0:1], 0x38
	s_ashr_i32 s5, s4, 31
	v_mbcnt_lo_u32_b32 v3, -1, 0
	s_lshl_b64 s[0:1], s[4:5], 2
	v_dual_mov_b32 v2, 0 :: v_dual_and_b32 v13, 7, v0
	v_lshlrev_b32_e32 v15, 2, v0
	v_cmp_gt_u32_e64 s2, 32, v0
	v_cmp_gt_u32_e64 s3, 16, v0
	;; [unrolled: 1-line block ×3, first 2 shown]
	v_mov_b32_e32 v6, v2
	v_cmp_gt_u32_e64 s5, 4, v0
	v_cmp_gt_u32_e64 s6, 2, v0
	v_cmp_eq_u32_e64 s7, 0, v0
	v_xor_b32_e32 v4, 2, v3
	v_xor_b32_e32 v7, 1, v3
	s_waitcnt lgkmcnt(0)
	s_add_u32 s0, s22, s0
	s_addc_u32 s1, s23, s1
	v_dual_mov_b32 v11, v2 :: v_dual_lshlrev_b32 v14, 5, v1
	s_load_b32 s10, s[0:1], 0x0
	v_cmp_gt_u32_e64 s0, 0x80, v0
	v_cmp_gt_u32_e64 s1, 64, v0
	v_xor_b32_e32 v0, 4, v3
	v_dual_mov_b32 v16, 1 :: v_dual_lshlrev_b32 v5, 2, v1
	v_mul_lo_u32 v1, v1, s17
	v_lshl_or_b32 v17, v3, 2, 28
	v_or_b32_e32 v19, 8, v13
	v_or_b32_e32 v22, 24, v13
	;; [unrolled: 1-line block ×3, first 2 shown]
	v_lshlrev_b32_e32 v10, 2, v13
	v_or_b32_e32 v18, v14, v13
	v_cmp_gt_u32_e64 s9, s17, v13
	v_lshlrev_b64 v[24:25], 2, v[1:2]
	v_mul_lo_u32 v1, v13, s17
	v_cmp_gt_u32_e64 s12, s17, v22
	v_cmp_gt_u32_e64 s11, s17, v20
	v_lshlrev_b32_e32 v18, 2, v18
	s_mul_hi_u32 s28, s17, s17
	s_waitcnt lgkmcnt(0)
	s_sub_i32 s22, s10, s19
	s_cmp_eq_u32 s8, 0
	v_cmp_gt_i32_e64 s10, 32, v0
	s_cselect_b32 s8, -1, 0
	s_abs_i32 s30, s17
	s_lshl_b32 s23, s17, 3
	v_cvt_f32_u32_e32 v21, s30
	v_cndmask_b32_e64 v0, v3, v0, s10
	v_cmp_gt_i32_e64 s10, 32, v4
	s_sub_i32 s13, 0, s30
	s_mul_i32 s29, s17, s17
	v_rcp_iflag_f32_e32 v21, v21
	v_mov_b32_e32 v8, v2
	v_cndmask_b32_e64 v4, v3, v4, s10
	v_cmp_gt_i32_e64 s10, 32, v7
	v_mov_b32_e32 v28, 0
	s_and_b32 s11, vcc_lo, s11
	s_and_b32 s12, vcc_lo, s12
	v_lshlrev_b32_e32 v20, 2, v4
	v_cndmask_b32_e64 v3, v3, v7, s10
	v_cmp_gt_u32_e64 s10, s17, v19
	v_mul_f32_e32 v7, 0x4f7ffffe, v21
	v_lshlrev_b32_e32 v19, 2, v0
	s_delay_alu instid0(VALU_DEP_4) | instskip(SKIP_1) | instid1(VALU_DEP_4)
	v_lshlrev_b32_e32 v21, 2, v3
	v_lshlrev_b64 v[3:4], 2, v[1:2]
	v_cvt_u32_f32_e32 v26, v7
	s_and_b32 s10, vcc_lo, s10
	s_delay_alu instid0(VALU_DEP_1) | instskip(SKIP_4) | instid1(VALU_DEP_3)
	v_mul_lo_u32 v0, s13, v26
	v_add_co_u32 v22, s13, s20, v5
	v_add_nc_u32_e32 v5, s23, v1
	v_add_co_ci_u32_e64 v23, null, s21, 0, s13
	v_add_co_u32 v1, s13, s20, v24
	v_add_nc_u32_e32 v7, s23, v5
	v_mul_hi_u32 v27, v26, v0
	v_add_co_ci_u32_e64 v25, s13, s21, v25, s13
	s_delay_alu instid0(VALU_DEP_4) | instskip(NEXT) | instid1(VALU_DEP_4)
	v_add_co_u32 v24, s13, v1, v10
	v_add_nc_u32_e32 v10, s23, v7
	v_lshlrev_b64 v[0:1], 2, v[5:6]
	v_lshlrev_b64 v[5:6], 2, v[7:8]
	v_add_co_ci_u32_e64 v25, s13, 0, v25, s13
	s_delay_alu instid0(VALU_DEP_4)
	v_lshlrev_b64 v[7:8], 2, v[10:11]
	v_add_nc_u32_e32 v26, v26, v27
	s_and_b32 s13, vcc_lo, s9
	s_ashr_i32 s20, s17, 31
	s_branch .LBB42_7
.LBB42_6:                               ;   in Loop: Header=BB42_7 Depth=1
	s_or_b32 exec_lo, exec_lo, s21
	s_waitcnt lgkmcnt(0)
	s_barrier
	buffer_gl0_inv
	ds_load_b32 v28, v2
	s_add_i32 s22, s9, s22
	s_waitcnt lgkmcnt(0)
	s_barrier
	buffer_gl0_inv
	v_cmp_gt_i32_e32 vcc_lo, s16, v28
	s_cbranch_vccz .LBB42_41
.LBB42_7:                               ; =>This Loop Header: Depth=1
                                        ;     Child Loop BB42_10 Depth 2
	v_dual_mov_b32 v30, v12 :: v_dual_add_nc_u32 v9, v9, v13
	v_mov_b32_e32 v27, s16
	s_mov_b32 s21, exec_lo
	ds_store_b8 v2, v2 offset:4096
	ds_store_2addr_b32 v18, v2, v2 offset1:8
	ds_store_2addr_b32 v18, v2, v2 offset0:16 offset1:24
	s_waitcnt lgkmcnt(0)
	s_barrier
	buffer_gl0_inv
	v_cmpx_lt_i32_e64 v9, v12
	s_cbranch_execz .LBB42_15
; %bb.8:                                ;   in Loop: Header=BB42_7 Depth=1
	v_mul_lo_u32 v29, v28, s17
	v_dual_mov_b32 v27, s16 :: v_dual_mov_b32 v30, v12
	s_mov_b32 s23, 0
	s_branch .LBB42_10
.LBB42_9:                               ;   in Loop: Header=BB42_10 Depth=2
	s_or_b32 exec_lo, exec_lo, s31
	v_add_nc_u32_e32 v9, 8, v9
	s_xor_b32 s31, vcc_lo, -1
	s_delay_alu instid0(VALU_DEP_1) | instskip(NEXT) | instid1(VALU_DEP_1)
	v_cmp_ge_i32_e64 s9, v9, v12
	s_or_b32 s9, s31, s9
	s_delay_alu instid0(SALU_CYCLE_1) | instskip(NEXT) | instid1(SALU_CYCLE_1)
	s_and_b32 s9, exec_lo, s9
	s_or_b32 s23, s9, s23
	s_delay_alu instid0(SALU_CYCLE_1)
	s_and_not1_b32 exec_lo, exec_lo, s23
	s_cbranch_execz .LBB42_14
.LBB42_10:                              ;   Parent Loop BB42_7 Depth=1
                                        ; =>  This Inner Loop Header: Depth=2
	v_ashrrev_i32_e32 v10, 31, v9
	s_delay_alu instid0(VALU_DEP_1) | instskip(NEXT) | instid1(VALU_DEP_1)
	v_lshlrev_b64 v[10:11], 2, v[9:10]
	v_add_co_u32 v31, vcc_lo, s26, v10
	s_delay_alu instid0(VALU_DEP_2) | instskip(SKIP_3) | instid1(VALU_DEP_1)
	v_add_co_ci_u32_e32 v32, vcc_lo, s27, v11, vcc_lo
	global_load_b32 v31, v[31:32], off
	s_waitcnt vmcnt(0)
	v_subrev_nc_u32_e32 v31, s18, v31
	v_sub_nc_u32_e32 v32, 0, v31
	s_delay_alu instid0(VALU_DEP_1) | instskip(NEXT) | instid1(VALU_DEP_1)
	v_max_i32_e32 v32, v31, v32
	v_mul_hi_u32 v33, v32, v26
	s_delay_alu instid0(VALU_DEP_1) | instskip(NEXT) | instid1(VALU_DEP_1)
	v_mul_lo_u32 v34, v33, s30
	v_sub_nc_u32_e32 v32, v32, v34
	v_add_nc_u32_e32 v34, 1, v33
	s_delay_alu instid0(VALU_DEP_2) | instskip(SKIP_1) | instid1(VALU_DEP_2)
	v_subrev_nc_u32_e32 v35, s30, v32
	v_cmp_le_u32_e32 vcc_lo, s30, v32
	v_dual_cndmask_b32 v33, v33, v34 :: v_dual_cndmask_b32 v32, v32, v35
	v_ashrrev_i32_e32 v34, 31, v31
	s_delay_alu instid0(VALU_DEP_2) | instskip(NEXT) | instid1(VALU_DEP_3)
	v_add_nc_u32_e32 v35, 1, v33
	v_cmp_le_u32_e32 vcc_lo, s30, v32
	s_delay_alu instid0(VALU_DEP_3) | instskip(NEXT) | instid1(VALU_DEP_3)
	v_xor_b32_e32 v34, s20, v34
	v_cndmask_b32_e32 v32, v33, v35, vcc_lo
	s_delay_alu instid0(VALU_DEP_1) | instskip(NEXT) | instid1(VALU_DEP_1)
	v_xor_b32_e32 v32, v32, v34
	v_sub_nc_u32_e32 v33, v32, v34
	v_mov_b32_e32 v32, v30
	s_delay_alu instid0(VALU_DEP_2) | instskip(SKIP_1) | instid1(VALU_DEP_1)
	v_cmp_eq_u32_e32 vcc_lo, v33, v28
	v_cmp_ne_u32_e64 s9, v33, v28
	s_and_saveexec_b32 s31, s9
	s_delay_alu instid0(SALU_CYCLE_1)
	s_xor_b32 s9, exec_lo, s31
; %bb.11:                               ;   in Loop: Header=BB42_10 Depth=2
	v_min_i32_e32 v27, v33, v27
                                        ; implicit-def: $vgpr10_vgpr11
                                        ; implicit-def: $vgpr31
                                        ; implicit-def: $vgpr32
; %bb.12:                               ;   in Loop: Header=BB42_10 Depth=2
	s_or_saveexec_b32 s31, s9
	v_mov_b32_e32 v30, v9
	s_xor_b32 exec_lo, exec_lo, s31
	s_cbranch_execz .LBB42_9
; %bb.13:                               ;   in Loop: Header=BB42_10 Depth=2
	v_add_co_u32 v10, s9, s24, v10
	s_delay_alu instid0(VALU_DEP_1) | instskip(SKIP_3) | instid1(VALU_DEP_1)
	v_add_co_ci_u32_e64 v11, s9, s25, v11, s9
	v_mov_b32_e32 v30, v32
	global_load_b32 v10, v[10:11], off
	v_sub_nc_u32_e32 v11, v31, v29
	v_add_lshl_u32 v11, v11, v14, 2
	ds_store_b8 v2, v16 offset:4096
	s_waitcnt vmcnt(0)
	ds_store_b32 v11, v10
	s_branch .LBB42_9
.LBB42_14:                              ;   in Loop: Header=BB42_7 Depth=1
	s_or_b32 exec_lo, exec_lo, s23
.LBB42_15:                              ;   in Loop: Header=BB42_7 Depth=1
	s_delay_alu instid0(SALU_CYCLE_1)
	s_or_b32 exec_lo, exec_lo, s21
	ds_bpermute_b32 v9, v19, v30
	s_waitcnt lgkmcnt(0)
	s_barrier
	buffer_gl0_inv
	ds_load_u8 v11, v2 offset:4096
	s_mov_b32 s9, 0
	v_min_i32_e32 v9, v9, v30
	s_waitcnt lgkmcnt(0)
	v_cmp_eq_u32_e32 vcc_lo, 0, v11
	ds_bpermute_b32 v10, v20, v9
	s_and_b32 vcc_lo, exec_lo, vcc_lo
	s_waitcnt lgkmcnt(0)
	v_min_i32_e32 v9, v10, v9
	ds_bpermute_b32 v10, v21, v9
	s_waitcnt lgkmcnt(0)
	v_min_i32_e32 v9, v10, v9
	ds_bpermute_b32 v9, v17, v9
	s_cbranch_vccnz .LBB42_22
; %bb.16:                               ;   in Loop: Header=BB42_7 Depth=1
	s_ashr_i32 s23, s22, 31
	s_mul_hi_u32 s9, s29, s22
	s_lshl_b64 s[34:35], s[22:23], 2
	s_mul_i32 s21, s29, s23
	s_add_u32 s34, s14, s34
	s_addc_u32 s35, s15, s35
	s_add_i32 s9, s9, s21
	s_mul_i32 s21, s28, s22
	s_mul_i32 s36, s29, s22
	s_add_i32 s37, s9, s21
	v_add_nc_u32_e32 v30, s19, v28
	s_lshl_b64 s[36:37], s[36:37], 2
	s_delay_alu instid0(SALU_CYCLE_1)
	v_add_co_u32 v10, vcc_lo, v22, s36
	v_add_co_ci_u32_e32 v11, vcc_lo, s37, v23, vcc_lo
	v_add_co_u32 v28, vcc_lo, v24, s36
	v_add_co_ci_u32_e32 v29, vcc_lo, s37, v25, vcc_lo
	global_store_b32 v2, v30, s[34:35]
	s_and_saveexec_b32 s9, s13
	s_cbranch_execnz .LBB42_38
; %bb.17:                               ;   in Loop: Header=BB42_7 Depth=1
	s_or_b32 exec_lo, exec_lo, s9
	s_and_saveexec_b32 s9, s10
	s_cbranch_execnz .LBB42_39
.LBB42_18:                              ;   in Loop: Header=BB42_7 Depth=1
	s_or_b32 exec_lo, exec_lo, s9
	s_and_saveexec_b32 s9, s11
	s_cbranch_execnz .LBB42_40
.LBB42_19:                              ;   in Loop: Header=BB42_7 Depth=1
	s_or_b32 exec_lo, exec_lo, s9
	s_and_saveexec_b32 s9, s12
	s_cbranch_execz .LBB42_21
.LBB42_20:                              ;   in Loop: Header=BB42_7 Depth=1
	ds_load_b32 v30, v18 offset:96
	v_add_co_u32 v28, vcc_lo, 0x60, v28
	v_add_co_ci_u32_e32 v29, vcc_lo, 0, v29, vcc_lo
	v_add_co_u32 v10, vcc_lo, v10, v7
	v_add_co_ci_u32_e32 v11, vcc_lo, v11, v8, vcc_lo
	s_delay_alu instid0(VALU_DEP_2) | instskip(NEXT) | instid1(VALU_DEP_2)
	v_cndmask_b32_e64 v10, v10, v28, s8
	v_cndmask_b32_e64 v11, v11, v29, s8
	s_waitcnt lgkmcnt(0)
	global_store_b32 v[10:11], v30, off
.LBB42_21:                              ;   in Loop: Header=BB42_7 Depth=1
	s_or_b32 exec_lo, exec_lo, s9
	s_mov_b32 s9, 1
.LBB42_22:                              ;   in Loop: Header=BB42_7 Depth=1
	s_waitcnt lgkmcnt(0)
	s_waitcnt_vscnt null, 0x0
	s_barrier
	buffer_gl0_inv
	ds_store_b32 v15, v27
	s_waitcnt lgkmcnt(0)
	s_barrier
	buffer_gl0_inv
	s_and_saveexec_b32 s21, s0
	s_cbranch_execz .LBB42_24
; %bb.23:                               ;   in Loop: Header=BB42_7 Depth=1
	ds_load_2addr_stride64_b32 v[10:11], v15 offset1:2
	s_waitcnt lgkmcnt(0)
	v_min_i32_e32 v10, v11, v10
	ds_store_b32 v15, v10
.LBB42_24:                              ;   in Loop: Header=BB42_7 Depth=1
	s_or_b32 exec_lo, exec_lo, s21
	s_waitcnt lgkmcnt(0)
	s_barrier
	buffer_gl0_inv
	s_and_saveexec_b32 s21, s1
	s_cbranch_execz .LBB42_26
; %bb.25:                               ;   in Loop: Header=BB42_7 Depth=1
	ds_load_2addr_stride64_b32 v[10:11], v15 offset1:1
	s_waitcnt lgkmcnt(0)
	v_min_i32_e32 v10, v11, v10
	ds_store_b32 v15, v10
.LBB42_26:                              ;   in Loop: Header=BB42_7 Depth=1
	s_or_b32 exec_lo, exec_lo, s21
	s_waitcnt lgkmcnt(0)
	s_barrier
	buffer_gl0_inv
	s_and_saveexec_b32 s21, s2
	s_cbranch_execz .LBB42_28
; %bb.27:                               ;   in Loop: Header=BB42_7 Depth=1
	ds_load_2addr_b32 v[10:11], v15 offset1:32
	s_waitcnt lgkmcnt(0)
	v_min_i32_e32 v10, v11, v10
	ds_store_b32 v15, v10
.LBB42_28:                              ;   in Loop: Header=BB42_7 Depth=1
	s_or_b32 exec_lo, exec_lo, s21
	s_waitcnt lgkmcnt(0)
	s_barrier
	buffer_gl0_inv
	s_and_saveexec_b32 s21, s3
	s_cbranch_execz .LBB42_30
; %bb.29:                               ;   in Loop: Header=BB42_7 Depth=1
	ds_load_2addr_b32 v[10:11], v15 offset1:16
	s_waitcnt lgkmcnt(0)
	v_min_i32_e32 v10, v11, v10
	ds_store_b32 v15, v10
.LBB42_30:                              ;   in Loop: Header=BB42_7 Depth=1
	;; [unrolled: 12-line block ×5, first 2 shown]
	s_or_b32 exec_lo, exec_lo, s21
	s_waitcnt lgkmcnt(0)
	s_barrier
	buffer_gl0_inv
	s_and_saveexec_b32 s21, s7
	s_cbranch_execz .LBB42_6
; %bb.37:                               ;   in Loop: Header=BB42_7 Depth=1
	ds_load_b64 v[10:11], v2
	s_waitcnt lgkmcnt(0)
	v_min_i32_e32 v10, v11, v10
	ds_store_b32 v2, v10
	s_branch .LBB42_6
.LBB42_38:                              ;   in Loop: Header=BB42_7 Depth=1
	ds_load_b32 v32, v18
	v_add_co_u32 v30, vcc_lo, v10, v3
	v_add_co_ci_u32_e32 v31, vcc_lo, v11, v4, vcc_lo
	s_delay_alu instid0(VALU_DEP_2) | instskip(NEXT) | instid1(VALU_DEP_2)
	v_cndmask_b32_e64 v30, v30, v28, s8
	v_cndmask_b32_e64 v31, v31, v29, s8
	s_waitcnt lgkmcnt(0)
	global_store_b32 v[30:31], v32, off
	s_or_b32 exec_lo, exec_lo, s9
	s_and_saveexec_b32 s9, s10
	s_cbranch_execz .LBB42_18
.LBB42_39:                              ;   in Loop: Header=BB42_7 Depth=1
	ds_load_b32 v32, v18 offset:32
	v_add_co_u32 v30, vcc_lo, v28, 32
	v_add_co_ci_u32_e32 v31, vcc_lo, 0, v29, vcc_lo
	v_add_co_u32 v33, vcc_lo, v10, v0
	v_add_co_ci_u32_e32 v34, vcc_lo, v11, v1, vcc_lo
	s_delay_alu instid0(VALU_DEP_2) | instskip(NEXT) | instid1(VALU_DEP_2)
	v_cndmask_b32_e64 v30, v33, v30, s8
	v_cndmask_b32_e64 v31, v34, v31, s8
	s_waitcnt lgkmcnt(0)
	global_store_b32 v[30:31], v32, off
	s_or_b32 exec_lo, exec_lo, s9
	s_and_saveexec_b32 s9, s11
	s_cbranch_execz .LBB42_19
.LBB42_40:                              ;   in Loop: Header=BB42_7 Depth=1
	ds_load_b32 v32, v18 offset:64
	v_add_co_u32 v30, vcc_lo, v28, 64
	v_add_co_ci_u32_e32 v31, vcc_lo, 0, v29, vcc_lo
	v_add_co_u32 v33, vcc_lo, v10, v5
	v_add_co_ci_u32_e32 v34, vcc_lo, v11, v6, vcc_lo
	s_delay_alu instid0(VALU_DEP_2) | instskip(NEXT) | instid1(VALU_DEP_2)
	v_cndmask_b32_e64 v30, v33, v30, s8
	v_cndmask_b32_e64 v31, v34, v31, s8
	s_waitcnt lgkmcnt(0)
	global_store_b32 v[30:31], v32, off
	s_or_b32 exec_lo, exec_lo, s9
	s_and_saveexec_b32 s9, s12
	s_cbranch_execnz .LBB42_20
	s_branch .LBB42_21
.LBB42_41:
	s_endpgm
	.section	.rodata,"a",@progbits
	.p2align	6, 0x0
	.amdhsa_kernel _ZN9rocsparseL38csr2bsr_block_per_row_multipass_kernelILj256ELj32EfiiEEv20rocsparse_direction_T3_S2_S2_S2_S2_21rocsparse_index_base_PKT1_PKT2_PKS2_S3_PS4_PS7_PS2_
		.amdhsa_group_segment_fixed_size 4100
		.amdhsa_private_segment_fixed_size 0
		.amdhsa_kernarg_size 88
		.amdhsa_user_sgpr_count 15
		.amdhsa_user_sgpr_dispatch_ptr 0
		.amdhsa_user_sgpr_queue_ptr 0
		.amdhsa_user_sgpr_kernarg_segment_ptr 1
		.amdhsa_user_sgpr_dispatch_id 0
		.amdhsa_user_sgpr_private_segment_size 0
		.amdhsa_wavefront_size32 1
		.amdhsa_uses_dynamic_stack 0
		.amdhsa_enable_private_segment 0
		.amdhsa_system_sgpr_workgroup_id_x 1
		.amdhsa_system_sgpr_workgroup_id_y 0
		.amdhsa_system_sgpr_workgroup_id_z 0
		.amdhsa_system_sgpr_workgroup_info 0
		.amdhsa_system_vgpr_workitem_id 0
		.amdhsa_next_free_vgpr 36
		.amdhsa_next_free_sgpr 38
		.amdhsa_reserve_vcc 1
		.amdhsa_float_round_mode_32 0
		.amdhsa_float_round_mode_16_64 0
		.amdhsa_float_denorm_mode_32 3
		.amdhsa_float_denorm_mode_16_64 3
		.amdhsa_dx10_clamp 1
		.amdhsa_ieee_mode 1
		.amdhsa_fp16_overflow 0
		.amdhsa_workgroup_processor_mode 1
		.amdhsa_memory_ordered 1
		.amdhsa_forward_progress 0
		.amdhsa_shared_vgpr_count 0
		.amdhsa_exception_fp_ieee_invalid_op 0
		.amdhsa_exception_fp_denorm_src 0
		.amdhsa_exception_fp_ieee_div_zero 0
		.amdhsa_exception_fp_ieee_overflow 0
		.amdhsa_exception_fp_ieee_underflow 0
		.amdhsa_exception_fp_ieee_inexact 0
		.amdhsa_exception_int_div_zero 0
	.end_amdhsa_kernel
	.section	.text._ZN9rocsparseL38csr2bsr_block_per_row_multipass_kernelILj256ELj32EfiiEEv20rocsparse_direction_T3_S2_S2_S2_S2_21rocsparse_index_base_PKT1_PKT2_PKS2_S3_PS4_PS7_PS2_,"axG",@progbits,_ZN9rocsparseL38csr2bsr_block_per_row_multipass_kernelILj256ELj32EfiiEEv20rocsparse_direction_T3_S2_S2_S2_S2_21rocsparse_index_base_PKT1_PKT2_PKS2_S3_PS4_PS7_PS2_,comdat
.Lfunc_end42:
	.size	_ZN9rocsparseL38csr2bsr_block_per_row_multipass_kernelILj256ELj32EfiiEEv20rocsparse_direction_T3_S2_S2_S2_S2_21rocsparse_index_base_PKT1_PKT2_PKS2_S3_PS4_PS7_PS2_, .Lfunc_end42-_ZN9rocsparseL38csr2bsr_block_per_row_multipass_kernelILj256ELj32EfiiEEv20rocsparse_direction_T3_S2_S2_S2_S2_21rocsparse_index_base_PKT1_PKT2_PKS2_S3_PS4_PS7_PS2_
                                        ; -- End function
	.section	.AMDGPU.csdata,"",@progbits
; Kernel info:
; codeLenInByte = 2248
; NumSgprs: 40
; NumVgprs: 36
; ScratchSize: 0
; MemoryBound: 0
; FloatMode: 240
; IeeeMode: 1
; LDSByteSize: 4100 bytes/workgroup (compile time only)
; SGPRBlocks: 4
; VGPRBlocks: 4
; NumSGPRsForWavesPerEU: 40
; NumVGPRsForWavesPerEU: 36
; Occupancy: 16
; WaveLimiterHint : 0
; COMPUTE_PGM_RSRC2:SCRATCH_EN: 0
; COMPUTE_PGM_RSRC2:USER_SGPR: 15
; COMPUTE_PGM_RSRC2:TRAP_HANDLER: 0
; COMPUTE_PGM_RSRC2:TGID_X_EN: 1
; COMPUTE_PGM_RSRC2:TGID_Y_EN: 0
; COMPUTE_PGM_RSRC2:TGID_Z_EN: 0
; COMPUTE_PGM_RSRC2:TIDIG_COMP_CNT: 0
	.section	.text._ZN9rocsparseL38csr2bsr_block_per_row_multipass_kernelILj256ELj64EfiiEEv20rocsparse_direction_T3_S2_S2_S2_S2_21rocsparse_index_base_PKT1_PKT2_PKS2_S3_PS4_PS7_PS2_,"axG",@progbits,_ZN9rocsparseL38csr2bsr_block_per_row_multipass_kernelILj256ELj64EfiiEEv20rocsparse_direction_T3_S2_S2_S2_S2_21rocsparse_index_base_PKT1_PKT2_PKS2_S3_PS4_PS7_PS2_,comdat
	.globl	_ZN9rocsparseL38csr2bsr_block_per_row_multipass_kernelILj256ELj64EfiiEEv20rocsparse_direction_T3_S2_S2_S2_S2_21rocsparse_index_base_PKT1_PKT2_PKS2_S3_PS4_PS7_PS2_ ; -- Begin function _ZN9rocsparseL38csr2bsr_block_per_row_multipass_kernelILj256ELj64EfiiEEv20rocsparse_direction_T3_S2_S2_S2_S2_21rocsparse_index_base_PKT1_PKT2_PKS2_S3_PS4_PS7_PS2_
	.p2align	8
	.type	_ZN9rocsparseL38csr2bsr_block_per_row_multipass_kernelILj256ELj64EfiiEEv20rocsparse_direction_T3_S2_S2_S2_S2_21rocsparse_index_base_PKT1_PKT2_PKS2_S3_PS4_PS7_PS2_,@function
_ZN9rocsparseL38csr2bsr_block_per_row_multipass_kernelILj256ELj64EfiiEEv20rocsparse_direction_T3_S2_S2_S2_S2_21rocsparse_index_base_PKT1_PKT2_PKS2_S3_PS4_PS7_PS2_: ; @_ZN9rocsparseL38csr2bsr_block_per_row_multipass_kernelILj256ELj64EfiiEEv20rocsparse_direction_T3_S2_S2_S2_S2_21rocsparse_index_base_PKT1_PKT2_PKS2_S3_PS4_PS7_PS2_
; %bb.0:
	s_mov_b32 s10, s15
	s_clause 0x1
	s_load_b128 s[12:15], s[0:1], 0x10
	s_load_b64 s[8:9], s[0:1], 0x0
	v_lshrrev_b32_e32 v1, 2, v0
	s_load_b64 s[4:5], s[0:1], 0x28
	v_dual_mov_b32 v36, 0 :: v_dual_mov_b32 v33, 0
	s_waitcnt lgkmcnt(0)
	s_delay_alu instid0(VALU_DEP_2) | instskip(SKIP_1) | instid1(VALU_DEP_2)
	v_mad_u64_u32 v[2:3], null, s10, s13, v[1:2]
	v_cmp_gt_i32_e32 vcc_lo, s13, v1
	v_cmp_gt_i32_e64 s2, s9, v2
	s_delay_alu instid0(VALU_DEP_1) | instskip(NEXT) | instid1(SALU_CYCLE_1)
	s_and_b32 s3, vcc_lo, s2
	s_and_saveexec_b32 s6, s3
	s_cbranch_execnz .LBB43_3
; %bb.1:
	s_or_b32 exec_lo, exec_lo, s6
	s_and_saveexec_b32 s6, s3
	s_cbranch_execnz .LBB43_4
.LBB43_2:
	s_or_b32 exec_lo, exec_lo, s6
	s_cmp_lt_i32 s12, 1
	s_cbranch_scc0 .LBB43_5
	s_branch .LBB43_65
.LBB43_3:
	v_ashrrev_i32_e32 v3, 31, v2
	s_delay_alu instid0(VALU_DEP_1) | instskip(NEXT) | instid1(VALU_DEP_1)
	v_lshlrev_b64 v[3:4], 2, v[2:3]
	v_add_co_u32 v3, s2, s4, v3
	s_delay_alu instid0(VALU_DEP_1)
	v_add_co_ci_u32_e64 v4, s2, s5, v4, s2
	global_load_b32 v3, v[3:4], off
	s_waitcnt vmcnt(0)
	v_subrev_nc_u32_e32 v33, s14, v3
	s_or_b32 exec_lo, exec_lo, s6
	s_and_saveexec_b32 s6, s3
	s_cbranch_execz .LBB43_2
.LBB43_4:
	v_ashrrev_i32_e32 v3, 31, v2
	s_delay_alu instid0(VALU_DEP_1) | instskip(NEXT) | instid1(VALU_DEP_1)
	v_lshlrev_b64 v[2:3], 2, v[2:3]
	v_add_co_u32 v2, s2, s4, v2
	s_delay_alu instid0(VALU_DEP_1)
	v_add_co_ci_u32_e64 v3, s2, s5, v3, s2
	global_load_b32 v2, v[2:3], off offset:4
	s_waitcnt vmcnt(0)
	v_subrev_nc_u32_e32 v36, s14, v2
	s_or_b32 exec_lo, exec_lo, s6
	s_cmp_lt_i32 s12, 1
	s_cbranch_scc1 .LBB43_65
.LBB43_5:
	s_clause 0x4
	s_load_b128 s[4:7], s[0:1], 0x40
	s_load_b64 s[16:17], s[0:1], 0x50
	s_load_b64 s[18:19], s[0:1], 0x20
	;; [unrolled: 1-line block ×3, first 2 shown]
	s_load_b32 s15, s[0:1], 0x38
	v_mbcnt_lo_u32_b32 v3, -1, 0
	s_ashr_i32 s11, s10, 31
	v_dual_mov_b32 v2, 0 :: v_dual_and_b32 v37, 3, v0
	s_lshl_b64 s[0:1], s[10:11], 2
	s_delay_alu instid0(VALU_DEP_2) | instskip(SKIP_3) | instid1(VALU_DEP_4)
	v_xor_b32_e32 v4, 2, v3
	v_xor_b32_e32 v6, 1, v3
	v_dual_mov_b32 v49, 1 :: v_dual_lshlrev_b32 v38, 6, v1
	v_lshlrev_b32_e32 v5, 2, v1
	v_cmp_gt_i32_e64 s2, 32, v4
	v_mul_lo_u32 v1, v1, s13
	v_lshl_or_b32 v40, v3, 2, 12
	v_dual_mov_b32 v51, 0 :: v_dual_lshlrev_b32 v8, 2, v37
	s_waitcnt lgkmcnt(0)
	s_add_u32 s0, s6, s0
	s_addc_u32 s1, s7, s1
	v_cndmask_b32_e64 v7, v3, v4, s2
	s_load_b32 s3, s[0:1], 0x0
	v_cmp_gt_i32_e64 s2, 32, v6
	v_lshlrev_b32_e32 v39, 2, v0
	v_cmp_gt_u32_e64 s0, 0x80, v0
	v_cmp_gt_u32_e64 s1, 64, v0
	v_cmp_gt_u32_e64 s6, 4, v0
	v_cndmask_b32_e64 v6, v3, v6, s2
	v_lshlrev_b64 v[3:4], 2, v[1:2]
	v_add_co_u32 v43, s2, s4, v5
	s_delay_alu instid0(VALU_DEP_1) | instskip(SKIP_1) | instid1(VALU_DEP_4)
	v_add_co_ci_u32_e64 v44, null, s5, 0, s2
	v_cmp_gt_u32_e64 s7, 2, v0
	v_add_co_u32 v1, s2, s4, v3
	s_delay_alu instid0(VALU_DEP_1) | instskip(SKIP_1) | instid1(VALU_DEP_3)
	v_add_co_ci_u32_e64 v3, s2, s5, v4, s2
	v_cmp_gt_u32_e64 s4, 16, v0
	v_add_co_u32 v45, s2, v1, v8
	s_waitcnt lgkmcnt(0)
	s_sub_i32 s22, s3, s15
	s_cmp_eq_u32 s8, 0
	v_cmp_gt_u32_e64 s3, 32, v0
	v_cmp_gt_u32_e64 s5, 8, v0
	v_cmp_eq_u32_e64 s8, 0, v0
	v_or_b32_e32 v0, 4, v37
	v_cmp_gt_u32_e64 s9, s13, v37
	v_mul_lo_u32 v1, v37, s13
	v_or_b32_e32 v4, 8, v37
	v_add_co_ci_u32_e64 v46, s2, 0, v3, s2
	v_or_b32_e32 v3, v38, v37
	s_cselect_b32 s2, -1, 0
	v_cmp_gt_u32_e64 s10, s13, v0
	s_and_b32 s11, vcc_lo, s9
	v_cmp_gt_u32_e64 s9, s13, v4
	v_or_b32_e32 v0, 12, v37
	s_lshl_b32 s23, s13, 2
	v_dual_mov_b32 v10, v2 :: v_dual_lshlrev_b32 v47, 2, v3
	v_dual_mov_b32 v12, v2 :: v_dual_add_nc_u32 v3, s23, v1
	s_and_b32 s27, vcc_lo, s9
	v_cmp_gt_u32_e64 s9, s13, v0
	v_or_b32_e32 v0, 20, v37
	v_dual_mov_b32 v8, v2 :: v_dual_lshlrev_b32 v41, 2, v7
	v_or_b32_e32 v7, 16, v37
	v_dual_mov_b32 v14, v2 :: v_dual_add_nc_u32 v5, s23, v3
	s_and_b32 s28, vcc_lo, s9
	v_cmp_gt_u32_e64 s9, s13, v0
	v_or_b32_e32 v0, 24, v37
	s_and_b32 s26, vcc_lo, s10
	v_cmp_gt_u32_e64 s10, s13, v7
	v_dual_mov_b32 v16, v2 :: v_dual_add_nc_u32 v7, s23, v5
	s_and_b32 s30, vcc_lo, s9
	v_cmp_gt_u32_e64 s9, s13, v0
	v_or_b32_e32 v0, 32, v37
	s_delay_alu instid0(VALU_DEP_3)
	v_dual_mov_b32 v18, v2 :: v_dual_add_nc_u32 v9, s23, v7
	v_or_b32_e32 v13, 28, v37
	s_abs_i32 s35, s13
	s_and_b32 s31, vcc_lo, s9
	v_cmp_gt_u32_e64 s9, s13, v0
	v_or_b32_e32 v0, 36, v37
	v_cvt_f32_u32_e32 v19, s35
	s_and_b32 s29, vcc_lo, s10
	v_add_nc_u32_e32 v11, s23, v9
	v_cmp_gt_u32_e64 s10, s13, v13
	v_or_b32_e32 v20, 40, v37
	s_and_b32 s34, vcc_lo, s9
	v_cmp_gt_u32_e64 s9, s13, v0
	v_rcp_iflag_f32_e32 v0, v19
	s_and_b32 s33, vcc_lo, s10
	v_cmp_gt_u32_e64 s10, s13, v20
	v_dual_mov_b32 v20, v2 :: v_dual_add_nc_u32 v13, s23, v11
	v_or_b32_e32 v22, 44, v37
	s_and_b32 s36, vcc_lo, s9
	v_or_b32_e32 v24, 48, v37
	v_or_b32_e32 v26, 52, v37
	s_sub_i32 s39, 0, s35
	v_cmp_gt_u32_e64 s9, s13, v22
	v_dual_mov_b32 v22, v2 :: v_dual_add_nc_u32 v15, s23, v13
	v_mul_f32_e32 v0, 0x4f7ffffe, v0
	s_and_b32 s37, vcc_lo, s10
	s_delay_alu instid0(VALU_DEP_3) | instskip(SKIP_4) | instid1(VALU_DEP_3)
	s_and_b32 s38, vcc_lo, s9
	v_cmp_gt_u32_e64 s9, s13, v24
	v_dual_mov_b32 v24, v2 :: v_dual_add_nc_u32 v17, s23, v15
	v_cvt_u32_f32_e32 v0, v0
	v_cmp_gt_u32_e64 s10, s13, v26
	v_dual_mov_b32 v26, v2 :: v_dual_add_nc_u32 v19, s23, v17
	v_or_b32_e32 v30, 56, v37
	s_delay_alu instid0(VALU_DEP_4) | instskip(SKIP_1) | instid1(VALU_DEP_3)
	v_mul_lo_u32 v28, s39, v0
	s_and_b32 s39, vcc_lo, s9
	v_dual_mov_b32 v32, v2 :: v_dual_add_nc_u32 v21, s23, v19
	s_delay_alu instid0(VALU_DEP_3)
	v_cmp_gt_u32_e64 s9, s13, v30
	v_mov_b32_e32 v30, v2
	v_or_b32_e32 v31, 60, v37
	v_lshlrev_b32_e32 v42, 2, v6
	v_mul_hi_u32 v34, v0, v28
	v_dual_mov_b32 v28, v2 :: v_dual_add_nc_u32 v23, s23, v21
	v_mov_b32_e32 v4, v2
	v_mov_b32_e32 v6, v2
	s_and_b32 s40, vcc_lo, s10
	v_cmp_gt_u32_e64 s10, s13, v31
	v_add_nc_u32_e32 v25, s23, v23
	v_add_nc_u32_e32 v48, v0, v34
	v_lshlrev_b64 v[0:1], 2, v[1:2]
	v_lshlrev_b64 v[3:4], 2, v[3:4]
	v_lshlrev_b64 v[5:6], 2, v[5:6]
	v_add_nc_u32_e32 v27, s23, v25
	v_lshlrev_b64 v[7:8], 2, v[7:8]
	v_lshlrev_b64 v[9:10], 2, v[9:10]
	v_lshlrev_b64 v[11:12], 2, v[11:12]
	v_lshlrev_b64 v[13:14], 2, v[13:14]
	v_add_nc_u32_e32 v29, s23, v27
	v_lshlrev_b64 v[15:16], 2, v[15:16]
	;; [unrolled: 5-line block ×3, first 2 shown]
	v_lshlrev_b64 v[25:26], 2, v[25:26]
	v_lshlrev_b64 v[27:28], 2, v[27:28]
	;; [unrolled: 1-line block ×4, first 2 shown]
	s_mul_hi_u32 s24, s13, s13
	s_mul_i32 s25, s13, s13
	s_and_b32 s41, vcc_lo, s9
	s_and_b32 s10, vcc_lo, s10
	s_ashr_i32 s42, s13, 31
	s_branch .LBB43_7
.LBB43_6:                               ;   in Loop: Header=BB43_7 Depth=1
	s_or_b32 exec_lo, exec_lo, s23
	s_waitcnt lgkmcnt(0)
	s_barrier
	buffer_gl0_inv
	ds_load_b32 v51, v2
	s_add_i32 s22, s9, s22
	s_waitcnt lgkmcnt(0)
	s_barrier
	buffer_gl0_inv
	v_cmp_gt_i32_e32 vcc_lo, s12, v51
	s_cbranch_vccz .LBB43_65
.LBB43_7:                               ; =>This Loop Header: Depth=1
                                        ;     Child Loop BB43_10 Depth 2
	v_dual_mov_b32 v50, s12 :: v_dual_add_nc_u32 v33, v33, v37
	v_mov_b32_e32 v53, v36
	s_mov_b32 s23, exec_lo
	ds_store_b8 v2, v2 offset:16384
	ds_store_2addr_b32 v47, v2, v2 offset1:4
	ds_store_2addr_b32 v47, v2, v2 offset0:8 offset1:12
	ds_store_2addr_b32 v47, v2, v2 offset0:16 offset1:20
	;; [unrolled: 1-line block ×7, first 2 shown]
	s_waitcnt lgkmcnt(0)
	s_barrier
	buffer_gl0_inv
	v_cmpx_lt_i32_e64 v33, v36
	s_cbranch_execz .LBB43_15
; %bb.8:                                ;   in Loop: Header=BB43_7 Depth=1
	v_mul_lo_u32 v52, v51, s13
	v_dual_mov_b32 v50, s12 :: v_dual_mov_b32 v53, v36
	s_mov_b32 s43, 0
	s_branch .LBB43_10
.LBB43_9:                               ;   in Loop: Header=BB43_10 Depth=2
	s_or_b32 exec_lo, exec_lo, s44
	v_add_nc_u32_e32 v33, 4, v33
	s_xor_b32 s44, vcc_lo, -1
	s_delay_alu instid0(VALU_DEP_1) | instskip(NEXT) | instid1(VALU_DEP_1)
	v_cmp_ge_i32_e64 s9, v33, v36
	s_or_b32 s9, s44, s9
	s_delay_alu instid0(SALU_CYCLE_1) | instskip(NEXT) | instid1(SALU_CYCLE_1)
	s_and_b32 s9, exec_lo, s9
	s_or_b32 s43, s9, s43
	s_delay_alu instid0(SALU_CYCLE_1)
	s_and_not1_b32 exec_lo, exec_lo, s43
	s_cbranch_execz .LBB43_14
.LBB43_10:                              ;   Parent Loop BB43_7 Depth=1
                                        ; =>  This Inner Loop Header: Depth=2
	v_ashrrev_i32_e32 v34, 31, v33
	s_delay_alu instid0(VALU_DEP_1) | instskip(NEXT) | instid1(VALU_DEP_1)
	v_lshlrev_b64 v[34:35], 2, v[33:34]
	v_add_co_u32 v54, vcc_lo, s20, v34
	s_delay_alu instid0(VALU_DEP_2) | instskip(SKIP_3) | instid1(VALU_DEP_1)
	v_add_co_ci_u32_e32 v55, vcc_lo, s21, v35, vcc_lo
	global_load_b32 v54, v[54:55], off
	s_waitcnt vmcnt(0)
	v_subrev_nc_u32_e32 v54, s14, v54
	v_sub_nc_u32_e32 v55, 0, v54
	s_delay_alu instid0(VALU_DEP_1) | instskip(NEXT) | instid1(VALU_DEP_1)
	v_max_i32_e32 v55, v54, v55
	v_mul_hi_u32 v56, v55, v48
	s_delay_alu instid0(VALU_DEP_1) | instskip(NEXT) | instid1(VALU_DEP_1)
	v_mul_lo_u32 v57, v56, s35
	v_sub_nc_u32_e32 v55, v55, v57
	v_add_nc_u32_e32 v57, 1, v56
	s_delay_alu instid0(VALU_DEP_2) | instskip(SKIP_1) | instid1(VALU_DEP_2)
	v_subrev_nc_u32_e32 v58, s35, v55
	v_cmp_le_u32_e32 vcc_lo, s35, v55
	v_dual_cndmask_b32 v56, v56, v57 :: v_dual_cndmask_b32 v55, v55, v58
	v_ashrrev_i32_e32 v57, 31, v54
	s_delay_alu instid0(VALU_DEP_2) | instskip(NEXT) | instid1(VALU_DEP_3)
	v_add_nc_u32_e32 v58, 1, v56
	v_cmp_le_u32_e32 vcc_lo, s35, v55
	s_delay_alu instid0(VALU_DEP_3) | instskip(NEXT) | instid1(VALU_DEP_3)
	v_xor_b32_e32 v57, s42, v57
	v_cndmask_b32_e32 v55, v56, v58, vcc_lo
	s_delay_alu instid0(VALU_DEP_1) | instskip(NEXT) | instid1(VALU_DEP_1)
	v_xor_b32_e32 v55, v55, v57
	v_sub_nc_u32_e32 v56, v55, v57
	v_mov_b32_e32 v55, v53
	s_delay_alu instid0(VALU_DEP_2) | instskip(SKIP_1) | instid1(VALU_DEP_1)
	v_cmp_eq_u32_e32 vcc_lo, v56, v51
	v_cmp_ne_u32_e64 s9, v56, v51
	s_and_saveexec_b32 s44, s9
	s_delay_alu instid0(SALU_CYCLE_1)
	s_xor_b32 s9, exec_lo, s44
; %bb.11:                               ;   in Loop: Header=BB43_10 Depth=2
	v_min_i32_e32 v50, v56, v50
                                        ; implicit-def: $vgpr34_vgpr35
                                        ; implicit-def: $vgpr54
                                        ; implicit-def: $vgpr55
; %bb.12:                               ;   in Loop: Header=BB43_10 Depth=2
	s_or_saveexec_b32 s44, s9
	v_mov_b32_e32 v53, v33
	s_xor_b32 exec_lo, exec_lo, s44
	s_cbranch_execz .LBB43_9
; %bb.13:                               ;   in Loop: Header=BB43_10 Depth=2
	v_add_co_u32 v34, s9, s18, v34
	s_delay_alu instid0(VALU_DEP_1) | instskip(SKIP_3) | instid1(VALU_DEP_1)
	v_add_co_ci_u32_e64 v35, s9, s19, v35, s9
	v_mov_b32_e32 v53, v55
	global_load_b32 v34, v[34:35], off
	v_sub_nc_u32_e32 v35, v54, v52
	v_add_lshl_u32 v35, v35, v38, 2
	ds_store_b8 v2, v49 offset:16384
	s_waitcnt vmcnt(0)
	ds_store_b32 v35, v34
	s_branch .LBB43_9
.LBB43_14:                              ;   in Loop: Header=BB43_7 Depth=1
	s_or_b32 exec_lo, exec_lo, s43
.LBB43_15:                              ;   in Loop: Header=BB43_7 Depth=1
	s_delay_alu instid0(SALU_CYCLE_1)
	s_or_b32 exec_lo, exec_lo, s23
	ds_bpermute_b32 v33, v41, v53
	s_waitcnt lgkmcnt(0)
	s_barrier
	buffer_gl0_inv
	ds_load_u8 v35, v2 offset:16384
	s_mov_b32 s9, 0
	v_min_i32_e32 v33, v33, v53
	s_waitcnt lgkmcnt(0)
	v_cmp_eq_u32_e32 vcc_lo, 0, v35
	ds_bpermute_b32 v34, v42, v33
	s_waitcnt lgkmcnt(0)
	v_min_i32_e32 v33, v34, v33
	ds_bpermute_b32 v33, v40, v33
	s_cbranch_vccnz .LBB43_34
; %bb.16:                               ;   in Loop: Header=BB43_7 Depth=1
	s_ashr_i32 s23, s22, 31
	s_mul_hi_u32 s9, s25, s22
	s_lshl_b64 s[44:45], s[22:23], 2
	s_mul_i32 s23, s25, s23
	s_add_u32 s44, s16, s44
	s_addc_u32 s45, s17, s45
	s_add_i32 s9, s9, s23
	s_mul_i32 s23, s24, s22
	s_mul_i32 s46, s25, s22
	s_add_i32 s47, s9, s23
	v_add_nc_u32_e32 v53, s15, v51
	s_lshl_b64 s[46:47], s[46:47], 2
	s_delay_alu instid0(SALU_CYCLE_1)
	v_add_co_u32 v34, vcc_lo, v43, s46
	v_add_co_ci_u32_e32 v35, vcc_lo, s47, v44, vcc_lo
	v_add_co_u32 v51, vcc_lo, v45, s46
	v_add_co_ci_u32_e32 v52, vcc_lo, s47, v46, vcc_lo
	global_store_b32 v2, v53, s[44:45]
	s_and_saveexec_b32 s9, s11
	s_cbranch_execnz .LBB43_50
; %bb.17:                               ;   in Loop: Header=BB43_7 Depth=1
	s_or_b32 exec_lo, exec_lo, s9
	s_and_saveexec_b32 s9, s26
	s_cbranch_execnz .LBB43_51
.LBB43_18:                              ;   in Loop: Header=BB43_7 Depth=1
	s_or_b32 exec_lo, exec_lo, s9
	s_and_saveexec_b32 s9, s27
	s_cbranch_execnz .LBB43_52
.LBB43_19:                              ;   in Loop: Header=BB43_7 Depth=1
	s_or_b32 exec_lo, exec_lo, s9
	s_and_saveexec_b32 s9, s28
	s_cbranch_execnz .LBB43_53
.LBB43_20:                              ;   in Loop: Header=BB43_7 Depth=1
	s_or_b32 exec_lo, exec_lo, s9
	s_and_saveexec_b32 s9, s29
	s_cbranch_execnz .LBB43_54
.LBB43_21:                              ;   in Loop: Header=BB43_7 Depth=1
	s_or_b32 exec_lo, exec_lo, s9
	s_and_saveexec_b32 s9, s30
	s_cbranch_execnz .LBB43_55
.LBB43_22:                              ;   in Loop: Header=BB43_7 Depth=1
	s_or_b32 exec_lo, exec_lo, s9
	s_and_saveexec_b32 s9, s31
	s_cbranch_execnz .LBB43_56
.LBB43_23:                              ;   in Loop: Header=BB43_7 Depth=1
	s_or_b32 exec_lo, exec_lo, s9
	s_and_saveexec_b32 s9, s33
	s_cbranch_execnz .LBB43_57
.LBB43_24:                              ;   in Loop: Header=BB43_7 Depth=1
	s_or_b32 exec_lo, exec_lo, s9
	s_and_saveexec_b32 s9, s34
	s_cbranch_execnz .LBB43_58
.LBB43_25:                              ;   in Loop: Header=BB43_7 Depth=1
	s_or_b32 exec_lo, exec_lo, s9
	s_and_saveexec_b32 s9, s36
	s_cbranch_execnz .LBB43_59
.LBB43_26:                              ;   in Loop: Header=BB43_7 Depth=1
	s_or_b32 exec_lo, exec_lo, s9
	s_and_saveexec_b32 s9, s37
	s_cbranch_execnz .LBB43_60
.LBB43_27:                              ;   in Loop: Header=BB43_7 Depth=1
	s_or_b32 exec_lo, exec_lo, s9
	s_and_saveexec_b32 s9, s38
	s_cbranch_execnz .LBB43_61
.LBB43_28:                              ;   in Loop: Header=BB43_7 Depth=1
	s_or_b32 exec_lo, exec_lo, s9
	s_and_saveexec_b32 s9, s39
	s_cbranch_execnz .LBB43_62
.LBB43_29:                              ;   in Loop: Header=BB43_7 Depth=1
	s_or_b32 exec_lo, exec_lo, s9
	s_and_saveexec_b32 s9, s40
	s_cbranch_execnz .LBB43_63
.LBB43_30:                              ;   in Loop: Header=BB43_7 Depth=1
	s_or_b32 exec_lo, exec_lo, s9
	s_and_saveexec_b32 s9, s41
	s_cbranch_execnz .LBB43_64
.LBB43_31:                              ;   in Loop: Header=BB43_7 Depth=1
	s_or_b32 exec_lo, exec_lo, s9
	s_and_saveexec_b32 s9, s10
	s_cbranch_execz .LBB43_33
.LBB43_32:                              ;   in Loop: Header=BB43_7 Depth=1
	ds_load_b32 v53, v47 offset:240
	v_add_co_u32 v51, vcc_lo, 0xf0, v51
	v_add_co_ci_u32_e32 v52, vcc_lo, 0, v52, vcc_lo
	v_add_co_u32 v34, vcc_lo, v34, v31
	v_add_co_ci_u32_e32 v35, vcc_lo, v35, v32, vcc_lo
	s_delay_alu instid0(VALU_DEP_2) | instskip(NEXT) | instid1(VALU_DEP_2)
	v_cndmask_b32_e64 v34, v34, v51, s2
	v_cndmask_b32_e64 v35, v35, v52, s2
	s_waitcnt lgkmcnt(0)
	global_store_b32 v[34:35], v53, off
.LBB43_33:                              ;   in Loop: Header=BB43_7 Depth=1
	s_or_b32 exec_lo, exec_lo, s9
	s_mov_b32 s9, 1
.LBB43_34:                              ;   in Loop: Header=BB43_7 Depth=1
	s_waitcnt lgkmcnt(0)
	s_waitcnt_vscnt null, 0x0
	s_barrier
	buffer_gl0_inv
	ds_store_b32 v39, v50
	s_waitcnt lgkmcnt(0)
	s_barrier
	buffer_gl0_inv
	s_and_saveexec_b32 s23, s0
	s_cbranch_execz .LBB43_36
; %bb.35:                               ;   in Loop: Header=BB43_7 Depth=1
	ds_load_2addr_stride64_b32 v[34:35], v39 offset1:2
	s_waitcnt lgkmcnt(0)
	v_min_i32_e32 v34, v35, v34
	ds_store_b32 v39, v34
.LBB43_36:                              ;   in Loop: Header=BB43_7 Depth=1
	s_or_b32 exec_lo, exec_lo, s23
	s_waitcnt lgkmcnt(0)
	s_barrier
	buffer_gl0_inv
	s_and_saveexec_b32 s23, s1
	s_cbranch_execz .LBB43_38
; %bb.37:                               ;   in Loop: Header=BB43_7 Depth=1
	ds_load_2addr_stride64_b32 v[34:35], v39 offset1:1
	s_waitcnt lgkmcnt(0)
	v_min_i32_e32 v34, v35, v34
	ds_store_b32 v39, v34
.LBB43_38:                              ;   in Loop: Header=BB43_7 Depth=1
	s_or_b32 exec_lo, exec_lo, s23
	s_waitcnt lgkmcnt(0)
	s_barrier
	buffer_gl0_inv
	s_and_saveexec_b32 s23, s3
	s_cbranch_execz .LBB43_40
; %bb.39:                               ;   in Loop: Header=BB43_7 Depth=1
	ds_load_2addr_b32 v[34:35], v39 offset1:32
	s_waitcnt lgkmcnt(0)
	v_min_i32_e32 v34, v35, v34
	ds_store_b32 v39, v34
.LBB43_40:                              ;   in Loop: Header=BB43_7 Depth=1
	s_or_b32 exec_lo, exec_lo, s23
	s_waitcnt lgkmcnt(0)
	s_barrier
	buffer_gl0_inv
	s_and_saveexec_b32 s23, s4
	s_cbranch_execz .LBB43_42
; %bb.41:                               ;   in Loop: Header=BB43_7 Depth=1
	ds_load_2addr_b32 v[34:35], v39 offset1:16
	s_waitcnt lgkmcnt(0)
	v_min_i32_e32 v34, v35, v34
	ds_store_b32 v39, v34
.LBB43_42:                              ;   in Loop: Header=BB43_7 Depth=1
	;; [unrolled: 12-line block ×5, first 2 shown]
	s_or_b32 exec_lo, exec_lo, s23
	s_waitcnt lgkmcnt(0)
	s_barrier
	buffer_gl0_inv
	s_and_saveexec_b32 s23, s8
	s_cbranch_execz .LBB43_6
; %bb.49:                               ;   in Loop: Header=BB43_7 Depth=1
	ds_load_b64 v[34:35], v2
	s_waitcnt lgkmcnt(0)
	v_min_i32_e32 v34, v35, v34
	ds_store_b32 v2, v34
	s_branch .LBB43_6
.LBB43_50:                              ;   in Loop: Header=BB43_7 Depth=1
	ds_load_b32 v55, v47
	v_add_co_u32 v53, vcc_lo, v34, v0
	v_add_co_ci_u32_e32 v54, vcc_lo, v35, v1, vcc_lo
	s_delay_alu instid0(VALU_DEP_2) | instskip(NEXT) | instid1(VALU_DEP_2)
	v_cndmask_b32_e64 v53, v53, v51, s2
	v_cndmask_b32_e64 v54, v54, v52, s2
	s_waitcnt lgkmcnt(0)
	global_store_b32 v[53:54], v55, off
	s_or_b32 exec_lo, exec_lo, s9
	s_and_saveexec_b32 s9, s26
	s_cbranch_execz .LBB43_18
.LBB43_51:                              ;   in Loop: Header=BB43_7 Depth=1
	ds_load_b32 v55, v47 offset:16
	v_add_co_u32 v53, vcc_lo, v51, 16
	v_add_co_ci_u32_e32 v54, vcc_lo, 0, v52, vcc_lo
	v_add_co_u32 v56, vcc_lo, v34, v3
	v_add_co_ci_u32_e32 v57, vcc_lo, v35, v4, vcc_lo
	s_delay_alu instid0(VALU_DEP_2) | instskip(NEXT) | instid1(VALU_DEP_2)
	v_cndmask_b32_e64 v53, v56, v53, s2
	v_cndmask_b32_e64 v54, v57, v54, s2
	s_waitcnt lgkmcnt(0)
	global_store_b32 v[53:54], v55, off
	s_or_b32 exec_lo, exec_lo, s9
	s_and_saveexec_b32 s9, s27
	s_cbranch_execz .LBB43_19
.LBB43_52:                              ;   in Loop: Header=BB43_7 Depth=1
	ds_load_b32 v55, v47 offset:32
	v_add_co_u32 v53, vcc_lo, v51, 32
	v_add_co_ci_u32_e32 v54, vcc_lo, 0, v52, vcc_lo
	v_add_co_u32 v56, vcc_lo, v34, v5
	v_add_co_ci_u32_e32 v57, vcc_lo, v35, v6, vcc_lo
	s_delay_alu instid0(VALU_DEP_2) | instskip(NEXT) | instid1(VALU_DEP_2)
	v_cndmask_b32_e64 v53, v56, v53, s2
	v_cndmask_b32_e64 v54, v57, v54, s2
	s_waitcnt lgkmcnt(0)
	global_store_b32 v[53:54], v55, off
	s_or_b32 exec_lo, exec_lo, s9
	s_and_saveexec_b32 s9, s28
	s_cbranch_execz .LBB43_20
.LBB43_53:                              ;   in Loop: Header=BB43_7 Depth=1
	ds_load_b32 v55, v47 offset:48
	v_add_co_u32 v53, vcc_lo, v51, 48
	v_add_co_ci_u32_e32 v54, vcc_lo, 0, v52, vcc_lo
	v_add_co_u32 v56, vcc_lo, v34, v7
	v_add_co_ci_u32_e32 v57, vcc_lo, v35, v8, vcc_lo
	s_delay_alu instid0(VALU_DEP_2) | instskip(NEXT) | instid1(VALU_DEP_2)
	v_cndmask_b32_e64 v53, v56, v53, s2
	v_cndmask_b32_e64 v54, v57, v54, s2
	s_waitcnt lgkmcnt(0)
	global_store_b32 v[53:54], v55, off
	s_or_b32 exec_lo, exec_lo, s9
	s_and_saveexec_b32 s9, s29
	s_cbranch_execz .LBB43_21
.LBB43_54:                              ;   in Loop: Header=BB43_7 Depth=1
	ds_load_b32 v55, v47 offset:64
	v_add_co_u32 v53, vcc_lo, v51, 64
	v_add_co_ci_u32_e32 v54, vcc_lo, 0, v52, vcc_lo
	v_add_co_u32 v56, vcc_lo, v34, v9
	v_add_co_ci_u32_e32 v57, vcc_lo, v35, v10, vcc_lo
	s_delay_alu instid0(VALU_DEP_2) | instskip(NEXT) | instid1(VALU_DEP_2)
	v_cndmask_b32_e64 v53, v56, v53, s2
	v_cndmask_b32_e64 v54, v57, v54, s2
	s_waitcnt lgkmcnt(0)
	global_store_b32 v[53:54], v55, off
	s_or_b32 exec_lo, exec_lo, s9
	s_and_saveexec_b32 s9, s30
	s_cbranch_execz .LBB43_22
.LBB43_55:                              ;   in Loop: Header=BB43_7 Depth=1
	ds_load_b32 v55, v47 offset:80
	v_add_co_u32 v53, vcc_lo, 0x50, v51
	v_add_co_ci_u32_e32 v54, vcc_lo, 0, v52, vcc_lo
	v_add_co_u32 v56, vcc_lo, v34, v11
	v_add_co_ci_u32_e32 v57, vcc_lo, v35, v12, vcc_lo
	s_delay_alu instid0(VALU_DEP_2) | instskip(NEXT) | instid1(VALU_DEP_2)
	v_cndmask_b32_e64 v53, v56, v53, s2
	v_cndmask_b32_e64 v54, v57, v54, s2
	s_waitcnt lgkmcnt(0)
	global_store_b32 v[53:54], v55, off
	s_or_b32 exec_lo, exec_lo, s9
	s_and_saveexec_b32 s9, s31
	s_cbranch_execz .LBB43_23
.LBB43_56:                              ;   in Loop: Header=BB43_7 Depth=1
	ds_load_b32 v55, v47 offset:96
	v_add_co_u32 v53, vcc_lo, 0x60, v51
	v_add_co_ci_u32_e32 v54, vcc_lo, 0, v52, vcc_lo
	v_add_co_u32 v56, vcc_lo, v34, v13
	v_add_co_ci_u32_e32 v57, vcc_lo, v35, v14, vcc_lo
	s_delay_alu instid0(VALU_DEP_2) | instskip(NEXT) | instid1(VALU_DEP_2)
	v_cndmask_b32_e64 v53, v56, v53, s2
	v_cndmask_b32_e64 v54, v57, v54, s2
	s_waitcnt lgkmcnt(0)
	global_store_b32 v[53:54], v55, off
	s_or_b32 exec_lo, exec_lo, s9
	s_and_saveexec_b32 s9, s33
	s_cbranch_execz .LBB43_24
.LBB43_57:                              ;   in Loop: Header=BB43_7 Depth=1
	ds_load_b32 v55, v47 offset:112
	v_add_co_u32 v53, vcc_lo, 0x70, v51
	v_add_co_ci_u32_e32 v54, vcc_lo, 0, v52, vcc_lo
	v_add_co_u32 v56, vcc_lo, v34, v15
	v_add_co_ci_u32_e32 v57, vcc_lo, v35, v16, vcc_lo
	s_delay_alu instid0(VALU_DEP_2) | instskip(NEXT) | instid1(VALU_DEP_2)
	v_cndmask_b32_e64 v53, v56, v53, s2
	v_cndmask_b32_e64 v54, v57, v54, s2
	s_waitcnt lgkmcnt(0)
	global_store_b32 v[53:54], v55, off
	s_or_b32 exec_lo, exec_lo, s9
	s_and_saveexec_b32 s9, s34
	s_cbranch_execz .LBB43_25
.LBB43_58:                              ;   in Loop: Header=BB43_7 Depth=1
	ds_load_b32 v55, v47 offset:128
	v_add_co_u32 v53, vcc_lo, 0x80, v51
	v_add_co_ci_u32_e32 v54, vcc_lo, 0, v52, vcc_lo
	v_add_co_u32 v56, vcc_lo, v34, v17
	v_add_co_ci_u32_e32 v57, vcc_lo, v35, v18, vcc_lo
	s_delay_alu instid0(VALU_DEP_2) | instskip(NEXT) | instid1(VALU_DEP_2)
	v_cndmask_b32_e64 v53, v56, v53, s2
	v_cndmask_b32_e64 v54, v57, v54, s2
	s_waitcnt lgkmcnt(0)
	global_store_b32 v[53:54], v55, off
	s_or_b32 exec_lo, exec_lo, s9
	s_and_saveexec_b32 s9, s36
	s_cbranch_execz .LBB43_26
.LBB43_59:                              ;   in Loop: Header=BB43_7 Depth=1
	ds_load_b32 v55, v47 offset:144
	v_add_co_u32 v53, vcc_lo, 0x90, v51
	v_add_co_ci_u32_e32 v54, vcc_lo, 0, v52, vcc_lo
	v_add_co_u32 v56, vcc_lo, v34, v19
	v_add_co_ci_u32_e32 v57, vcc_lo, v35, v20, vcc_lo
	s_delay_alu instid0(VALU_DEP_2) | instskip(NEXT) | instid1(VALU_DEP_2)
	v_cndmask_b32_e64 v53, v56, v53, s2
	v_cndmask_b32_e64 v54, v57, v54, s2
	s_waitcnt lgkmcnt(0)
	global_store_b32 v[53:54], v55, off
	s_or_b32 exec_lo, exec_lo, s9
	s_and_saveexec_b32 s9, s37
	s_cbranch_execz .LBB43_27
.LBB43_60:                              ;   in Loop: Header=BB43_7 Depth=1
	ds_load_b32 v55, v47 offset:160
	v_add_co_u32 v53, vcc_lo, 0xa0, v51
	v_add_co_ci_u32_e32 v54, vcc_lo, 0, v52, vcc_lo
	v_add_co_u32 v56, vcc_lo, v34, v21
	v_add_co_ci_u32_e32 v57, vcc_lo, v35, v22, vcc_lo
	s_delay_alu instid0(VALU_DEP_2) | instskip(NEXT) | instid1(VALU_DEP_2)
	v_cndmask_b32_e64 v53, v56, v53, s2
	v_cndmask_b32_e64 v54, v57, v54, s2
	s_waitcnt lgkmcnt(0)
	global_store_b32 v[53:54], v55, off
	s_or_b32 exec_lo, exec_lo, s9
	s_and_saveexec_b32 s9, s38
	s_cbranch_execz .LBB43_28
.LBB43_61:                              ;   in Loop: Header=BB43_7 Depth=1
	ds_load_b32 v55, v47 offset:176
	v_add_co_u32 v53, vcc_lo, 0xb0, v51
	v_add_co_ci_u32_e32 v54, vcc_lo, 0, v52, vcc_lo
	v_add_co_u32 v56, vcc_lo, v34, v23
	v_add_co_ci_u32_e32 v57, vcc_lo, v35, v24, vcc_lo
	s_delay_alu instid0(VALU_DEP_2) | instskip(NEXT) | instid1(VALU_DEP_2)
	v_cndmask_b32_e64 v53, v56, v53, s2
	v_cndmask_b32_e64 v54, v57, v54, s2
	s_waitcnt lgkmcnt(0)
	global_store_b32 v[53:54], v55, off
	s_or_b32 exec_lo, exec_lo, s9
	s_and_saveexec_b32 s9, s39
	s_cbranch_execz .LBB43_29
.LBB43_62:                              ;   in Loop: Header=BB43_7 Depth=1
	ds_load_b32 v55, v47 offset:192
	v_add_co_u32 v53, vcc_lo, 0xc0, v51
	v_add_co_ci_u32_e32 v54, vcc_lo, 0, v52, vcc_lo
	v_add_co_u32 v56, vcc_lo, v34, v25
	v_add_co_ci_u32_e32 v57, vcc_lo, v35, v26, vcc_lo
	s_delay_alu instid0(VALU_DEP_2) | instskip(NEXT) | instid1(VALU_DEP_2)
	v_cndmask_b32_e64 v53, v56, v53, s2
	v_cndmask_b32_e64 v54, v57, v54, s2
	s_waitcnt lgkmcnt(0)
	global_store_b32 v[53:54], v55, off
	s_or_b32 exec_lo, exec_lo, s9
	s_and_saveexec_b32 s9, s40
	s_cbranch_execz .LBB43_30
.LBB43_63:                              ;   in Loop: Header=BB43_7 Depth=1
	ds_load_b32 v55, v47 offset:208
	v_add_co_u32 v53, vcc_lo, 0xd0, v51
	v_add_co_ci_u32_e32 v54, vcc_lo, 0, v52, vcc_lo
	v_add_co_u32 v56, vcc_lo, v34, v27
	v_add_co_ci_u32_e32 v57, vcc_lo, v35, v28, vcc_lo
	s_delay_alu instid0(VALU_DEP_2) | instskip(NEXT) | instid1(VALU_DEP_2)
	v_cndmask_b32_e64 v53, v56, v53, s2
	v_cndmask_b32_e64 v54, v57, v54, s2
	s_waitcnt lgkmcnt(0)
	global_store_b32 v[53:54], v55, off
	s_or_b32 exec_lo, exec_lo, s9
	s_and_saveexec_b32 s9, s41
	s_cbranch_execz .LBB43_31
.LBB43_64:                              ;   in Loop: Header=BB43_7 Depth=1
	ds_load_b32 v55, v47 offset:224
	v_add_co_u32 v53, vcc_lo, 0xe0, v51
	v_add_co_ci_u32_e32 v54, vcc_lo, 0, v52, vcc_lo
	v_add_co_u32 v56, vcc_lo, v34, v29
	v_add_co_ci_u32_e32 v57, vcc_lo, v35, v30, vcc_lo
	s_delay_alu instid0(VALU_DEP_2) | instskip(NEXT) | instid1(VALU_DEP_2)
	v_cndmask_b32_e64 v53, v56, v53, s2
	v_cndmask_b32_e64 v54, v57, v54, s2
	s_waitcnt lgkmcnt(0)
	global_store_b32 v[53:54], v55, off
	s_or_b32 exec_lo, exec_lo, s9
	s_and_saveexec_b32 s9, s10
	s_cbranch_execnz .LBB43_32
	s_branch .LBB43_33
.LBB43_65:
	s_endpgm
	.section	.rodata,"a",@progbits
	.p2align	6, 0x0
	.amdhsa_kernel _ZN9rocsparseL38csr2bsr_block_per_row_multipass_kernelILj256ELj64EfiiEEv20rocsparse_direction_T3_S2_S2_S2_S2_21rocsparse_index_base_PKT1_PKT2_PKS2_S3_PS4_PS7_PS2_
		.amdhsa_group_segment_fixed_size 16388
		.amdhsa_private_segment_fixed_size 0
		.amdhsa_kernarg_size 88
		.amdhsa_user_sgpr_count 15
		.amdhsa_user_sgpr_dispatch_ptr 0
		.amdhsa_user_sgpr_queue_ptr 0
		.amdhsa_user_sgpr_kernarg_segment_ptr 1
		.amdhsa_user_sgpr_dispatch_id 0
		.amdhsa_user_sgpr_private_segment_size 0
		.amdhsa_wavefront_size32 1
		.amdhsa_uses_dynamic_stack 0
		.amdhsa_enable_private_segment 0
		.amdhsa_system_sgpr_workgroup_id_x 1
		.amdhsa_system_sgpr_workgroup_id_y 0
		.amdhsa_system_sgpr_workgroup_id_z 0
		.amdhsa_system_sgpr_workgroup_info 0
		.amdhsa_system_vgpr_workitem_id 0
		.amdhsa_next_free_vgpr 59
		.amdhsa_next_free_sgpr 48
		.amdhsa_reserve_vcc 1
		.amdhsa_float_round_mode_32 0
		.amdhsa_float_round_mode_16_64 0
		.amdhsa_float_denorm_mode_32 3
		.amdhsa_float_denorm_mode_16_64 3
		.amdhsa_dx10_clamp 1
		.amdhsa_ieee_mode 1
		.amdhsa_fp16_overflow 0
		.amdhsa_workgroup_processor_mode 1
		.amdhsa_memory_ordered 1
		.amdhsa_forward_progress 0
		.amdhsa_shared_vgpr_count 0
		.amdhsa_exception_fp_ieee_invalid_op 0
		.amdhsa_exception_fp_denorm_src 0
		.amdhsa_exception_fp_ieee_div_zero 0
		.amdhsa_exception_fp_ieee_overflow 0
		.amdhsa_exception_fp_ieee_underflow 0
		.amdhsa_exception_fp_ieee_inexact 0
		.amdhsa_exception_int_div_zero 0
	.end_amdhsa_kernel
	.section	.text._ZN9rocsparseL38csr2bsr_block_per_row_multipass_kernelILj256ELj64EfiiEEv20rocsparse_direction_T3_S2_S2_S2_S2_21rocsparse_index_base_PKT1_PKT2_PKS2_S3_PS4_PS7_PS2_,"axG",@progbits,_ZN9rocsparseL38csr2bsr_block_per_row_multipass_kernelILj256ELj64EfiiEEv20rocsparse_direction_T3_S2_S2_S2_S2_21rocsparse_index_base_PKT1_PKT2_PKS2_S3_PS4_PS7_PS2_,comdat
.Lfunc_end43:
	.size	_ZN9rocsparseL38csr2bsr_block_per_row_multipass_kernelILj256ELj64EfiiEEv20rocsparse_direction_T3_S2_S2_S2_S2_21rocsparse_index_base_PKT1_PKT2_PKS2_S3_PS4_PS7_PS2_, .Lfunc_end43-_ZN9rocsparseL38csr2bsr_block_per_row_multipass_kernelILj256ELj64EfiiEEv20rocsparse_direction_T3_S2_S2_S2_S2_21rocsparse_index_base_PKT1_PKT2_PKS2_S3_PS4_PS7_PS2_
                                        ; -- End function
	.section	.AMDGPU.csdata,"",@progbits
; Kernel info:
; codeLenInByte = 3744
; NumSgprs: 50
; NumVgprs: 59
; ScratchSize: 0
; MemoryBound: 0
; FloatMode: 240
; IeeeMode: 1
; LDSByteSize: 16388 bytes/workgroup (compile time only)
; SGPRBlocks: 6
; VGPRBlocks: 7
; NumSGPRsForWavesPerEU: 50
; NumVGPRsForWavesPerEU: 59
; Occupancy: 14
; WaveLimiterHint : 0
; COMPUTE_PGM_RSRC2:SCRATCH_EN: 0
; COMPUTE_PGM_RSRC2:USER_SGPR: 15
; COMPUTE_PGM_RSRC2:TRAP_HANDLER: 0
; COMPUTE_PGM_RSRC2:TGID_X_EN: 1
; COMPUTE_PGM_RSRC2:TGID_Y_EN: 0
; COMPUTE_PGM_RSRC2:TGID_Z_EN: 0
; COMPUTE_PGM_RSRC2:TIDIG_COMP_CNT: 0
	.section	.text._ZN9rocsparseL21csr2bsr_65_inf_kernelILj32EfiiEEv20rocsparse_direction_T2_S2_S2_S2_S2_S2_21rocsparse_index_base_PKT0_PKT1_PKS2_S3_PS4_PS7_PS2_SD_SE_SC_,"axG",@progbits,_ZN9rocsparseL21csr2bsr_65_inf_kernelILj32EfiiEEv20rocsparse_direction_T2_S2_S2_S2_S2_S2_21rocsparse_index_base_PKT0_PKT1_PKS2_S3_PS4_PS7_PS2_SD_SE_SC_,comdat
	.globl	_ZN9rocsparseL21csr2bsr_65_inf_kernelILj32EfiiEEv20rocsparse_direction_T2_S2_S2_S2_S2_S2_21rocsparse_index_base_PKT0_PKT1_PKS2_S3_PS4_PS7_PS2_SD_SE_SC_ ; -- Begin function _ZN9rocsparseL21csr2bsr_65_inf_kernelILj32EfiiEEv20rocsparse_direction_T2_S2_S2_S2_S2_S2_21rocsparse_index_base_PKT0_PKT1_PKS2_S3_PS4_PS7_PS2_SD_SE_SC_
	.p2align	8
	.type	_ZN9rocsparseL21csr2bsr_65_inf_kernelILj32EfiiEEv20rocsparse_direction_T2_S2_S2_S2_S2_S2_21rocsparse_index_base_PKT0_PKT1_PKS2_S3_PS4_PS7_PS2_SD_SE_SC_,@function
_ZN9rocsparseL21csr2bsr_65_inf_kernelILj32EfiiEEv20rocsparse_direction_T2_S2_S2_S2_S2_S2_21rocsparse_index_base_PKT0_PKT1_PKS2_S3_PS4_PS7_PS2_SD_SE_SC_: ; @_ZN9rocsparseL21csr2bsr_65_inf_kernelILj32EfiiEEv20rocsparse_direction_T2_S2_S2_S2_S2_S2_21rocsparse_index_base_PKT0_PKT1_PKS2_S3_PS4_PS7_PS2_SD_SE_SC_
; %bb.0:
	s_clause 0x2
	s_load_b128 s[4:7], s[0:1], 0x0
	s_load_b64 s[2:3], s[0:1], 0x58
	s_load_b32 s26, s[0:1], 0x38
	s_mov_b32 s22, s15
	s_mov_b32 s25, 0
	s_waitcnt lgkmcnt(0)
	s_cmp_ge_i32 s15, s7
	s_mov_b32 s7, 0
	s_cbranch_scc1 .LBB44_2
; %bb.1:
	s_load_b64 s[8:9], s[0:1], 0x48
	s_ashr_i32 s23, s22, 31
	s_delay_alu instid0(SALU_CYCLE_1)
	s_lshl_b64 s[10:11], s[22:23], 2
	s_waitcnt lgkmcnt(0)
	s_add_u32 s8, s8, s10
	s_addc_u32 s9, s9, s11
	s_load_b32 s7, s[8:9], 0x0
	s_waitcnt lgkmcnt(0)
	s_sub_i32 s7, s7, s26
.LBB44_2:
	s_load_b128 s[8:11], s[0:1], 0x14
	s_waitcnt lgkmcnt(0)
	v_mul_lo_u32 v1, v0, s9
	s_mul_i32 s11, s22, s9
	s_delay_alu instid0(SALU_CYCLE_1) | instskip(NEXT) | instid1(SALU_CYCLE_1)
	s_lshl_b32 s24, s11, 6
	s_lshl_b64 s[12:13], s[24:25], 2
	s_delay_alu instid0(SALU_CYCLE_1) | instskip(NEXT) | instid1(VALU_DEP_1)
	s_add_u32 s27, s2, s12
	v_ashrrev_i32_e32 v2, 31, v1
	s_addc_u32 s28, s3, s13
	s_lshl_b32 s24, s9, 5
	s_cmp_gt_i32 s9, 0
	s_cselect_b32 s11, -1, 0
	v_lshlrev_b64 v[9:10], 2, v[1:2]
	s_cmp_lt_i32 s9, 1
	s_delay_alu instid0(VALU_DEP_1) | instskip(NEXT) | instid1(VALU_DEP_2)
	v_add_co_u32 v1, vcc_lo, s27, v9
	v_add_co_ci_u32_e32 v2, vcc_lo, s28, v10, vcc_lo
	s_cbranch_scc1 .LBB44_7
; %bb.3:
	s_load_b64 s[12:13], s[0:1], 0x28
	v_dual_mov_b32 v11, 0 :: v_dual_mov_b32 v12, v0
	s_delay_alu instid0(VALU_DEP_2)
	v_dual_mov_b32 v4, v2 :: v_dual_mov_b32 v3, v1
	s_mul_i32 s16, s22, s8
	s_lshl_b64 s[14:15], s[24:25], 2
	s_mov_b32 s17, s9
	s_set_inst_prefetch_distance 0x1
	s_branch .LBB44_5
	.p2align	6
.LBB44_4:                               ;   in Loop: Header=BB44_5 Depth=1
	s_or_b32 exec_lo, exec_lo, s2
	v_add_co_u32 v3, vcc_lo, v3, 4
	v_add_co_ci_u32_e32 v4, vcc_lo, 0, v4, vcc_lo
	v_add_nc_u32_e32 v12, 32, v12
	s_add_i32 s17, s17, -1
	s_delay_alu instid0(SALU_CYCLE_1)
	s_cmp_eq_u32 s17, 0
	s_cbranch_scc1 .LBB44_7
.LBB44_5:                               ; =>This Inner Loop Header: Depth=1
	s_delay_alu instid0(VALU_DEP_1) | instskip(SKIP_2) | instid1(VALU_DEP_1)
	v_add_nc_u32_e32 v7, s16, v12
	v_cmp_gt_u32_e32 vcc_lo, s8, v12
	v_add_co_u32 v5, s3, v3, s14
	v_add_co_ci_u32_e64 v6, s3, s15, v4, s3
	s_delay_alu instid0(VALU_DEP_4) | instskip(SKIP_4) | instid1(SALU_CYCLE_1)
	v_cmp_gt_i32_e64 s2, s5, v7
	s_clause 0x1
	global_store_b32 v[3:4], v11, off
	global_store_b32 v[5:6], v11, off
	s_and_b32 s3, vcc_lo, s2
	s_and_saveexec_b32 s2, s3
	s_cbranch_execz .LBB44_4
; %bb.6:                                ;   in Loop: Header=BB44_5 Depth=1
	v_ashrrev_i32_e32 v8, 31, v7
	s_delay_alu instid0(VALU_DEP_1) | instskip(SKIP_1) | instid1(VALU_DEP_1)
	v_lshlrev_b64 v[7:8], 2, v[7:8]
	s_waitcnt lgkmcnt(0)
	v_add_co_u32 v7, vcc_lo, s12, v7
	s_delay_alu instid0(VALU_DEP_2)
	v_add_co_ci_u32_e32 v8, vcc_lo, s13, v8, vcc_lo
	global_load_b64 v[7:8], v[7:8], off
	s_waitcnt vmcnt(0)
	v_subrev_nc_u32_e32 v7, s10, v7
	v_subrev_nc_u32_e32 v8, s10, v8
	s_clause 0x1
	global_store_b32 v[3:4], v7, off
	global_store_b32 v[5:6], v8, off
	s_branch .LBB44_4
.LBB44_7:
	s_set_inst_prefetch_distance 0x2
	s_cmp_lt_i32 s6, 1
	s_cbranch_scc1 .LBB44_37
; %bb.8:
	s_waitcnt lgkmcnt(0)
	s_clause 0x4
	s_load_b128 s[12:15], s[0:1], 0x60
	s_load_b64 s[2:3], s[0:1], 0x20
	s_load_b64 s[16:17], s[0:1], 0x50
	;; [unrolled: 1-line block ×4, first 2 shown]
	s_lshl_b64 s[30:31], s[24:25], 2
	s_mul_i32 s22, s24, s22
	s_mov_b32 s23, 0
	s_add_u32 s1, s27, s30
	s_addc_u32 s25, s28, s31
	s_lshl_b64 s[28:29], s[22:23], 2
	v_mbcnt_lo_u32_b32 v5, -1, 0
	v_add_co_u32 v25, vcc_lo, s1, v9
	v_add_co_ci_u32_e32 v26, vcc_lo, s25, v10, vcc_lo
	s_delay_alu instid0(VALU_DEP_3)
	v_xor_b32_e32 v8, 16, v5
	v_xor_b32_e32 v11, 8, v5
	;; [unrolled: 1-line block ×4, first 2 shown]
	s_waitcnt lgkmcnt(0)
	s_add_u32 s22, s12, s28
	s_addc_u32 s13, s13, s29
	s_add_u32 s14, s14, s28
	s_addc_u32 s15, s15, s29
	s_cmp_lg_u32 s4, 0
	v_cmp_gt_i32_e32 vcc_lo, 32, v8
	s_cselect_b32 s4, -1, 0
	s_abs_i32 s12, s8
	v_mov_b32_e32 v27, 0
	v_cvt_f32_u32_e32 v7, s12
	v_cndmask_b32_e32 v8, v5, v8, vcc_lo
	v_cmp_gt_i32_e32 vcc_lo, 32, v11
	v_xor_b32_e32 v14, 1, v5
	s_sub_i32 s1, 0, s12
	v_rcp_iflag_f32_e32 v7, v7
	v_mul_lo_u32 v24, v0, s8
	v_dual_cndmask_b32 v11, v5, v11 :: v_dual_lshlrev_b32 v28, 2, v8
	v_cmp_gt_i32_e32 vcc_lo, 32, v12
	v_cmp_eq_u32_e64 s0, 31, v0
	v_dual_mov_b32 v23, 0x7c :: v_dual_mov_b32 v4, 0
	v_dual_mov_b32 v6, 0 :: v_dual_mov_b32 v3, 0
	s_delay_alu instid0(TRANS32_DEP_1) | instskip(SKIP_3) | instid1(VALU_DEP_2)
	v_mul_f32_e32 v7, 0x4f7ffffe, v7
	v_dual_mov_b32 v34, 0 :: v_dual_lshlrev_b32 v29, 2, v11
	s_mul_hi_i32 s5, s8, s8
	s_mul_i32 s24, s8, s8
	v_cvt_u32_f32_e32 v15, v7
	v_cndmask_b32_e32 v7, v5, v12, vcc_lo
	v_cmp_gt_i32_e32 vcc_lo, 32, v13
	s_mov_b32 s25, 0
	v_cndmask_b32_e32 v12, v5, v13, vcc_lo
	v_cmp_gt_i32_e32 vcc_lo, 32, v14
	v_mul_lo_u32 v13, s1, v15
	s_delay_alu instid0(VALU_DEP_3) | instskip(SKIP_1) | instid1(VALU_DEP_1)
	v_lshlrev_b32_e32 v31, 2, v12
	v_cndmask_b32_e32 v5, v5, v14, vcc_lo
	v_lshlrev_b32_e32 v32, 2, v5
	v_lshlrev_b32_e32 v30, 2, v7
	v_mul_hi_u32 v5, v15, v13
	v_add_co_u32 v7, vcc_lo, s22, v9
	v_add_co_ci_u32_e32 v8, vcc_lo, s13, v10, vcc_lo
	v_add_co_u32 v9, vcc_lo, s14, v9
	v_add_co_ci_u32_e32 v10, vcc_lo, s15, v10, vcc_lo
	v_add_nc_u32_e32 v33, v15, v5
	s_add_i32 s13, s7, -1
	s_ashr_i32 s14, s8, 31
	s_lshl_b32 s15, s8, 5
	s_branch .LBB44_10
.LBB44_9:                               ;   in Loop: Header=BB44_10 Depth=1
	s_waitcnt lgkmcnt(1)
	v_add_nc_u32_e32 v3, 1, v19
	s_delay_alu instid0(VALU_DEP_1) | instskip(SKIP_1) | instid1(SALU_CYCLE_1)
	v_cmp_le_i32_e32 vcc_lo, s6, v3
	s_or_b32 s25, vcc_lo, s25
	s_and_not1_b32 exec_lo, exec_lo, s25
	s_cbranch_execz .LBB44_37
.LBB44_10:                              ; =>This Loop Header: Depth=1
                                        ;     Child Loop BB44_14 Depth 2
                                        ;       Child Loop BB44_17 Depth 3
                                        ;     Child Loop BB44_31 Depth 2
	v_mov_b32_e32 v5, s6
	s_and_not1_b32 vcc_lo, exec_lo, s11
	s_cbranch_vccnz .LBB44_23
; %bb.11:                               ;   in Loop: Header=BB44_10 Depth=1
	v_mov_b32_e32 v5, s6
	s_mov_b32 s22, 0
	s_branch .LBB44_14
.LBB44_12:                              ;   in Loop: Header=BB44_14 Depth=2
	s_or_b32 exec_lo, exec_lo, s1
.LBB44_13:                              ;   in Loop: Header=BB44_14 Depth=2
	s_delay_alu instid0(SALU_CYCLE_1) | instskip(SKIP_1) | instid1(SALU_CYCLE_1)
	s_or_b32 exec_lo, exec_lo, s27
	s_add_i32 s22, s22, 1
	s_cmp_eq_u32 s22, s9
	s_cbranch_scc1 .LBB44_23
.LBB44_14:                              ;   Parent Loop BB44_10 Depth=1
                                        ; =>  This Loop Header: Depth=2
                                        ;       Child Loop BB44_17 Depth 3
	s_lshl_b64 s[28:29], s[22:23], 2
	v_mov_b32_e32 v17, s6
	v_add_co_u32 v11, vcc_lo, v1, s28
	v_add_co_ci_u32_e32 v12, vcc_lo, s29, v2, vcc_lo
	v_add_co_u32 v13, vcc_lo, v25, s28
	v_add_co_ci_u32_e32 v14, vcc_lo, s29, v26, vcc_lo
	s_mov_b32 s27, exec_lo
	s_clause 0x1
	global_load_b32 v19, v[11:12], off
	global_load_b32 v36, v[13:14], off
	v_add_co_u32 v13, vcc_lo, v9, s28
	v_add_co_ci_u32_e32 v14, vcc_lo, s29, v10, vcc_lo
	v_add_co_u32 v15, vcc_lo, v7, s28
	v_add_co_ci_u32_e32 v16, vcc_lo, s29, v8, vcc_lo
	global_store_b32 v[13:14], v6, off
	global_store_b32 v[15:16], v17, off
	s_waitcnt vmcnt(0)
	v_cmpx_lt_i32_e64 v19, v36
	s_cbranch_execz .LBB44_13
; %bb.15:                               ;   in Loop: Header=BB44_14 Depth=2
	v_ashrrev_i32_e32 v20, 31, v19
	s_mov_b32 s28, 0
                                        ; implicit-def: $sgpr29
                                        ; implicit-def: $sgpr31
                                        ; implicit-def: $sgpr30
	s_delay_alu instid0(VALU_DEP_1) | instskip(NEXT) | instid1(VALU_DEP_1)
	v_lshlrev_b64 v[17:18], 2, v[19:20]
	v_add_co_u32 v21, vcc_lo, s20, v17
	s_delay_alu instid0(VALU_DEP_2)
	v_add_co_ci_u32_e32 v22, vcc_lo, s21, v18, vcc_lo
	s_set_inst_prefetch_distance 0x1
	s_branch .LBB44_17
	.p2align	6
.LBB44_16:                              ;   in Loop: Header=BB44_17 Depth=3
	s_or_b32 exec_lo, exec_lo, s33
	s_delay_alu instid0(SALU_CYCLE_1) | instskip(NEXT) | instid1(SALU_CYCLE_1)
	s_and_b32 s1, exec_lo, s31
	s_or_b32 s28, s1, s28
	s_and_not1_b32 s1, s29, exec_lo
	s_and_b32 s29, s30, exec_lo
	s_delay_alu instid0(SALU_CYCLE_1)
	s_or_b32 s29, s1, s29
	s_and_not1_b32 exec_lo, exec_lo, s28
	s_cbranch_execz .LBB44_19
.LBB44_17:                              ;   Parent Loop BB44_10 Depth=1
                                        ;     Parent Loop BB44_14 Depth=2
                                        ; =>    This Inner Loop Header: Depth=3
	global_load_b32 v17, v[21:22], off
	s_or_b32 s30, s30, exec_lo
	s_or_b32 s31, s31, exec_lo
	s_mov_b32 s33, exec_lo
	s_waitcnt vmcnt(0)
	v_subrev_nc_u32_e32 v35, s10, v17
	v_dual_mov_b32 v17, v19 :: v_dual_mov_b32 v18, v20
                                        ; implicit-def: $vgpr19_vgpr20
	s_delay_alu instid0(VALU_DEP_2)
	v_cmpx_lt_i32_e64 v35, v3
	s_cbranch_execz .LBB44_16
; %bb.18:                               ;   in Loop: Header=BB44_17 Depth=3
	s_delay_alu instid0(VALU_DEP_2) | instskip(NEXT) | instid1(VALU_DEP_3)
	v_add_co_u32 v19, vcc_lo, v17, 1
	v_add_co_ci_u32_e32 v20, vcc_lo, 0, v18, vcc_lo
	v_add_co_u32 v21, s1, v21, 4
	s_delay_alu instid0(VALU_DEP_3) | instskip(SKIP_4) | instid1(SALU_CYCLE_1)
	v_cmp_ge_i32_e32 vcc_lo, v19, v36
	v_add_co_ci_u32_e64 v22, s1, 0, v22, s1
	s_and_not1_b32 s1, s31, exec_lo
	s_and_not1_b32 s30, s30, exec_lo
	s_and_b32 s31, vcc_lo, exec_lo
	s_or_b32 s31, s1, s31
	s_branch .LBB44_16
.LBB44_19:                              ;   in Loop: Header=BB44_14 Depth=2
	s_set_inst_prefetch_distance 0x2
	s_or_b32 exec_lo, exec_lo, s28
	v_lshlrev_b64 v[18:19], 2, v[17:18]
	s_xor_b32 s1, s29, -1
	s_delay_alu instid0(SALU_CYCLE_1) | instskip(NEXT) | instid1(SALU_CYCLE_1)
	s_and_saveexec_b32 s28, s1
	s_xor_b32 s1, exec_lo, s28
	s_cbranch_execz .LBB44_21
; %bb.20:                               ;   in Loop: Header=BB44_14 Depth=2
	s_delay_alu instid0(VALU_DEP_1)
	v_add_co_u32 v11, vcc_lo, s2, v18
	v_add_co_ci_u32_e32 v12, vcc_lo, s3, v19, vcc_lo
                                        ; implicit-def: $vgpr18_vgpr19
	global_load_b32 v11, v[11:12], off
	s_waitcnt vmcnt(0)
	global_store_b32 v[13:14], v11, off
	global_store_b32 v[15:16], v35, off
                                        ; implicit-def: $vgpr13_vgpr14
                                        ; implicit-def: $vgpr15_vgpr16
                                        ; implicit-def: $vgpr11_vgpr12
.LBB44_21:                              ;   in Loop: Header=BB44_14 Depth=2
	s_and_not1_saveexec_b32 s1, s1
	s_cbranch_execz .LBB44_12
; %bb.22:                               ;   in Loop: Header=BB44_14 Depth=2
	v_add_co_u32 v18, vcc_lo, s2, v18
	v_add_co_ci_u32_e32 v19, vcc_lo, s3, v19, vcc_lo
	v_min_i32_e32 v5, v35, v5
	global_load_b32 v18, v[18:19], off
	global_store_b32 v[15:16], v35, off
	s_waitcnt vmcnt(0)
	global_store_b32 v[13:14], v18, off
	global_store_b32 v[11:12], v17, off
	s_branch .LBB44_12
.LBB44_23:                              ;   in Loop: Header=BB44_10 Depth=1
	ds_bpermute_b32 v3, v28, v5
	s_waitcnt lgkmcnt(0)
	v_min_i32_e32 v3, v3, v5
	ds_bpermute_b32 v5, v29, v3
	s_waitcnt lgkmcnt(0)
	v_min_i32_e32 v3, v5, v3
	;; [unrolled: 3-line block ×5, first 2 shown]
	s_delay_alu instid0(VALU_DEP_1) | instskip(SKIP_1) | instid1(SALU_CYCLE_1)
	v_cmp_gt_i32_e32 vcc_lo, s6, v3
	s_and_b32 s22, s0, vcc_lo
	s_and_saveexec_b32 s1, s22
	s_cbranch_execz .LBB44_27
; %bb.24:                               ;   in Loop: Header=BB44_10 Depth=1
	v_sub_nc_u32_e32 v5, 0, v3
	s_mov_b32 s22, exec_lo
	s_delay_alu instid0(VALU_DEP_1) | instskip(NEXT) | instid1(VALU_DEP_1)
	v_max_i32_e32 v5, v3, v5
	v_mul_hi_u32 v11, v5, v33
	s_delay_alu instid0(VALU_DEP_1) | instskip(NEXT) | instid1(VALU_DEP_1)
	v_mul_lo_u32 v12, v11, s12
	v_sub_nc_u32_e32 v5, v5, v12
	s_delay_alu instid0(VALU_DEP_1) | instskip(SKIP_1) | instid1(VALU_DEP_2)
	v_subrev_nc_u32_e32 v13, s12, v5
	v_cmp_le_u32_e32 vcc_lo, s12, v5
	v_dual_cndmask_b32 v5, v5, v13 :: v_dual_add_nc_u32 v12, 1, v11
	s_delay_alu instid0(VALU_DEP_1) | instskip(SKIP_1) | instid1(VALU_DEP_3)
	v_cndmask_b32_e32 v11, v11, v12, vcc_lo
	v_ashrrev_i32_e32 v12, 31, v3
	v_cmp_le_u32_e32 vcc_lo, s12, v5
	s_delay_alu instid0(VALU_DEP_3) | instskip(NEXT) | instid1(VALU_DEP_3)
	v_add_nc_u32_e32 v13, 1, v11
	v_xor_b32_e32 v12, s14, v12
	s_delay_alu instid0(VALU_DEP_2) | instskip(NEXT) | instid1(VALU_DEP_1)
	v_cndmask_b32_e32 v5, v11, v13, vcc_lo
	v_xor_b32_e32 v5, v5, v12
	s_delay_alu instid0(VALU_DEP_1) | instskip(NEXT) | instid1(VALU_DEP_1)
	v_sub_nc_u32_e32 v5, v5, v12
	v_cmpx_ge_i32_e64 v5, v27
	s_cbranch_execz .LBB44_26
; %bb.25:                               ;   in Loop: Header=BB44_10 Depth=1
	v_add_nc_u32_e32 v11, s7, v34
	v_add_nc_u32_e32 v27, 1, v5
	;; [unrolled: 1-line block ×4, first 2 shown]
	s_delay_alu instid0(VALU_DEP_4) | instskip(NEXT) | instid1(VALU_DEP_1)
	v_ashrrev_i32_e32 v12, 31, v11
	v_lshlrev_b64 v[11:12], 2, v[11:12]
	s_delay_alu instid0(VALU_DEP_1) | instskip(NEXT) | instid1(VALU_DEP_2)
	v_add_co_u32 v11, vcc_lo, s16, v11
	v_add_co_ci_u32_e32 v12, vcc_lo, s17, v12, vcc_lo
	global_store_b32 v[11:12], v5, off
.LBB44_26:                              ;   in Loop: Header=BB44_10 Depth=1
	s_or_b32 exec_lo, exec_lo, s22
.LBB44_27:                              ;   in Loop: Header=BB44_10 Depth=1
	s_delay_alu instid0(SALU_CYCLE_1)
	s_or_b32 exec_lo, exec_lo, s1
	ds_bpermute_b32 v19, v23, v3
	ds_bpermute_b32 v34, v23, v34
	s_and_not1_b32 vcc_lo, exec_lo, s11
	s_cbranch_vccnz .LBB44_9
; %bb.28:                               ;   in Loop: Header=BB44_10 Depth=1
	s_waitcnt lgkmcnt(1)
	v_sub_nc_u32_e32 v3, 0, v19
	s_waitcnt lgkmcnt(0)
	v_add_nc_u32_e32 v13, s13, v34
	s_mov_b32 s1, s9
	s_delay_alu instid0(VALU_DEP_2) | instskip(NEXT) | instid1(VALU_DEP_2)
	v_max_i32_e32 v3, v19, v3
	v_ashrrev_i32_e32 v14, 31, v13
	v_mul_lo_u32 v15, s5, v13
	s_delay_alu instid0(VALU_DEP_3) | instskip(NEXT) | instid1(VALU_DEP_1)
	v_mul_hi_u32 v5, v3, v33
	v_mul_lo_u32 v11, v5, s12
	s_delay_alu instid0(VALU_DEP_1) | instskip(SKIP_2) | instid1(VALU_DEP_3)
	v_sub_nc_u32_e32 v3, v3, v11
	v_mad_u64_u32 v[11:12], null, s24, v13, 0
	v_mul_lo_u32 v13, s24, v14
	v_subrev_nc_u32_e32 v14, s12, v3
	v_cmp_le_u32_e32 vcc_lo, s12, v3
	s_delay_alu instid0(VALU_DEP_2) | instskip(NEXT) | instid1(VALU_DEP_1)
	v_dual_cndmask_b32 v3, v3, v14 :: v_dual_add_nc_u32 v16, 1, v5
	v_cndmask_b32_e32 v5, v5, v16, vcc_lo
	v_ashrrev_i32_e32 v16, 31, v19
	v_add3_u32 v12, v12, v13, v15
	s_delay_alu instid0(VALU_DEP_4) | instskip(NEXT) | instid1(VALU_DEP_4)
	v_cmp_le_u32_e32 vcc_lo, s12, v3
	v_add_nc_u32_e32 v14, 1, v5
	s_delay_alu instid0(VALU_DEP_4) | instskip(NEXT) | instid1(VALU_DEP_4)
	v_xor_b32_e32 v17, s14, v16
	v_lshlrev_b64 v[15:16], 2, v[11:12]
	v_dual_mov_b32 v12, v10 :: v_dual_mov_b32 v11, v9
	s_delay_alu instid0(VALU_DEP_4) | instskip(SKIP_1) | instid1(VALU_DEP_4)
	v_dual_cndmask_b32 v5, v5, v14 :: v_dual_mov_b32 v14, v8
	v_mov_b32_e32 v13, v7
	v_add_co_u32 v20, vcc_lo, s18, v15
	s_delay_alu instid0(VALU_DEP_3) | instskip(SKIP_2) | instid1(VALU_DEP_3)
	v_xor_b32_e32 v5, v5, v17
	v_mov_b32_e32 v3, v0
	v_add_co_ci_u32_e32 v21, vcc_lo, s19, v16, vcc_lo
	v_sub_nc_u32_e32 v22, v5, v17
	v_mov_b32_e32 v5, v24
	s_branch .LBB44_31
.LBB44_29:                              ;   in Loop: Header=BB44_31 Depth=2
	s_delay_alu instid0(VALU_DEP_1) | instskip(NEXT) | instid1(VALU_DEP_2)
	v_lshlrev_b64 v[17:18], 2, v[17:18]
	v_lshlrev_b64 v[15:16], 2, v[15:16]
	s_delay_alu instid0(VALU_DEP_2) | instskip(NEXT) | instid1(VALU_DEP_3)
	v_add_co_u32 v17, vcc_lo, v20, v17
	v_add_co_ci_u32_e32 v18, vcc_lo, v21, v18, vcc_lo
	s_delay_alu instid0(VALU_DEP_2) | instskip(NEXT) | instid1(VALU_DEP_2)
	v_add_co_u32 v15, vcc_lo, v17, v15
	v_add_co_ci_u32_e32 v16, vcc_lo, v18, v16, vcc_lo
	s_waitcnt vmcnt(0)
	global_store_b32 v[15:16], v35, off
.LBB44_30:                              ;   in Loop: Header=BB44_31 Depth=2
	s_or_b32 exec_lo, exec_lo, s22
	v_add_co_u32 v13, vcc_lo, v13, 4
	v_add_co_ci_u32_e32 v14, vcc_lo, 0, v14, vcc_lo
	v_add_co_u32 v11, vcc_lo, v11, 4
	v_add_nc_u32_e32 v5, s15, v5
	v_add_nc_u32_e32 v3, 32, v3
	v_add_co_ci_u32_e32 v12, vcc_lo, 0, v12, vcc_lo
	s_add_i32 s1, s1, -1
	s_delay_alu instid0(SALU_CYCLE_1)
	s_cmp_eq_u32 s1, 0
	s_cbranch_scc1 .LBB44_9
.LBB44_31:                              ;   Parent Loop BB44_10 Depth=1
                                        ; =>  This Inner Loop Header: Depth=2
	global_load_b32 v15, v[13:14], off
	s_mov_b32 s22, exec_lo
	s_waitcnt vmcnt(0)
	v_cmpx_gt_i32_e64 s6, v15
	s_cbranch_execz .LBB44_30
; %bb.32:                               ;   in Loop: Header=BB44_31 Depth=2
	v_sub_nc_u32_e32 v16, 0, v15
	v_ashrrev_i32_e32 v37, 31, v15
	s_delay_alu instid0(VALU_DEP_2) | instskip(NEXT) | instid1(VALU_DEP_2)
	v_max_i32_e32 v16, v15, v16
	v_xor_b32_e32 v35, s14, v37
	s_delay_alu instid0(VALU_DEP_2) | instskip(NEXT) | instid1(VALU_DEP_1)
	v_mul_hi_u32 v17, v16, v33
	v_mul_lo_u32 v18, v17, s12
	s_delay_alu instid0(VALU_DEP_1) | instskip(NEXT) | instid1(VALU_DEP_1)
	v_sub_nc_u32_e32 v36, v16, v18
	v_subrev_nc_u32_e32 v38, s12, v36
	v_cmp_le_u32_e32 vcc_lo, s12, v36
	v_add_nc_u32_e32 v16, 1, v17
	s_delay_alu instid0(VALU_DEP_1) | instskip(NEXT) | instid1(VALU_DEP_1)
	v_dual_cndmask_b32 v16, v17, v16 :: v_dual_cndmask_b32 v17, v36, v38
	v_add_nc_u32_e32 v18, 1, v16
	s_delay_alu instid0(VALU_DEP_2) | instskip(NEXT) | instid1(VALU_DEP_2)
	v_cmp_le_u32_e32 vcc_lo, s12, v17
	v_cndmask_b32_e32 v16, v16, v18, vcc_lo
	s_delay_alu instid0(VALU_DEP_1) | instskip(NEXT) | instid1(VALU_DEP_1)
	v_xor_b32_e32 v16, v16, v35
	v_sub_nc_u32_e32 v16, v16, v35
	s_delay_alu instid0(VALU_DEP_1)
	v_cmp_eq_u32_e32 vcc_lo, v16, v22
	s_and_b32 exec_lo, exec_lo, vcc_lo
	s_cbranch_execz .LBB44_30
; %bb.33:                               ;   in Loop: Header=BB44_31 Depth=2
	global_load_b32 v35, v[11:12], off
	s_and_b32 vcc_lo, exec_lo, s4
	s_cbranch_vccz .LBB44_35
; %bb.34:                               ;   in Loop: Header=BB44_31 Depth=2
	v_mul_lo_u32 v16, v22, s8
	s_delay_alu instid0(VALU_DEP_1) | instskip(NEXT) | instid1(VALU_DEP_1)
	v_sub_nc_u32_e32 v15, v15, v16
	v_mul_lo_u32 v17, v15, s8
	v_dual_mov_b32 v16, v4 :: v_dual_mov_b32 v15, v3
	s_delay_alu instid0(VALU_DEP_2)
	v_ashrrev_i32_e32 v18, 31, v17
	s_cbranch_execnz .LBB44_29
	s_branch .LBB44_36
.LBB44_35:                              ;   in Loop: Header=BB44_31 Depth=2
                                        ; implicit-def: $vgpr15_vgpr16
                                        ; implicit-def: $vgpr17_vgpr18
.LBB44_36:                              ;   in Loop: Header=BB44_31 Depth=2
	v_cmp_le_u32_e32 vcc_lo, s12, v36
	v_dual_mov_b32 v18, v6 :: v_dual_mov_b32 v17, v5
	v_cndmask_b32_e32 v15, v36, v38, vcc_lo
	s_delay_alu instid0(VALU_DEP_1) | instskip(SKIP_1) | instid1(VALU_DEP_2)
	v_subrev_nc_u32_e32 v16, s12, v15
	v_cmp_le_u32_e32 vcc_lo, s12, v15
	v_cndmask_b32_e32 v15, v15, v16, vcc_lo
	s_delay_alu instid0(VALU_DEP_1) | instskip(NEXT) | instid1(VALU_DEP_1)
	v_xor_b32_e32 v15, v15, v37
	v_sub_nc_u32_e32 v15, v15, v37
	s_delay_alu instid0(VALU_DEP_1)
	v_ashrrev_i32_e32 v16, 31, v15
	s_branch .LBB44_29
.LBB44_37:
	s_nop 0
	s_sendmsg sendmsg(MSG_DEALLOC_VGPRS)
	s_endpgm
	.section	.rodata,"a",@progbits
	.p2align	6, 0x0
	.amdhsa_kernel _ZN9rocsparseL21csr2bsr_65_inf_kernelILj32EfiiEEv20rocsparse_direction_T2_S2_S2_S2_S2_S2_21rocsparse_index_base_PKT0_PKT1_PKS2_S3_PS4_PS7_PS2_SD_SE_SC_
		.amdhsa_group_segment_fixed_size 0
		.amdhsa_private_segment_fixed_size 0
		.amdhsa_kernarg_size 112
		.amdhsa_user_sgpr_count 15
		.amdhsa_user_sgpr_dispatch_ptr 0
		.amdhsa_user_sgpr_queue_ptr 0
		.amdhsa_user_sgpr_kernarg_segment_ptr 1
		.amdhsa_user_sgpr_dispatch_id 0
		.amdhsa_user_sgpr_private_segment_size 0
		.amdhsa_wavefront_size32 1
		.amdhsa_uses_dynamic_stack 0
		.amdhsa_enable_private_segment 0
		.amdhsa_system_sgpr_workgroup_id_x 1
		.amdhsa_system_sgpr_workgroup_id_y 0
		.amdhsa_system_sgpr_workgroup_id_z 0
		.amdhsa_system_sgpr_workgroup_info 0
		.amdhsa_system_vgpr_workitem_id 0
		.amdhsa_next_free_vgpr 39
		.amdhsa_next_free_sgpr 34
		.amdhsa_reserve_vcc 1
		.amdhsa_float_round_mode_32 0
		.amdhsa_float_round_mode_16_64 0
		.amdhsa_float_denorm_mode_32 3
		.amdhsa_float_denorm_mode_16_64 3
		.amdhsa_dx10_clamp 1
		.amdhsa_ieee_mode 1
		.amdhsa_fp16_overflow 0
		.amdhsa_workgroup_processor_mode 1
		.amdhsa_memory_ordered 1
		.amdhsa_forward_progress 0
		.amdhsa_shared_vgpr_count 0
		.amdhsa_exception_fp_ieee_invalid_op 0
		.amdhsa_exception_fp_denorm_src 0
		.amdhsa_exception_fp_ieee_div_zero 0
		.amdhsa_exception_fp_ieee_overflow 0
		.amdhsa_exception_fp_ieee_underflow 0
		.amdhsa_exception_fp_ieee_inexact 0
		.amdhsa_exception_int_div_zero 0
	.end_amdhsa_kernel
	.section	.text._ZN9rocsparseL21csr2bsr_65_inf_kernelILj32EfiiEEv20rocsparse_direction_T2_S2_S2_S2_S2_S2_21rocsparse_index_base_PKT0_PKT1_PKS2_S3_PS4_PS7_PS2_SD_SE_SC_,"axG",@progbits,_ZN9rocsparseL21csr2bsr_65_inf_kernelILj32EfiiEEv20rocsparse_direction_T2_S2_S2_S2_S2_S2_21rocsparse_index_base_PKT0_PKT1_PKS2_S3_PS4_PS7_PS2_SD_SE_SC_,comdat
.Lfunc_end44:
	.size	_ZN9rocsparseL21csr2bsr_65_inf_kernelILj32EfiiEEv20rocsparse_direction_T2_S2_S2_S2_S2_S2_21rocsparse_index_base_PKT0_PKT1_PKS2_S3_PS4_PS7_PS2_SD_SE_SC_, .Lfunc_end44-_ZN9rocsparseL21csr2bsr_65_inf_kernelILj32EfiiEEv20rocsparse_direction_T2_S2_S2_S2_S2_S2_21rocsparse_index_base_PKT0_PKT1_PKS2_S3_PS4_PS7_PS2_SD_SE_SC_
                                        ; -- End function
	.section	.AMDGPU.csdata,"",@progbits
; Kernel info:
; codeLenInByte = 2240
; NumSgprs: 36
; NumVgprs: 39
; ScratchSize: 0
; MemoryBound: 0
; FloatMode: 240
; IeeeMode: 1
; LDSByteSize: 0 bytes/workgroup (compile time only)
; SGPRBlocks: 4
; VGPRBlocks: 4
; NumSGPRsForWavesPerEU: 36
; NumVGPRsForWavesPerEU: 39
; Occupancy: 16
; WaveLimiterHint : 0
; COMPUTE_PGM_RSRC2:SCRATCH_EN: 0
; COMPUTE_PGM_RSRC2:USER_SGPR: 15
; COMPUTE_PGM_RSRC2:TRAP_HANDLER: 0
; COMPUTE_PGM_RSRC2:TGID_X_EN: 1
; COMPUTE_PGM_RSRC2:TGID_Y_EN: 0
; COMPUTE_PGM_RSRC2:TGID_Z_EN: 0
; COMPUTE_PGM_RSRC2:TIDIG_COMP_CNT: 0
	.section	.text._ZN9rocsparseL35csr2bsr_block_dim_equals_one_kernelILj256EfliEEvT2_S1_S1_S1_21rocsparse_index_base_PKT0_PKT1_PKS1_S2_PS3_PS6_PS1_,"axG",@progbits,_ZN9rocsparseL35csr2bsr_block_dim_equals_one_kernelILj256EfliEEvT2_S1_S1_S1_21rocsparse_index_base_PKT0_PKT1_PKS1_S2_PS3_PS6_PS1_,comdat
	.globl	_ZN9rocsparseL35csr2bsr_block_dim_equals_one_kernelILj256EfliEEvT2_S1_S1_S1_21rocsparse_index_base_PKT0_PKT1_PKS1_S2_PS3_PS6_PS1_ ; -- Begin function _ZN9rocsparseL35csr2bsr_block_dim_equals_one_kernelILj256EfliEEvT2_S1_S1_S1_21rocsparse_index_base_PKT0_PKT1_PKS1_S2_PS3_PS6_PS1_
	.p2align	8
	.type	_ZN9rocsparseL35csr2bsr_block_dim_equals_one_kernelILj256EfliEEvT2_S1_S1_S1_21rocsparse_index_base_PKT0_PKT1_PKS1_S2_PS3_PS6_PS1_,@function
_ZN9rocsparseL35csr2bsr_block_dim_equals_one_kernelILj256EfliEEvT2_S1_S1_S1_21rocsparse_index_base_PKT0_PKT1_PKS1_S2_PS3_PS6_PS1_: ; @_ZN9rocsparseL35csr2bsr_block_dim_equals_one_kernelILj256EfliEEvT2_S1_S1_S1_21rocsparse_index_base_PKT0_PKT1_PKS1_S2_PS3_PS6_PS1_
; %bb.0:
	s_clause 0x1
	s_load_b32 s2, s[0:1], 0x0
	s_load_b128 s[4:7], s[0:1], 0x18
	v_lshl_or_b32 v0, s15, 8, v0
	s_delay_alu instid0(VALU_DEP_1) | instskip(SKIP_2) | instid1(SALU_CYCLE_1)
	v_ashrrev_i32_e32 v1, 31, v0
	s_waitcnt lgkmcnt(0)
	s_ashr_i32 s3, s2, 31
	s_lshl_b64 s[2:3], s[2:3], 3
	s_delay_alu instid0(SALU_CYCLE_1)
	s_add_u32 s2, s6, s2
	s_addc_u32 s3, s7, s3
	s_clause 0x1
	s_load_b64 s[2:3], s[2:3], 0x0
	s_load_b64 s[6:7], s[6:7], 0x0
	s_waitcnt lgkmcnt(0)
	s_sub_u32 s2, s2, s6
	s_subb_u32 s3, s3, s7
	s_mov_b32 s6, exec_lo
	v_cmpx_gt_i64_e64 s[2:3], v[0:1]
	s_cbranch_execz .LBB45_3
; %bb.1:
	s_clause 0x5
	s_load_b32 s12, s[0:1], 0x50
	s_load_b32 s14, s[0:1], 0x30
	s_load_b64 s[6:7], s[0:1], 0x38
	s_load_b32 s15, s[0:1], 0x10
	s_load_b64 s[8:9], s[0:1], 0x28
	s_load_b64 s[10:11], s[0:1], 0x48
	v_lshlrev_b64 v[2:3], 2, v[0:1]
	s_mov_b32 s13, 0
	s_waitcnt lgkmcnt(0)
	s_lshl_b32 s12, s12, 8
	s_sub_i32 s1, s14, s15
	s_lshl_b64 s[14:15], s[12:13], 2
	.p2align	6
.LBB45_2:                               ; =>This Inner Loop Header: Depth=1
	v_add_co_u32 v4, vcc_lo, s8, v2
	v_add_co_ci_u32_e32 v5, vcc_lo, s9, v3, vcc_lo
	v_add_co_u32 v6, vcc_lo, s4, v2
	v_add_co_ci_u32_e32 v7, vcc_lo, s5, v3, vcc_lo
	global_load_b32 v8, v[4:5], off
	global_load_b32 v9, v[6:7], off
	v_add_co_u32 v4, vcc_lo, s10, v2
	v_add_co_ci_u32_e32 v5, vcc_lo, s11, v3, vcc_lo
	v_add_co_u32 v0, vcc_lo, v0, s12
	v_add_co_ci_u32_e32 v1, vcc_lo, 0, v1, vcc_lo
	v_add_co_u32 v6, vcc_lo, s6, v2
	v_add_co_ci_u32_e32 v7, vcc_lo, s7, v3, vcc_lo
	s_delay_alu instid0(VALU_DEP_3) | instskip(SKIP_1) | instid1(VALU_DEP_1)
	v_cmp_le_i64_e32 vcc_lo, s[2:3], v[0:1]
	v_add_co_u32 v2, s0, v2, s14
	v_add_co_ci_u32_e64 v3, s0, s15, v3, s0
	s_or_b32 s13, vcc_lo, s13
	s_waitcnt vmcnt(1)
	v_add_nc_u32_e32 v8, s1, v8
	s_waitcnt vmcnt(0)
	global_store_b32 v[6:7], v9, off
	global_store_b32 v[4:5], v8, off
	s_and_not1_b32 exec_lo, exec_lo, s13
	s_cbranch_execnz .LBB45_2
.LBB45_3:
	s_nop 0
	s_sendmsg sendmsg(MSG_DEALLOC_VGPRS)
	s_endpgm
	.section	.rodata,"a",@progbits
	.p2align	6, 0x0
	.amdhsa_kernel _ZN9rocsparseL35csr2bsr_block_dim_equals_one_kernelILj256EfliEEvT2_S1_S1_S1_21rocsparse_index_base_PKT0_PKT1_PKS1_S2_PS3_PS6_PS1_
		.amdhsa_group_segment_fixed_size 0
		.amdhsa_private_segment_fixed_size 0
		.amdhsa_kernarg_size 336
		.amdhsa_user_sgpr_count 15
		.amdhsa_user_sgpr_dispatch_ptr 0
		.amdhsa_user_sgpr_queue_ptr 0
		.amdhsa_user_sgpr_kernarg_segment_ptr 1
		.amdhsa_user_sgpr_dispatch_id 0
		.amdhsa_user_sgpr_private_segment_size 0
		.amdhsa_wavefront_size32 1
		.amdhsa_uses_dynamic_stack 0
		.amdhsa_enable_private_segment 0
		.amdhsa_system_sgpr_workgroup_id_x 1
		.amdhsa_system_sgpr_workgroup_id_y 0
		.amdhsa_system_sgpr_workgroup_id_z 0
		.amdhsa_system_sgpr_workgroup_info 0
		.amdhsa_system_vgpr_workitem_id 0
		.amdhsa_next_free_vgpr 10
		.amdhsa_next_free_sgpr 16
		.amdhsa_reserve_vcc 1
		.amdhsa_float_round_mode_32 0
		.amdhsa_float_round_mode_16_64 0
		.amdhsa_float_denorm_mode_32 3
		.amdhsa_float_denorm_mode_16_64 3
		.amdhsa_dx10_clamp 1
		.amdhsa_ieee_mode 1
		.amdhsa_fp16_overflow 0
		.amdhsa_workgroup_processor_mode 1
		.amdhsa_memory_ordered 1
		.amdhsa_forward_progress 0
		.amdhsa_shared_vgpr_count 0
		.amdhsa_exception_fp_ieee_invalid_op 0
		.amdhsa_exception_fp_denorm_src 0
		.amdhsa_exception_fp_ieee_div_zero 0
		.amdhsa_exception_fp_ieee_overflow 0
		.amdhsa_exception_fp_ieee_underflow 0
		.amdhsa_exception_fp_ieee_inexact 0
		.amdhsa_exception_int_div_zero 0
	.end_amdhsa_kernel
	.section	.text._ZN9rocsparseL35csr2bsr_block_dim_equals_one_kernelILj256EfliEEvT2_S1_S1_S1_21rocsparse_index_base_PKT0_PKT1_PKS1_S2_PS3_PS6_PS1_,"axG",@progbits,_ZN9rocsparseL35csr2bsr_block_dim_equals_one_kernelILj256EfliEEvT2_S1_S1_S1_21rocsparse_index_base_PKT0_PKT1_PKS1_S2_PS3_PS6_PS1_,comdat
.Lfunc_end45:
	.size	_ZN9rocsparseL35csr2bsr_block_dim_equals_one_kernelILj256EfliEEvT2_S1_S1_S1_21rocsparse_index_base_PKT0_PKT1_PKS1_S2_PS3_PS6_PS1_, .Lfunc_end45-_ZN9rocsparseL35csr2bsr_block_dim_equals_one_kernelILj256EfliEEvT2_S1_S1_S1_21rocsparse_index_base_PKT0_PKT1_PKS1_S2_PS3_PS6_PS1_
                                        ; -- End function
	.section	.AMDGPU.csdata,"",@progbits
; Kernel info:
; codeLenInByte = 340
; NumSgprs: 18
; NumVgprs: 10
; ScratchSize: 0
; MemoryBound: 0
; FloatMode: 240
; IeeeMode: 1
; LDSByteSize: 0 bytes/workgroup (compile time only)
; SGPRBlocks: 2
; VGPRBlocks: 1
; NumSGPRsForWavesPerEU: 18
; NumVGPRsForWavesPerEU: 10
; Occupancy: 16
; WaveLimiterHint : 0
; COMPUTE_PGM_RSRC2:SCRATCH_EN: 0
; COMPUTE_PGM_RSRC2:USER_SGPR: 15
; COMPUTE_PGM_RSRC2:TRAP_HANDLER: 0
; COMPUTE_PGM_RSRC2:TGID_X_EN: 1
; COMPUTE_PGM_RSRC2:TGID_Y_EN: 0
; COMPUTE_PGM_RSRC2:TGID_Z_EN: 0
; COMPUTE_PGM_RSRC2:TIDIG_COMP_CNT: 0
	.section	.text._ZN9rocsparseL42csr2bsr_wavefront_per_row_multipass_kernelILj256ELj16ELj4EfliEEv20rocsparse_direction_T4_S2_S2_S2_S2_21rocsparse_index_base_PKT2_PKT3_PKS2_S3_PS4_PS7_PS2_,"axG",@progbits,_ZN9rocsparseL42csr2bsr_wavefront_per_row_multipass_kernelILj256ELj16ELj4EfliEEv20rocsparse_direction_T4_S2_S2_S2_S2_21rocsparse_index_base_PKT2_PKT3_PKS2_S3_PS4_PS7_PS2_,comdat
	.globl	_ZN9rocsparseL42csr2bsr_wavefront_per_row_multipass_kernelILj256ELj16ELj4EfliEEv20rocsparse_direction_T4_S2_S2_S2_S2_21rocsparse_index_base_PKT2_PKT3_PKS2_S3_PS4_PS7_PS2_ ; -- Begin function _ZN9rocsparseL42csr2bsr_wavefront_per_row_multipass_kernelILj256ELj16ELj4EfliEEv20rocsparse_direction_T4_S2_S2_S2_S2_21rocsparse_index_base_PKT2_PKT3_PKS2_S3_PS4_PS7_PS2_
	.p2align	8
	.type	_ZN9rocsparseL42csr2bsr_wavefront_per_row_multipass_kernelILj256ELj16ELj4EfliEEv20rocsparse_direction_T4_S2_S2_S2_S2_21rocsparse_index_base_PKT2_PKT3_PKS2_S3_PS4_PS7_PS2_,@function
_ZN9rocsparseL42csr2bsr_wavefront_per_row_multipass_kernelILj256ELj16ELj4EfliEEv20rocsparse_direction_T4_S2_S2_S2_S2_21rocsparse_index_base_PKT2_PKT3_PKS2_S3_PS4_PS7_PS2_: ; @_ZN9rocsparseL42csr2bsr_wavefront_per_row_multipass_kernelILj256ELj16ELj4EfliEEv20rocsparse_direction_T4_S2_S2_S2_S2_21rocsparse_index_base_PKT2_PKT3_PKS2_S3_PS4_PS7_PS2_
; %bb.0:
	s_clause 0x1
	s_load_b128 s[4:7], s[0:1], 0xc
	s_load_b64 s[10:11], s[0:1], 0x0
	v_lshrrev_b32_e32 v20, 4, v0
	v_bfe_u32 v9, v0, 2, 2
	s_load_b64 s[8:9], s[0:1], 0x28
	v_mov_b32_e32 v1, 0
	v_mov_b32_e32 v2, 0
	v_lshl_or_b32 v5, s15, 4, v20
	s_delay_alu instid0(VALU_DEP_2) | instskip(SKIP_1) | instid1(VALU_DEP_2)
	v_dual_mov_b32 v8, v2 :: v_dual_mov_b32 v7, v1
	s_waitcnt lgkmcnt(0)
	v_mad_u64_u32 v[3:4], null, v5, s6, v[9:10]
	v_cmp_gt_i32_e32 vcc_lo, s6, v9
	s_delay_alu instid0(VALU_DEP_2) | instskip(NEXT) | instid1(VALU_DEP_1)
	v_cmp_gt_i32_e64 s2, s11, v3
	s_and_b32 s3, vcc_lo, s2
	s_delay_alu instid0(SALU_CYCLE_1)
	s_and_saveexec_b32 s11, s3
	s_cbranch_execz .LBB46_2
; %bb.1:
	v_ashrrev_i32_e32 v4, 31, v3
	s_delay_alu instid0(VALU_DEP_1) | instskip(NEXT) | instid1(VALU_DEP_1)
	v_lshlrev_b64 v[6:7], 3, v[3:4]
	v_add_co_u32 v6, s2, s8, v6
	s_delay_alu instid0(VALU_DEP_1) | instskip(SKIP_3) | instid1(VALU_DEP_1)
	v_add_co_ci_u32_e64 v7, s2, s9, v7, s2
	global_load_b64 v[7:8], v[6:7], off
	s_waitcnt vmcnt(0)
	v_sub_co_u32 v7, s2, v7, s7
	v_subrev_co_ci_u32_e64 v8, s2, 0, v8, s2
.LBB46_2:
	s_or_b32 exec_lo, exec_lo, s11
	s_and_saveexec_b32 s11, s3
	s_cbranch_execz .LBB46_4
; %bb.3:
	v_ashrrev_i32_e32 v4, 31, v3
	s_delay_alu instid0(VALU_DEP_1) | instskip(NEXT) | instid1(VALU_DEP_1)
	v_lshlrev_b64 v[1:2], 3, v[3:4]
	v_add_co_u32 v1, s2, s8, v1
	s_delay_alu instid0(VALU_DEP_1) | instskip(SKIP_3) | instid1(VALU_DEP_1)
	v_add_co_ci_u32_e64 v2, s2, s9, v2, s2
	global_load_b64 v[1:2], v[1:2], off offset:8
	s_waitcnt vmcnt(0)
	v_sub_co_u32 v1, s2, v1, s7
	v_subrev_co_ci_u32_e64 v2, s2, 0, v2, s2
.LBB46_4:
	s_or_b32 exec_lo, exec_lo, s11
	s_load_b32 s12, s[0:1], 0x38
	v_mov_b32_e32 v3, 0
	v_mov_b32_e32 v4, 0
	s_mov_b32 s3, exec_lo
	v_cmpx_gt_i32_e64 s4, v5
	s_cbranch_execz .LBB46_6
; %bb.5:
	s_load_b64 s[8:9], s[0:1], 0x48
	v_ashrrev_i32_e32 v6, 31, v5
	s_delay_alu instid0(VALU_DEP_1) | instskip(SKIP_1) | instid1(VALU_DEP_1)
	v_lshlrev_b64 v[3:4], 3, v[5:6]
	s_waitcnt lgkmcnt(0)
	v_add_co_u32 v3, s2, s8, v3
	s_delay_alu instid0(VALU_DEP_1) | instskip(SKIP_3) | instid1(VALU_DEP_1)
	v_add_co_ci_u32_e64 v4, s2, s9, v4, s2
	global_load_b64 v[3:4], v[3:4], off
	s_waitcnt vmcnt(0)
	v_sub_co_u32 v3, s2, v3, s12
	v_subrev_co_ci_u32_e64 v4, s2, 0, v4, s2
.LBB46_6:
	s_or_b32 exec_lo, exec_lo, s3
	s_cmp_lt_i32 s5, 1
	s_cbranch_scc1 .LBB46_21
; %bb.7:
	v_dual_mov_b32 v6, 0 :: v_dual_and_b32 v21, 3, v0
	s_load_b64 s[14:15], s[0:1], 0x40
	v_lshlrev_b32_e32 v14, 2, v9
	v_mbcnt_lo_u32_b32 v16, -1, 0
	s_delay_alu instid0(VALU_DEP_3) | instskip(SKIP_2) | instid1(VALU_DEP_4)
	v_mul_lo_u32 v5, v21, s6
	v_cmp_gt_u32_e64 s2, s6, v21
	v_mov_b32_e32 v31, 1
	v_xor_b32_e32 v17, 1, v16
	v_xor_b32_e32 v19, 8, v16
	s_delay_alu instid0(VALU_DEP_4)
	s_and_b32 s4, vcc_lo, s2
	s_load_b64 s[2:3], s[0:1], 0x50
	v_lshlrev_b64 v[10:11], 2, v[5:6]
	v_mul_lo_u32 v5, v9, s6
	s_load_b64 s[8:9], s[0:1], 0x30
	s_cmp_eq_u32 s10, 0
	s_load_b64 s[10:11], s[0:1], 0x20
	v_xor_b32_e32 v22, 4, v16
	s_mov_b32 s1, 0
	s_delay_alu instid0(VALU_DEP_2) | instskip(SKIP_3) | instid1(VALU_DEP_3)
	v_lshlrev_b64 v[12:13], 2, v[5:6]
	s_waitcnt lgkmcnt(0)
	v_add_co_u32 v5, vcc_lo, s14, v10
	v_add_co_ci_u32_e32 v10, vcc_lo, s15, v11, vcc_lo
	v_add_co_u32 v11, vcc_lo, s14, v12
	s_delay_alu instid0(VALU_DEP_4) | instskip(NEXT) | instid1(VALU_DEP_4)
	v_add_co_ci_u32_e32 v12, vcc_lo, s15, v13, vcc_lo
	v_add_co_u32 v13, vcc_lo, v5, v14
	s_delay_alu instid0(VALU_DEP_4) | instskip(SKIP_2) | instid1(VALU_DEP_1)
	v_add_co_ci_u32_e32 v15, vcc_lo, 0, v10, vcc_lo
	v_lshlrev_b32_e32 v9, 2, v21
	s_mul_i32 s15, s6, s6
	v_add_co_u32 v11, vcc_lo, v11, v9
	v_add_co_ci_u32_e32 v12, vcc_lo, 0, v12, vcc_lo
	s_cselect_b32 vcc_lo, -1, 0
	s_abs_i32 s13, s6
	s_delay_alu instid0(VALU_DEP_1)
	v_dual_mov_b32 v9, 0 :: v_dual_cndmask_b32 v28, v15, v12
	v_cvt_f32_u32_e32 v5, s13
	v_and_or_b32 v0, 0xf0, v0, v14
	v_xor_b32_e32 v14, 2, v16
	s_sub_i32 s14, 0, s13
	v_dual_cndmask_b32 v29, v13, v11 :: v_dual_lshlrev_b32 v18, 2, v16
	v_rcp_iflag_f32_e32 v5, v5
	s_delay_alu instid0(VALU_DEP_2) | instskip(SKIP_3) | instid1(VALU_DEP_3)
	v_cmp_gt_i32_e64 s0, 32, v14
	v_mov_b32_e32 v10, 0
	v_or_b32_e32 v23, v0, v21
	s_ashr_i32 s16, s6, 31
	v_cndmask_b32_e64 v14, v16, v14, s0
	v_cmp_gt_i32_e64 s0, 32, v17
	s_delay_alu instid0(VALU_DEP_3) | instskip(NEXT) | instid1(TRANS32_DEP_1)
	v_lshlrev_b32_e32 v23, 2, v23
	v_mul_f32_e32 v5, 0x4f7ffffe, v5
	s_delay_alu instid0(VALU_DEP_3) | instskip(SKIP_1) | instid1(VALU_DEP_3)
	v_cndmask_b32_e64 v17, v16, v17, s0
	v_cmp_gt_i32_e64 s0, 32, v19
	v_cvt_u32_f32_e32 v30, v5
	v_or_b32_e32 v5, 12, v18
	s_delay_alu instid0(VALU_DEP_4) | instskip(NEXT) | instid1(VALU_DEP_4)
	v_lshlrev_b32_e32 v25, 2, v17
	v_cndmask_b32_e64 v19, v16, v19, s0
	v_cmp_gt_i32_e64 s0, 32, v22
	v_mul_lo_u32 v24, s14, v30
	s_mul_hi_u32 s14, s6, s6
	s_delay_alu instid0(VALU_DEP_3) | instskip(NEXT) | instid1(VALU_DEP_3)
	v_lshlrev_b32_e32 v26, 2, v19
	v_cndmask_b32_e64 v16, v16, v22, s0
	v_or_b32_e32 v22, 60, v18
	s_delay_alu instid0(VALU_DEP_4) | instskip(SKIP_1) | instid1(VALU_DEP_4)
	v_mul_hi_u32 v18, v30, v24
	v_lshlrev_b32_e32 v24, 2, v14
	v_lshlrev_b32_e32 v27, 2, v16
	s_delay_alu instid0(VALU_DEP_3)
	v_add_nc_u32_e32 v30, v30, v18
	s_branch .LBB46_10
.LBB46_8:                               ;   in Loop: Header=BB46_10 Depth=1
	s_or_b32 exec_lo, exec_lo, s17
	v_mov_b32_e32 v10, 1
	v_mov_b32_e32 v11, 0
.LBB46_9:                               ;   in Loop: Header=BB46_10 Depth=1
	s_or_b32 exec_lo, exec_lo, s0
	ds_bpermute_b32 v9, v26, v32
	v_add_co_u32 v3, s0, v10, v3
	s_delay_alu instid0(VALU_DEP_1)
	v_add_co_ci_u32_e64 v4, s0, v11, v4, s0
	s_waitcnt lgkmcnt(0)
	s_waitcnt_vscnt null, 0x0
	buffer_gl0_inv
	buffer_gl0_inv
	v_min_i32_e32 v9, v9, v32
	ds_bpermute_b32 v12, v27, v9
	s_waitcnt lgkmcnt(0)
	v_min_i32_e32 v9, v12, v9
	ds_bpermute_b32 v12, v24, v9
	s_waitcnt lgkmcnt(0)
	;; [unrolled: 3-line block ×4, first 2 shown]
	v_cmp_le_i32_e32 vcc_lo, s5, v9
	v_ashrrev_i32_e32 v10, 31, v9
	s_or_b32 s1, vcc_lo, s1
	s_delay_alu instid0(SALU_CYCLE_1)
	s_and_not1_b32 exec_lo, exec_lo, s1
	s_cbranch_execz .LBB46_21
.LBB46_10:                              ; =>This Loop Header: Depth=1
                                        ;     Child Loop BB46_13 Depth 2
	v_add_co_u32 v7, vcc_lo, v7, v21
	v_mov_b32_e32 v16, v2
	v_add_co_ci_u32_e32 v8, vcc_lo, 0, v8, vcc_lo
	v_dual_mov_b32 v32, s5 :: v_dual_mov_b32 v15, v1
	s_mov_b32 s17, exec_lo
	ds_store_b8 v20, v6 offset:1024
	ds_store_b32 v23, v6
	s_waitcnt lgkmcnt(0)
	buffer_gl0_inv
	v_cmpx_lt_i64_e64 v[7:8], v[1:2]
	s_cbranch_execz .LBB46_18
; %bb.11:                               ;   in Loop: Header=BB46_10 Depth=1
	v_lshlrev_b64 v[13:14], 2, v[7:8]
	v_mov_b32_e32 v16, v2
	v_dual_mov_b32 v32, s5 :: v_dual_mov_b32 v15, v1
	s_mov_b32 s18, 0
	s_delay_alu instid0(VALU_DEP_3) | instskip(NEXT) | instid1(VALU_DEP_4)
	v_add_co_u32 v11, vcc_lo, s10, v13
	v_add_co_ci_u32_e32 v12, vcc_lo, s11, v14, vcc_lo
	v_add_co_u32 v13, vcc_lo, s8, v13
	v_add_co_ci_u32_e32 v14, vcc_lo, s9, v14, vcc_lo
	s_branch .LBB46_13
.LBB46_12:                              ;   in Loop: Header=BB46_13 Depth=2
	s_or_b32 exec_lo, exec_lo, s0
	v_add_co_u32 v7, s0, v7, 4
	s_delay_alu instid0(VALU_DEP_1) | instskip(SKIP_2) | instid1(VALU_DEP_2)
	v_add_co_ci_u32_e64 v8, s0, 0, v8, s0
	s_xor_b32 s19, vcc_lo, -1
	v_add_co_u32 v11, vcc_lo, v11, 16
	v_cmp_ge_i64_e64 s0, v[7:8], v[1:2]
	v_add_co_ci_u32_e32 v12, vcc_lo, 0, v12, vcc_lo
	v_add_co_u32 v13, vcc_lo, v13, 16
	v_add_co_ci_u32_e32 v14, vcc_lo, 0, v14, vcc_lo
	s_delay_alu instid0(VALU_DEP_4) | instskip(NEXT) | instid1(SALU_CYCLE_1)
	s_or_b32 s0, s19, s0
	s_and_b32 s0, exec_lo, s0
	s_delay_alu instid0(SALU_CYCLE_1) | instskip(NEXT) | instid1(SALU_CYCLE_1)
	s_or_b32 s18, s0, s18
	s_and_not1_b32 exec_lo, exec_lo, s18
	s_cbranch_execz .LBB46_17
.LBB46_13:                              ;   Parent Loop BB46_10 Depth=1
                                        ; =>  This Inner Loop Header: Depth=2
	global_load_b32 v17, v[13:14], off
	s_waitcnt vmcnt(0)
	v_subrev_nc_u32_e32 v33, s7, v17
	s_delay_alu instid0(VALU_DEP_1) | instskip(NEXT) | instid1(VALU_DEP_1)
	v_sub_nc_u32_e32 v17, 0, v33
	v_max_i32_e32 v17, v33, v17
	s_delay_alu instid0(VALU_DEP_1) | instskip(NEXT) | instid1(VALU_DEP_1)
	v_mul_hi_u32 v18, v17, v30
	v_mul_lo_u32 v19, v18, s13
	s_delay_alu instid0(VALU_DEP_1) | instskip(SKIP_1) | instid1(VALU_DEP_2)
	v_sub_nc_u32_e32 v17, v17, v19
	v_add_nc_u32_e32 v19, 1, v18
	v_subrev_nc_u32_e32 v34, s13, v17
	v_cmp_le_u32_e32 vcc_lo, s13, v17
	s_delay_alu instid0(VALU_DEP_2) | instskip(SKIP_1) | instid1(VALU_DEP_2)
	v_dual_cndmask_b32 v18, v18, v19 :: v_dual_cndmask_b32 v17, v17, v34
	v_ashrrev_i32_e32 v19, 31, v33
	v_add_nc_u32_e32 v34, 1, v18
	s_delay_alu instid0(VALU_DEP_3) | instskip(NEXT) | instid1(VALU_DEP_3)
	v_cmp_le_u32_e32 vcc_lo, s13, v17
	v_xor_b32_e32 v19, s16, v19
	s_delay_alu instid0(VALU_DEP_3) | instskip(NEXT) | instid1(VALU_DEP_1)
	v_cndmask_b32_e32 v17, v18, v34, vcc_lo
	v_xor_b32_e32 v17, v17, v19
	s_delay_alu instid0(VALU_DEP_1) | instskip(NEXT) | instid1(VALU_DEP_1)
	v_sub_nc_u32_e32 v17, v17, v19
	v_ashrrev_i32_e32 v18, 31, v17
	s_delay_alu instid0(VALU_DEP_1) | instskip(SKIP_2) | instid1(VALU_DEP_2)
	v_cmp_eq_u64_e32 vcc_lo, v[9:10], v[17:18]
	v_cmp_ne_u64_e64 s0, v[9:10], v[17:18]
	v_dual_mov_b32 v19, v16 :: v_dual_mov_b32 v18, v15
	s_and_saveexec_b32 s19, s0
	s_delay_alu instid0(SALU_CYCLE_1)
	s_xor_b32 s0, exec_lo, s19
; %bb.14:                               ;   in Loop: Header=BB46_13 Depth=2
	v_min_i32_e32 v32, v17, v32
                                        ; implicit-def: $vgpr17
                                        ; implicit-def: $vgpr33
                                        ; implicit-def: $vgpr18_vgpr19
; %bb.15:                               ;   in Loop: Header=BB46_13 Depth=2
	s_or_saveexec_b32 s0, s0
	v_dual_mov_b32 v16, v8 :: v_dual_mov_b32 v15, v7
	s_xor_b32 exec_lo, exec_lo, s0
	s_cbranch_execz .LBB46_12
; %bb.16:                               ;   in Loop: Header=BB46_13 Depth=2
	global_load_b32 v34, v[11:12], off
	v_mul_lo_u32 v15, v17, s6
	s_delay_alu instid0(VALU_DEP_1) | instskip(NEXT) | instid1(VALU_DEP_1)
	v_sub_nc_u32_e32 v15, v33, v15
	v_add_lshl_u32 v17, v15, v0, 2
	v_dual_mov_b32 v15, v18 :: v_dual_mov_b32 v16, v19
	ds_store_b8 v20, v31 offset:1024
	s_waitcnt vmcnt(0)
	ds_store_b32 v17, v34
	s_branch .LBB46_12
.LBB46_17:                              ;   in Loop: Header=BB46_10 Depth=1
	s_or_b32 exec_lo, exec_lo, s18
.LBB46_18:                              ;   in Loop: Header=BB46_10 Depth=1
	s_delay_alu instid0(SALU_CYCLE_1)
	s_or_b32 exec_lo, exec_lo, s17
	ds_bpermute_b32 v7, v24, v15
	ds_bpermute_b32 v8, v24, v16
	s_waitcnt lgkmcnt(0)
	buffer_gl0_inv
	ds_load_u8 v12, v20 offset:1024
	s_mov_b32 s0, exec_lo
	v_cmp_lt_i64_e32 vcc_lo, v[7:8], v[15:16]
	s_waitcnt lgkmcnt(0)
	v_and_b32_e32 v12, 1, v12
	v_dual_cndmask_b32 v8, v16, v8 :: v_dual_cndmask_b32 v7, v15, v7
	ds_bpermute_b32 v11, v25, v8
	ds_bpermute_b32 v10, v25, v7
	s_waitcnt lgkmcnt(0)
	v_cmp_lt_i64_e32 vcc_lo, v[10:11], v[7:8]
	v_dual_cndmask_b32 v8, v8, v11 :: v_dual_cndmask_b32 v7, v7, v10
	v_mov_b32_e32 v10, 0
	v_mov_b32_e32 v11, 0
	ds_bpermute_b32 v8, v5, v8
	ds_bpermute_b32 v7, v5, v7
	v_cmpx_eq_u32_e32 1, v12
	s_cbranch_execz .LBB46_9
; %bb.19:                               ;   in Loop: Header=BB46_10 Depth=1
	v_lshlrev_b64 v[10:11], 2, v[3:4]
	v_add_nc_u32_e32 v12, s12, v9
	s_delay_alu instid0(VALU_DEP_2) | instskip(NEXT) | instid1(VALU_DEP_3)
	v_add_co_u32 v9, vcc_lo, s2, v10
	v_add_co_ci_u32_e32 v10, vcc_lo, s3, v11, vcc_lo
	global_store_b32 v[9:10], v12, off
	s_and_saveexec_b32 s17, s4
	s_cbranch_execz .LBB46_8
; %bb.20:                               ;   in Loop: Header=BB46_10 Depth=1
	v_mul_lo_u32 v11, s14, v3
	v_mul_lo_u32 v12, s15, v4
	v_mad_u64_u32 v[9:10], null, s15, v3, 0
	ds_load_b32 v13, v23
	v_add3_u32 v10, v10, v12, v11
	s_delay_alu instid0(VALU_DEP_1) | instskip(NEXT) | instid1(VALU_DEP_1)
	v_lshlrev_b64 v[9:10], 2, v[9:10]
	v_add_co_u32 v9, vcc_lo, v29, v9
	s_delay_alu instid0(VALU_DEP_2)
	v_add_co_ci_u32_e32 v10, vcc_lo, v28, v10, vcc_lo
	s_waitcnt lgkmcnt(0)
	global_store_b32 v[9:10], v13, off
	s_branch .LBB46_8
.LBB46_21:
	s_endpgm
	.section	.rodata,"a",@progbits
	.p2align	6, 0x0
	.amdhsa_kernel _ZN9rocsparseL42csr2bsr_wavefront_per_row_multipass_kernelILj256ELj16ELj4EfliEEv20rocsparse_direction_T4_S2_S2_S2_S2_21rocsparse_index_base_PKT2_PKT3_PKS2_S3_PS4_PS7_PS2_
		.amdhsa_group_segment_fixed_size 1040
		.amdhsa_private_segment_fixed_size 0
		.amdhsa_kernarg_size 88
		.amdhsa_user_sgpr_count 15
		.amdhsa_user_sgpr_dispatch_ptr 0
		.amdhsa_user_sgpr_queue_ptr 0
		.amdhsa_user_sgpr_kernarg_segment_ptr 1
		.amdhsa_user_sgpr_dispatch_id 0
		.amdhsa_user_sgpr_private_segment_size 0
		.amdhsa_wavefront_size32 1
		.amdhsa_uses_dynamic_stack 0
		.amdhsa_enable_private_segment 0
		.amdhsa_system_sgpr_workgroup_id_x 1
		.amdhsa_system_sgpr_workgroup_id_y 0
		.amdhsa_system_sgpr_workgroup_id_z 0
		.amdhsa_system_sgpr_workgroup_info 0
		.amdhsa_system_vgpr_workitem_id 0
		.amdhsa_next_free_vgpr 35
		.amdhsa_next_free_sgpr 20
		.amdhsa_reserve_vcc 1
		.amdhsa_float_round_mode_32 0
		.amdhsa_float_round_mode_16_64 0
		.amdhsa_float_denorm_mode_32 3
		.amdhsa_float_denorm_mode_16_64 3
		.amdhsa_dx10_clamp 1
		.amdhsa_ieee_mode 1
		.amdhsa_fp16_overflow 0
		.amdhsa_workgroup_processor_mode 1
		.amdhsa_memory_ordered 1
		.amdhsa_forward_progress 0
		.amdhsa_shared_vgpr_count 0
		.amdhsa_exception_fp_ieee_invalid_op 0
		.amdhsa_exception_fp_denorm_src 0
		.amdhsa_exception_fp_ieee_div_zero 0
		.amdhsa_exception_fp_ieee_overflow 0
		.amdhsa_exception_fp_ieee_underflow 0
		.amdhsa_exception_fp_ieee_inexact 0
		.amdhsa_exception_int_div_zero 0
	.end_amdhsa_kernel
	.section	.text._ZN9rocsparseL42csr2bsr_wavefront_per_row_multipass_kernelILj256ELj16ELj4EfliEEv20rocsparse_direction_T4_S2_S2_S2_S2_21rocsparse_index_base_PKT2_PKT3_PKS2_S3_PS4_PS7_PS2_,"axG",@progbits,_ZN9rocsparseL42csr2bsr_wavefront_per_row_multipass_kernelILj256ELj16ELj4EfliEEv20rocsparse_direction_T4_S2_S2_S2_S2_21rocsparse_index_base_PKT2_PKT3_PKS2_S3_PS4_PS7_PS2_,comdat
.Lfunc_end46:
	.size	_ZN9rocsparseL42csr2bsr_wavefront_per_row_multipass_kernelILj256ELj16ELj4EfliEEv20rocsparse_direction_T4_S2_S2_S2_S2_21rocsparse_index_base_PKT2_PKT3_PKS2_S3_PS4_PS7_PS2_, .Lfunc_end46-_ZN9rocsparseL42csr2bsr_wavefront_per_row_multipass_kernelILj256ELj16ELj4EfliEEv20rocsparse_direction_T4_S2_S2_S2_S2_21rocsparse_index_base_PKT2_PKT3_PKS2_S3_PS4_PS7_PS2_
                                        ; -- End function
	.section	.AMDGPU.csdata,"",@progbits
; Kernel info:
; codeLenInByte = 1688
; NumSgprs: 22
; NumVgprs: 35
; ScratchSize: 0
; MemoryBound: 0
; FloatMode: 240
; IeeeMode: 1
; LDSByteSize: 1040 bytes/workgroup (compile time only)
; SGPRBlocks: 2
; VGPRBlocks: 4
; NumSGPRsForWavesPerEU: 22
; NumVGPRsForWavesPerEU: 35
; Occupancy: 16
; WaveLimiterHint : 0
; COMPUTE_PGM_RSRC2:SCRATCH_EN: 0
; COMPUTE_PGM_RSRC2:USER_SGPR: 15
; COMPUTE_PGM_RSRC2:TRAP_HANDLER: 0
; COMPUTE_PGM_RSRC2:TGID_X_EN: 1
; COMPUTE_PGM_RSRC2:TGID_Y_EN: 0
; COMPUTE_PGM_RSRC2:TGID_Z_EN: 0
; COMPUTE_PGM_RSRC2:TIDIG_COMP_CNT: 0
	.section	.text._ZN9rocsparseL42csr2bsr_wavefront_per_row_multipass_kernelILj256ELj64ELj8EfliEEv20rocsparse_direction_T4_S2_S2_S2_S2_21rocsparse_index_base_PKT2_PKT3_PKS2_S3_PS4_PS7_PS2_,"axG",@progbits,_ZN9rocsparseL42csr2bsr_wavefront_per_row_multipass_kernelILj256ELj64ELj8EfliEEv20rocsparse_direction_T4_S2_S2_S2_S2_21rocsparse_index_base_PKT2_PKT3_PKS2_S3_PS4_PS7_PS2_,comdat
	.globl	_ZN9rocsparseL42csr2bsr_wavefront_per_row_multipass_kernelILj256ELj64ELj8EfliEEv20rocsparse_direction_T4_S2_S2_S2_S2_21rocsparse_index_base_PKT2_PKT3_PKS2_S3_PS4_PS7_PS2_ ; -- Begin function _ZN9rocsparseL42csr2bsr_wavefront_per_row_multipass_kernelILj256ELj64ELj8EfliEEv20rocsparse_direction_T4_S2_S2_S2_S2_21rocsparse_index_base_PKT2_PKT3_PKS2_S3_PS4_PS7_PS2_
	.p2align	8
	.type	_ZN9rocsparseL42csr2bsr_wavefront_per_row_multipass_kernelILj256ELj64ELj8EfliEEv20rocsparse_direction_T4_S2_S2_S2_S2_21rocsparse_index_base_PKT2_PKT3_PKS2_S3_PS4_PS7_PS2_,@function
_ZN9rocsparseL42csr2bsr_wavefront_per_row_multipass_kernelILj256ELj64ELj8EfliEEv20rocsparse_direction_T4_S2_S2_S2_S2_21rocsparse_index_base_PKT2_PKT3_PKS2_S3_PS4_PS7_PS2_: ; @_ZN9rocsparseL42csr2bsr_wavefront_per_row_multipass_kernelILj256ELj64ELj8EfliEEv20rocsparse_direction_T4_S2_S2_S2_S2_21rocsparse_index_base_PKT2_PKT3_PKS2_S3_PS4_PS7_PS2_
; %bb.0:
	s_clause 0x1
	s_load_b128 s[4:7], s[0:1], 0xc
	s_load_b64 s[10:11], s[0:1], 0x0
	v_lshrrev_b32_e32 v20, 6, v0
	v_bfe_u32 v11, v0, 3, 3
	s_load_b64 s[8:9], s[0:1], 0x28
	v_mov_b32_e32 v1, 0
	v_mov_b32_e32 v2, 0
	v_lshl_or_b32 v5, s15, 2, v20
	s_delay_alu instid0(VALU_DEP_2) | instskip(SKIP_1) | instid1(VALU_DEP_2)
	v_dual_mov_b32 v8, v2 :: v_dual_mov_b32 v7, v1
	s_waitcnt lgkmcnt(0)
	v_mad_u64_u32 v[3:4], null, v5, s6, v[11:12]
	v_cmp_gt_i32_e32 vcc_lo, s6, v11
	s_delay_alu instid0(VALU_DEP_2) | instskip(NEXT) | instid1(VALU_DEP_1)
	v_cmp_gt_i32_e64 s2, s11, v3
	s_and_b32 s3, vcc_lo, s2
	s_delay_alu instid0(SALU_CYCLE_1)
	s_and_saveexec_b32 s11, s3
	s_cbranch_execz .LBB47_2
; %bb.1:
	v_ashrrev_i32_e32 v4, 31, v3
	s_delay_alu instid0(VALU_DEP_1) | instskip(NEXT) | instid1(VALU_DEP_1)
	v_lshlrev_b64 v[6:7], 3, v[3:4]
	v_add_co_u32 v6, s2, s8, v6
	s_delay_alu instid0(VALU_DEP_1) | instskip(SKIP_3) | instid1(VALU_DEP_1)
	v_add_co_ci_u32_e64 v7, s2, s9, v7, s2
	global_load_b64 v[7:8], v[6:7], off
	s_waitcnt vmcnt(0)
	v_sub_co_u32 v7, s2, v7, s7
	v_subrev_co_ci_u32_e64 v8, s2, 0, v8, s2
.LBB47_2:
	s_or_b32 exec_lo, exec_lo, s11
	s_and_saveexec_b32 s11, s3
	s_cbranch_execz .LBB47_4
; %bb.3:
	v_ashrrev_i32_e32 v4, 31, v3
	s_delay_alu instid0(VALU_DEP_1) | instskip(NEXT) | instid1(VALU_DEP_1)
	v_lshlrev_b64 v[1:2], 3, v[3:4]
	v_add_co_u32 v1, s2, s8, v1
	s_delay_alu instid0(VALU_DEP_1) | instskip(SKIP_3) | instid1(VALU_DEP_1)
	v_add_co_ci_u32_e64 v2, s2, s9, v2, s2
	global_load_b64 v[1:2], v[1:2], off offset:8
	s_waitcnt vmcnt(0)
	v_sub_co_u32 v1, s2, v1, s7
	v_subrev_co_ci_u32_e64 v2, s2, 0, v2, s2
.LBB47_4:
	s_or_b32 exec_lo, exec_lo, s11
	s_load_b32 s12, s[0:1], 0x38
	v_mov_b32_e32 v3, 0
	v_mov_b32_e32 v4, 0
	s_mov_b32 s3, exec_lo
	v_cmpx_gt_i32_e64 s4, v5
	s_cbranch_execz .LBB47_6
; %bb.5:
	s_load_b64 s[8:9], s[0:1], 0x48
	v_ashrrev_i32_e32 v6, 31, v5
	s_delay_alu instid0(VALU_DEP_1) | instskip(SKIP_1) | instid1(VALU_DEP_1)
	v_lshlrev_b64 v[3:4], 3, v[5:6]
	s_waitcnt lgkmcnt(0)
	v_add_co_u32 v3, s2, s8, v3
	s_delay_alu instid0(VALU_DEP_1) | instskip(SKIP_3) | instid1(VALU_DEP_1)
	v_add_co_ci_u32_e64 v4, s2, s9, v4, s2
	global_load_b64 v[3:4], v[3:4], off
	s_waitcnt vmcnt(0)
	v_sub_co_u32 v3, s2, v3, s12
	v_subrev_co_ci_u32_e64 v4, s2, 0, v4, s2
.LBB47_6:
	s_or_b32 exec_lo, exec_lo, s3
	s_cmp_lt_i32 s5, 1
	s_cbranch_scc1 .LBB47_21
; %bb.7:
	v_dual_mov_b32 v6, 0 :: v_dual_and_b32 v21, 7, v0
	s_load_b64 s[14:15], s[0:1], 0x40
	v_lshlrev_b32_e32 v14, 2, v11
	v_mbcnt_lo_u32_b32 v17, -1, 0
	s_delay_alu instid0(VALU_DEP_3)
	v_mul_lo_u32 v5, v21, s6
	v_cmp_gt_u32_e64 s2, s6, v21
	v_lshlrev_b32_e32 v15, 2, v21
	v_mov_b32_e32 v33, 1
	v_xor_b32_e32 v19, 1, v17
	v_or_b32_e32 v23, 32, v17
	s_and_b32 s4, vcc_lo, s2
	s_load_b64 s[2:3], s[0:1], 0x50
	v_lshlrev_b64 v[9:10], 2, v[5:6]
	v_mul_lo_u32 v5, v11, s6
	s_load_b64 s[8:9], s[0:1], 0x30
	s_cmp_eq_u32 s10, 0
	s_load_b64 s[10:11], s[0:1], 0x20
	v_xor_b32_e32 v24, 16, v17
	v_xor_b32_e32 v25, 8, v17
	v_lshl_or_b32 v22, v17, 2, 28
	s_mov_b32 s1, 0
	v_lshlrev_b64 v[12:13], 2, v[5:6]
	s_waitcnt lgkmcnt(0)
	v_add_co_u32 v5, vcc_lo, s14, v9
	v_add_co_ci_u32_e32 v9, vcc_lo, s15, v10, vcc_lo
	s_delay_alu instid0(VALU_DEP_3) | instskip(NEXT) | instid1(VALU_DEP_4)
	v_add_co_u32 v10, vcc_lo, s14, v12
	v_add_co_ci_u32_e32 v12, vcc_lo, s15, v13, vcc_lo
	s_delay_alu instid0(VALU_DEP_4) | instskip(NEXT) | instid1(VALU_DEP_4)
	v_add_co_u32 v13, vcc_lo, v5, v14
	v_add_co_ci_u32_e32 v14, vcc_lo, 0, v9, vcc_lo
	s_delay_alu instid0(VALU_DEP_4) | instskip(NEXT) | instid1(VALU_DEP_4)
	v_add_co_u32 v15, vcc_lo, v10, v15
	v_add_co_ci_u32_e32 v12, vcc_lo, 0, v12, vcc_lo
	s_cselect_b32 vcc_lo, -1, 0
	s_abs_i32 s13, s6
	s_delay_alu instid0(VALU_DEP_2)
	v_dual_cndmask_b32 v31, v13, v15 :: v_dual_and_b32 v16, 0xc0, v0
	v_cvt_f32_u32_e32 v5, s13
	s_sub_i32 s14, 0, s13
	v_mov_b32_e32 v9, 0
	v_bfrev_b32_e32 v0, 0.5
	v_mov_b32_e32 v10, 0
	v_rcp_iflag_f32_e32 v18, v5
	v_lshl_or_b32 v5, v11, 3, v16
	v_xor_b32_e32 v11, 4, v17
	v_xor_b32_e32 v16, 2, v17
	v_cndmask_b32_e32 v30, v14, v12, vcc_lo
	s_mul_i32 s15, s6, s6
	v_or_b32_e32 v26, v5, v21
	v_cmp_gt_i32_e64 s0, 32, v11
	s_ashr_i32 s16, s6, 31
	s_delay_alu instid0(VALU_DEP_1) | instskip(SKIP_1) | instid1(VALU_DEP_1)
	v_cndmask_b32_e64 v11, v17, v11, s0
	v_cmp_gt_i32_e64 s0, 32, v16
	v_cndmask_b32_e64 v16, v17, v16, s0
	v_cmp_gt_i32_e64 s0, 32, v19
	v_mul_f32_e32 v18, 0x4f7ffffe, v18
	s_delay_alu instid0(VALU_DEP_2) | instskip(SKIP_1) | instid1(VALU_DEP_1)
	v_cndmask_b32_e64 v19, v17, v19, s0
	v_cmp_gt_i32_e64 s0, 32, v23
	v_cndmask_b32_e64 v28, v17, v23, s0
	v_cmp_gt_i32_e64 s0, 32, v24
	v_lshlrev_b32_e32 v23, 2, v26
	v_lshlrev_b32_e32 v26, 2, v19
	s_delay_alu instid0(VALU_DEP_3) | instskip(SKIP_2) | instid1(VALU_DEP_2)
	v_cndmask_b32_e64 v29, v17, v24, s0
	v_cmp_gt_i32_e64 s0, 32, v25
	v_lshlrev_b32_e32 v24, 2, v11
	v_cndmask_b32_e64 v17, v17, v25, s0
	v_lshlrev_b32_e32 v25, 2, v16
	v_cvt_u32_f32_e32 v18, v18
	s_delay_alu instid0(VALU_DEP_1) | instskip(SKIP_1) | instid1(VALU_DEP_1)
	v_mul_lo_u32 v27, s14, v18
	s_mul_hi_u32 s14, s6, s6
	v_mul_hi_u32 v11, v18, v27
	v_lshlrev_b32_e32 v27, 2, v28
	v_lshlrev_b32_e32 v28, 2, v29
	;; [unrolled: 1-line block ×3, first 2 shown]
	s_delay_alu instid0(VALU_DEP_4)
	v_add_nc_u32_e32 v32, v18, v11
	s_branch .LBB47_10
.LBB47_8:                               ;   in Loop: Header=BB47_10 Depth=1
	s_or_b32 exec_lo, exec_lo, s17
	v_mov_b32_e32 v10, 1
	v_mov_b32_e32 v11, 0
.LBB47_9:                               ;   in Loop: Header=BB47_10 Depth=1
	s_or_b32 exec_lo, exec_lo, s0
	ds_bpermute_b32 v9, v27, v34
	v_add_co_u32 v3, s0, v10, v3
	s_delay_alu instid0(VALU_DEP_1)
	v_add_co_ci_u32_e64 v4, s0, v11, v4, s0
	s_waitcnt lgkmcnt(0)
	s_waitcnt_vscnt null, 0x0
	buffer_gl0_inv
	buffer_gl0_inv
	v_min_i32_e32 v9, v9, v34
	ds_bpermute_b32 v12, v28, v9
	s_waitcnt lgkmcnt(0)
	v_min_i32_e32 v9, v12, v9
	ds_bpermute_b32 v12, v29, v9
	s_waitcnt lgkmcnt(0)
	;; [unrolled: 3-line block ×6, first 2 shown]
	v_cmp_le_i32_e32 vcc_lo, s5, v9
	v_ashrrev_i32_e32 v10, 31, v9
	s_or_b32 s1, vcc_lo, s1
	s_delay_alu instid0(SALU_CYCLE_1)
	s_and_not1_b32 exec_lo, exec_lo, s1
	s_cbranch_execz .LBB47_21
.LBB47_10:                              ; =>This Loop Header: Depth=1
                                        ;     Child Loop BB47_13 Depth 2
	v_add_co_u32 v7, vcc_lo, v7, v21
	v_mov_b32_e32 v16, v2
	v_add_co_ci_u32_e32 v8, vcc_lo, 0, v8, vcc_lo
	v_dual_mov_b32 v34, s5 :: v_dual_mov_b32 v15, v1
	s_mov_b32 s17, exec_lo
	ds_store_b8 v20, v6 offset:1024
	ds_store_b32 v23, v6
	s_waitcnt lgkmcnt(0)
	buffer_gl0_inv
	v_cmpx_lt_i64_e64 v[7:8], v[1:2]
	s_cbranch_execz .LBB47_18
; %bb.11:                               ;   in Loop: Header=BB47_10 Depth=1
	v_lshlrev_b64 v[13:14], 2, v[7:8]
	v_mov_b32_e32 v16, v2
	v_dual_mov_b32 v34, s5 :: v_dual_mov_b32 v15, v1
	s_mov_b32 s18, 0
	s_delay_alu instid0(VALU_DEP_3) | instskip(NEXT) | instid1(VALU_DEP_4)
	v_add_co_u32 v11, vcc_lo, s10, v13
	v_add_co_ci_u32_e32 v12, vcc_lo, s11, v14, vcc_lo
	v_add_co_u32 v13, vcc_lo, s8, v13
	v_add_co_ci_u32_e32 v14, vcc_lo, s9, v14, vcc_lo
	s_branch .LBB47_13
.LBB47_12:                              ;   in Loop: Header=BB47_13 Depth=2
	s_or_b32 exec_lo, exec_lo, s0
	v_add_co_u32 v7, s0, v7, 8
	s_delay_alu instid0(VALU_DEP_1) | instskip(SKIP_2) | instid1(VALU_DEP_2)
	v_add_co_ci_u32_e64 v8, s0, 0, v8, s0
	s_xor_b32 s19, vcc_lo, -1
	v_add_co_u32 v11, vcc_lo, v11, 32
	v_cmp_ge_i64_e64 s0, v[7:8], v[1:2]
	v_add_co_ci_u32_e32 v12, vcc_lo, 0, v12, vcc_lo
	v_add_co_u32 v13, vcc_lo, v13, 32
	v_add_co_ci_u32_e32 v14, vcc_lo, 0, v14, vcc_lo
	s_delay_alu instid0(VALU_DEP_4) | instskip(NEXT) | instid1(SALU_CYCLE_1)
	s_or_b32 s0, s19, s0
	s_and_b32 s0, exec_lo, s0
	s_delay_alu instid0(SALU_CYCLE_1) | instskip(NEXT) | instid1(SALU_CYCLE_1)
	s_or_b32 s18, s0, s18
	s_and_not1_b32 exec_lo, exec_lo, s18
	s_cbranch_execz .LBB47_17
.LBB47_13:                              ;   Parent Loop BB47_10 Depth=1
                                        ; =>  This Inner Loop Header: Depth=2
	global_load_b32 v17, v[13:14], off
	s_waitcnt vmcnt(0)
	v_subrev_nc_u32_e32 v35, s7, v17
	s_delay_alu instid0(VALU_DEP_1) | instskip(NEXT) | instid1(VALU_DEP_1)
	v_sub_nc_u32_e32 v17, 0, v35
	v_max_i32_e32 v17, v35, v17
	s_delay_alu instid0(VALU_DEP_1) | instskip(NEXT) | instid1(VALU_DEP_1)
	v_mul_hi_u32 v18, v17, v32
	v_mul_lo_u32 v19, v18, s13
	s_delay_alu instid0(VALU_DEP_1) | instskip(SKIP_1) | instid1(VALU_DEP_2)
	v_sub_nc_u32_e32 v17, v17, v19
	v_add_nc_u32_e32 v19, 1, v18
	v_subrev_nc_u32_e32 v36, s13, v17
	v_cmp_le_u32_e32 vcc_lo, s13, v17
	s_delay_alu instid0(VALU_DEP_2) | instskip(SKIP_1) | instid1(VALU_DEP_2)
	v_dual_cndmask_b32 v18, v18, v19 :: v_dual_cndmask_b32 v17, v17, v36
	v_ashrrev_i32_e32 v19, 31, v35
	v_add_nc_u32_e32 v36, 1, v18
	s_delay_alu instid0(VALU_DEP_3) | instskip(NEXT) | instid1(VALU_DEP_3)
	v_cmp_le_u32_e32 vcc_lo, s13, v17
	v_xor_b32_e32 v19, s16, v19
	s_delay_alu instid0(VALU_DEP_3) | instskip(NEXT) | instid1(VALU_DEP_1)
	v_cndmask_b32_e32 v17, v18, v36, vcc_lo
	v_xor_b32_e32 v17, v17, v19
	s_delay_alu instid0(VALU_DEP_1) | instskip(NEXT) | instid1(VALU_DEP_1)
	v_sub_nc_u32_e32 v17, v17, v19
	v_ashrrev_i32_e32 v18, 31, v17
	s_delay_alu instid0(VALU_DEP_1) | instskip(SKIP_2) | instid1(VALU_DEP_2)
	v_cmp_eq_u64_e32 vcc_lo, v[9:10], v[17:18]
	v_cmp_ne_u64_e64 s0, v[9:10], v[17:18]
	v_dual_mov_b32 v19, v16 :: v_dual_mov_b32 v18, v15
	s_and_saveexec_b32 s19, s0
	s_delay_alu instid0(SALU_CYCLE_1)
	s_xor_b32 s0, exec_lo, s19
; %bb.14:                               ;   in Loop: Header=BB47_13 Depth=2
	v_min_i32_e32 v34, v17, v34
                                        ; implicit-def: $vgpr17
                                        ; implicit-def: $vgpr35
                                        ; implicit-def: $vgpr18_vgpr19
; %bb.15:                               ;   in Loop: Header=BB47_13 Depth=2
	s_or_saveexec_b32 s0, s0
	v_dual_mov_b32 v16, v8 :: v_dual_mov_b32 v15, v7
	s_xor_b32 exec_lo, exec_lo, s0
	s_cbranch_execz .LBB47_12
; %bb.16:                               ;   in Loop: Header=BB47_13 Depth=2
	global_load_b32 v36, v[11:12], off
	v_mul_lo_u32 v15, v17, s6
	s_delay_alu instid0(VALU_DEP_1) | instskip(NEXT) | instid1(VALU_DEP_1)
	v_sub_nc_u32_e32 v15, v35, v15
	v_add_lshl_u32 v17, v15, v5, 2
	v_dual_mov_b32 v15, v18 :: v_dual_mov_b32 v16, v19
	ds_store_b8 v20, v33 offset:1024
	s_waitcnt vmcnt(0)
	ds_store_b32 v17, v36
	s_branch .LBB47_12
.LBB47_17:                              ;   in Loop: Header=BB47_10 Depth=1
	s_or_b32 exec_lo, exec_lo, s18
.LBB47_18:                              ;   in Loop: Header=BB47_10 Depth=1
	s_delay_alu instid0(SALU_CYCLE_1)
	s_or_b32 exec_lo, exec_lo, s17
	ds_bpermute_b32 v7, v24, v15
	ds_bpermute_b32 v8, v24, v16
	s_waitcnt lgkmcnt(0)
	buffer_gl0_inv
	ds_load_u8 v12, v20 offset:1024
	s_mov_b32 s0, exec_lo
	v_cmp_lt_i64_e32 vcc_lo, v[7:8], v[15:16]
	s_waitcnt lgkmcnt(0)
	v_and_b32_e32 v12, 1, v12
	v_dual_cndmask_b32 v8, v16, v8 :: v_dual_cndmask_b32 v7, v15, v7
	ds_bpermute_b32 v11, v25, v8
	ds_bpermute_b32 v10, v25, v7
	s_waitcnt lgkmcnt(0)
	v_cmp_lt_i64_e32 vcc_lo, v[10:11], v[7:8]
	v_dual_cndmask_b32 v8, v8, v11 :: v_dual_cndmask_b32 v7, v7, v10
	ds_bpermute_b32 v11, v26, v8
	ds_bpermute_b32 v10, v26, v7
	s_waitcnt lgkmcnt(0)
	v_cmp_lt_i64_e32 vcc_lo, v[10:11], v[7:8]
	v_dual_cndmask_b32 v8, v8, v11 :: v_dual_cndmask_b32 v7, v7, v10
	v_mov_b32_e32 v10, 0
	v_mov_b32_e32 v11, 0
	ds_bpermute_b32 v8, v22, v8
	ds_bpermute_b32 v7, v22, v7
	v_cmpx_eq_u32_e32 1, v12
	s_cbranch_execz .LBB47_9
; %bb.19:                               ;   in Loop: Header=BB47_10 Depth=1
	v_lshlrev_b64 v[10:11], 2, v[3:4]
	v_add_nc_u32_e32 v12, s12, v9
	s_delay_alu instid0(VALU_DEP_2) | instskip(NEXT) | instid1(VALU_DEP_3)
	v_add_co_u32 v9, vcc_lo, s2, v10
	v_add_co_ci_u32_e32 v10, vcc_lo, s3, v11, vcc_lo
	global_store_b32 v[9:10], v12, off
	s_and_saveexec_b32 s17, s4
	s_cbranch_execz .LBB47_8
; %bb.20:                               ;   in Loop: Header=BB47_10 Depth=1
	v_mul_lo_u32 v11, s14, v3
	v_mul_lo_u32 v12, s15, v4
	v_mad_u64_u32 v[9:10], null, s15, v3, 0
	ds_load_b32 v13, v23
	v_add3_u32 v10, v10, v12, v11
	s_delay_alu instid0(VALU_DEP_1) | instskip(NEXT) | instid1(VALU_DEP_1)
	v_lshlrev_b64 v[9:10], 2, v[9:10]
	v_add_co_u32 v9, vcc_lo, v31, v9
	s_delay_alu instid0(VALU_DEP_2)
	v_add_co_ci_u32_e32 v10, vcc_lo, v30, v10, vcc_lo
	s_waitcnt lgkmcnt(0)
	global_store_b32 v[9:10], v13, off
	s_branch .LBB47_8
.LBB47_21:
	s_endpgm
	.section	.rodata,"a",@progbits
	.p2align	6, 0x0
	.amdhsa_kernel _ZN9rocsparseL42csr2bsr_wavefront_per_row_multipass_kernelILj256ELj64ELj8EfliEEv20rocsparse_direction_T4_S2_S2_S2_S2_21rocsparse_index_base_PKT2_PKT3_PKS2_S3_PS4_PS7_PS2_
		.amdhsa_group_segment_fixed_size 1028
		.amdhsa_private_segment_fixed_size 0
		.amdhsa_kernarg_size 88
		.amdhsa_user_sgpr_count 15
		.amdhsa_user_sgpr_dispatch_ptr 0
		.amdhsa_user_sgpr_queue_ptr 0
		.amdhsa_user_sgpr_kernarg_segment_ptr 1
		.amdhsa_user_sgpr_dispatch_id 0
		.amdhsa_user_sgpr_private_segment_size 0
		.amdhsa_wavefront_size32 1
		.amdhsa_uses_dynamic_stack 0
		.amdhsa_enable_private_segment 0
		.amdhsa_system_sgpr_workgroup_id_x 1
		.amdhsa_system_sgpr_workgroup_id_y 0
		.amdhsa_system_sgpr_workgroup_id_z 0
		.amdhsa_system_sgpr_workgroup_info 0
		.amdhsa_system_vgpr_workitem_id 0
		.amdhsa_next_free_vgpr 37
		.amdhsa_next_free_sgpr 20
		.amdhsa_reserve_vcc 1
		.amdhsa_float_round_mode_32 0
		.amdhsa_float_round_mode_16_64 0
		.amdhsa_float_denorm_mode_32 3
		.amdhsa_float_denorm_mode_16_64 3
		.amdhsa_dx10_clamp 1
		.amdhsa_ieee_mode 1
		.amdhsa_fp16_overflow 0
		.amdhsa_workgroup_processor_mode 1
		.amdhsa_memory_ordered 1
		.amdhsa_forward_progress 0
		.amdhsa_shared_vgpr_count 0
		.amdhsa_exception_fp_ieee_invalid_op 0
		.amdhsa_exception_fp_denorm_src 0
		.amdhsa_exception_fp_ieee_div_zero 0
		.amdhsa_exception_fp_ieee_overflow 0
		.amdhsa_exception_fp_ieee_underflow 0
		.amdhsa_exception_fp_ieee_inexact 0
		.amdhsa_exception_int_div_zero 0
	.end_amdhsa_kernel
	.section	.text._ZN9rocsparseL42csr2bsr_wavefront_per_row_multipass_kernelILj256ELj64ELj8EfliEEv20rocsparse_direction_T4_S2_S2_S2_S2_21rocsparse_index_base_PKT2_PKT3_PKS2_S3_PS4_PS7_PS2_,"axG",@progbits,_ZN9rocsparseL42csr2bsr_wavefront_per_row_multipass_kernelILj256ELj64ELj8EfliEEv20rocsparse_direction_T4_S2_S2_S2_S2_21rocsparse_index_base_PKT2_PKT3_PKS2_S3_PS4_PS7_PS2_,comdat
.Lfunc_end47:
	.size	_ZN9rocsparseL42csr2bsr_wavefront_per_row_multipass_kernelILj256ELj64ELj8EfliEEv20rocsparse_direction_T4_S2_S2_S2_S2_21rocsparse_index_base_PKT2_PKT3_PKS2_S3_PS4_PS7_PS2_, .Lfunc_end47-_ZN9rocsparseL42csr2bsr_wavefront_per_row_multipass_kernelILj256ELj64ELj8EfliEEv20rocsparse_direction_T4_S2_S2_S2_S2_21rocsparse_index_base_PKT2_PKT3_PKS2_S3_PS4_PS7_PS2_
                                        ; -- End function
	.section	.AMDGPU.csdata,"",@progbits
; Kernel info:
; codeLenInByte = 1792
; NumSgprs: 22
; NumVgprs: 37
; ScratchSize: 0
; MemoryBound: 0
; FloatMode: 240
; IeeeMode: 1
; LDSByteSize: 1028 bytes/workgroup (compile time only)
; SGPRBlocks: 2
; VGPRBlocks: 4
; NumSGPRsForWavesPerEU: 22
; NumVGPRsForWavesPerEU: 37
; Occupancy: 16
; WaveLimiterHint : 0
; COMPUTE_PGM_RSRC2:SCRATCH_EN: 0
; COMPUTE_PGM_RSRC2:USER_SGPR: 15
; COMPUTE_PGM_RSRC2:TRAP_HANDLER: 0
; COMPUTE_PGM_RSRC2:TGID_X_EN: 1
; COMPUTE_PGM_RSRC2:TGID_Y_EN: 0
; COMPUTE_PGM_RSRC2:TGID_Z_EN: 0
; COMPUTE_PGM_RSRC2:TIDIG_COMP_CNT: 0
	.section	.text._ZN9rocsparseL42csr2bsr_wavefront_per_row_multipass_kernelILj256ELj32ELj8EfliEEv20rocsparse_direction_T4_S2_S2_S2_S2_21rocsparse_index_base_PKT2_PKT3_PKS2_S3_PS4_PS7_PS2_,"axG",@progbits,_ZN9rocsparseL42csr2bsr_wavefront_per_row_multipass_kernelILj256ELj32ELj8EfliEEv20rocsparse_direction_T4_S2_S2_S2_S2_21rocsparse_index_base_PKT2_PKT3_PKS2_S3_PS4_PS7_PS2_,comdat
	.globl	_ZN9rocsparseL42csr2bsr_wavefront_per_row_multipass_kernelILj256ELj32ELj8EfliEEv20rocsparse_direction_T4_S2_S2_S2_S2_21rocsparse_index_base_PKT2_PKT3_PKS2_S3_PS4_PS7_PS2_ ; -- Begin function _ZN9rocsparseL42csr2bsr_wavefront_per_row_multipass_kernelILj256ELj32ELj8EfliEEv20rocsparse_direction_T4_S2_S2_S2_S2_21rocsparse_index_base_PKT2_PKT3_PKS2_S3_PS4_PS7_PS2_
	.p2align	8
	.type	_ZN9rocsparseL42csr2bsr_wavefront_per_row_multipass_kernelILj256ELj32ELj8EfliEEv20rocsparse_direction_T4_S2_S2_S2_S2_21rocsparse_index_base_PKT2_PKT3_PKS2_S3_PS4_PS7_PS2_,@function
_ZN9rocsparseL42csr2bsr_wavefront_per_row_multipass_kernelILj256ELj32ELj8EfliEEv20rocsparse_direction_T4_S2_S2_S2_S2_21rocsparse_index_base_PKT2_PKT3_PKS2_S3_PS4_PS7_PS2_: ; @_ZN9rocsparseL42csr2bsr_wavefront_per_row_multipass_kernelILj256ELj32ELj8EfliEEv20rocsparse_direction_T4_S2_S2_S2_S2_21rocsparse_index_base_PKT2_PKT3_PKS2_S3_PS4_PS7_PS2_
; %bb.0:
	s_clause 0x1
	s_load_b128 s[4:7], s[0:1], 0xc
	s_load_b64 s[12:13], s[0:1], 0x0
	v_lshrrev_b32_e32 v24, 5, v0
	v_bfe_u32 v9, v0, 2, 3
	s_load_b64 s[8:9], s[0:1], 0x28
	v_mov_b32_e32 v1, 0
	v_mov_b32_e32 v2, 0
	v_lshl_or_b32 v5, s15, 3, v24
	s_delay_alu instid0(VALU_DEP_2) | instskip(SKIP_1) | instid1(VALU_DEP_2)
	v_dual_mov_b32 v8, v2 :: v_dual_mov_b32 v7, v1
	s_waitcnt lgkmcnt(0)
	v_mad_u64_u32 v[3:4], null, v5, s6, v[9:10]
	v_cmp_gt_i32_e32 vcc_lo, s6, v9
	s_delay_alu instid0(VALU_DEP_2) | instskip(NEXT) | instid1(VALU_DEP_1)
	v_cmp_gt_i32_e64 s2, s13, v3
	s_and_b32 s3, vcc_lo, s2
	s_delay_alu instid0(SALU_CYCLE_1)
	s_and_saveexec_b32 s10, s3
	s_cbranch_execz .LBB48_2
; %bb.1:
	v_ashrrev_i32_e32 v4, 31, v3
	s_delay_alu instid0(VALU_DEP_1) | instskip(NEXT) | instid1(VALU_DEP_1)
	v_lshlrev_b64 v[6:7], 3, v[3:4]
	v_add_co_u32 v6, s2, s8, v6
	s_delay_alu instid0(VALU_DEP_1) | instskip(SKIP_3) | instid1(VALU_DEP_1)
	v_add_co_ci_u32_e64 v7, s2, s9, v7, s2
	global_load_b64 v[7:8], v[6:7], off
	s_waitcnt vmcnt(0)
	v_sub_co_u32 v7, s2, v7, s7
	v_subrev_co_ci_u32_e64 v8, s2, 0, v8, s2
.LBB48_2:
	s_or_b32 exec_lo, exec_lo, s10
	s_and_saveexec_b32 s10, s3
	s_cbranch_execz .LBB48_4
; %bb.3:
	v_ashrrev_i32_e32 v4, 31, v3
	s_delay_alu instid0(VALU_DEP_1) | instskip(NEXT) | instid1(VALU_DEP_1)
	v_lshlrev_b64 v[1:2], 3, v[3:4]
	v_add_co_u32 v1, s2, s8, v1
	s_delay_alu instid0(VALU_DEP_1) | instskip(SKIP_3) | instid1(VALU_DEP_1)
	v_add_co_ci_u32_e64 v2, s2, s9, v2, s2
	global_load_b64 v[1:2], v[1:2], off offset:8
	s_waitcnt vmcnt(0)
	v_sub_co_u32 v1, s2, v1, s7
	v_subrev_co_ci_u32_e64 v2, s2, 0, v2, s2
.LBB48_4:
	s_or_b32 exec_lo, exec_lo, s10
	s_load_b32 s13, s[0:1], 0x38
	v_mov_b32_e32 v3, 0
	v_mov_b32_e32 v4, 0
	s_mov_b32 s3, exec_lo
	v_cmpx_gt_i32_e64 s4, v5
	s_cbranch_execz .LBB48_6
; %bb.5:
	s_load_b64 s[8:9], s[0:1], 0x48
	v_ashrrev_i32_e32 v6, 31, v5
	s_delay_alu instid0(VALU_DEP_1) | instskip(SKIP_1) | instid1(VALU_DEP_1)
	v_lshlrev_b64 v[3:4], 3, v[5:6]
	s_waitcnt lgkmcnt(0)
	v_add_co_u32 v3, s2, s8, v3
	s_delay_alu instid0(VALU_DEP_1) | instskip(SKIP_3) | instid1(VALU_DEP_1)
	v_add_co_ci_u32_e64 v4, s2, s9, v4, s2
	global_load_b64 v[3:4], v[3:4], off
	s_waitcnt vmcnt(0)
	v_sub_co_u32 v3, s2, v3, s13
	v_subrev_co_ci_u32_e64 v4, s2, 0, v4, s2
.LBB48_6:
	s_or_b32 exec_lo, exec_lo, s3
	s_cmp_lt_i32 s5, 1
	s_cbranch_scc1 .LBB48_30
; %bb.7:
	v_mbcnt_lo_u32_b32 v11, -1, 0
	s_load_b64 s[2:3], s[0:1], 0x20
	v_lshlrev_b32_e32 v5, 6, v24
	s_clause 0x2
	s_load_b64 s[8:9], s[0:1], 0x50
	s_load_b64 s[18:19], s[0:1], 0x40
	;; [unrolled: 1-line block ×3, first 2 shown]
	s_cmp_lg_u32 s12, 0
	v_xor_b32_e32 v6, 2, v11
	s_cselect_b32 s12, -1, 0
	s_abs_i32 s14, s6
	v_and_b32_e32 v0, 3, v0
	v_cvt_f32_u32_e32 v13, s14
	v_cmp_gt_i32_e64 s0, 32, v6
	s_sub_i32 s1, 0, s14
	v_lshl_or_b32 v28, v11, 2, 12
	v_or_b32_e32 v14, 4, v0
	s_mov_b32 s4, 0
	v_cndmask_b32_e64 v10, v11, v6, s0
	v_mov_b32_e32 v6, 0
	v_lshl_or_b32 v25, v9, 3, v5
	v_xor_b32_e32 v5, 1, v11
	s_mul_hi_u32 s15, s6, s6
	v_lshlrev_b32_e32 v26, 2, v10
	s_mul_i32 s16, s6, s6
	v_mov_b32_e32 v36, 0x7c
	v_cmp_gt_i32_e64 s0, 32, v5
	s_delay_alu instid0(VALU_DEP_1) | instskip(SKIP_1) | instid1(VALU_DEP_2)
	v_cndmask_b32_e64 v12, v11, v5, s0
	v_mul_lo_u32 v5, v9, s6
	v_lshlrev_b32_e32 v27, 2, v12
	v_rcp_iflag_f32_e32 v12, v13
	v_lshlrev_b32_e32 v13, 2, v9
	s_delay_alu instid0(VALU_DEP_3)
	v_lshlrev_b64 v[9:10], 2, v[5:6]
	v_xor_b32_e32 v5, 16, v11
	s_waitcnt_depctr 0xfff
	v_mul_f32_e32 v12, 0x4f7ffffe, v12
	s_waitcnt lgkmcnt(0)
	v_add_co_u32 v29, s0, s18, v13
	s_delay_alu instid0(VALU_DEP_1) | instskip(SKIP_1) | instid1(VALU_DEP_1)
	v_add_co_ci_u32_e64 v30, null, s19, 0, s0
	v_add_co_u32 v31, s0, s18, v9
	v_add_co_ci_u32_e64 v32, s0, s19, v10, s0
	v_cvt_u32_f32_e32 v10, v12
	v_xor_b32_e32 v9, 8, v11
	v_cmp_gt_i32_e64 s0, 32, v5
	v_xor_b32_e32 v12, 4, v11
	s_ashr_i32 s19, s6, 31
	v_mul_lo_u32 v13, s1, v10
	v_cmp_gt_u32_e64 s1, s6, v14
	v_cndmask_b32_e64 v5, v11, v5, s0
	v_cmp_gt_i32_e64 s0, 32, v9
	s_delay_alu instid0(VALU_DEP_3) | instskip(NEXT) | instid1(VALU_DEP_2)
	s_and_b32 s18, vcc_lo, s1
	v_lshlrev_b32_e32 v33, 2, v5
	v_mul_hi_u32 v13, v10, v13
	s_delay_alu instid0(VALU_DEP_3) | instskip(SKIP_1) | instid1(VALU_DEP_2)
	v_cndmask_b32_e64 v9, v11, v9, s0
	v_cmp_gt_i32_e64 s0, 32, v12
	v_lshlrev_b32_e32 v34, 2, v9
	s_delay_alu instid0(VALU_DEP_2)
	v_cndmask_b32_e64 v11, v11, v12, s0
	v_mov_b32_e32 v12, v6
	v_dual_mov_b32 v13, 0 :: v_dual_add_nc_u32 v38, v10, v13
	v_mul_lo_u32 v5, v0, s6
	v_or_b32_e32 v9, v25, v0
	v_dual_mov_b32 v14, 0 :: v_dual_lshlrev_b32 v35, 2, v11
	v_cmp_gt_u32_e64 s0, s6, v0
	s_delay_alu instid0(VALU_DEP_3) | instskip(SKIP_4) | instid1(VALU_DEP_3)
	v_lshlrev_b32_e32 v37, 2, v9
	v_lshl_add_u32 v11, s6, 2, v5
	v_lshlrev_b64 v[9:10], 2, v[5:6]
	v_mov_b32_e32 v5, 1
	s_and_b32 s17, s0, vcc_lo
	v_lshlrev_b64 v[11:12], 2, v[11:12]
	s_branch .LBB48_11
.LBB48_8:                               ;   in Loop: Header=BB48_11 Depth=1
	v_dual_mov_b32 v15, s1 :: v_dual_mov_b32 v14, s0
.LBB48_9:                               ;   in Loop: Header=BB48_11 Depth=1
	s_or_b32 exec_lo, exec_lo, s21
.LBB48_10:                              ;   in Loop: Header=BB48_11 Depth=1
	s_delay_alu instid0(SALU_CYCLE_1) | instskip(SKIP_2) | instid1(VALU_DEP_1)
	s_or_b32 exec_lo, exec_lo, s20
	ds_bpermute_b32 v13, v33, v39
	v_add_co_u32 v3, s0, v14, v3
	v_add_co_ci_u32_e64 v4, s0, v15, v4, s0
	s_waitcnt lgkmcnt(0)
	s_waitcnt_vscnt null, 0x0
	buffer_gl0_inv
	buffer_gl0_inv
	v_min_i32_e32 v13, v13, v39
	ds_bpermute_b32 v16, v34, v13
	s_waitcnt lgkmcnt(0)
	v_min_i32_e32 v13, v16, v13
	ds_bpermute_b32 v16, v35, v13
	s_waitcnt lgkmcnt(0)
	;; [unrolled: 3-line block ×5, first 2 shown]
	v_cmp_le_i32_e32 vcc_lo, s5, v13
	v_ashrrev_i32_e32 v14, 31, v13
	s_or_b32 s4, vcc_lo, s4
	s_delay_alu instid0(SALU_CYCLE_1)
	s_and_not1_b32 exec_lo, exec_lo, s4
	s_cbranch_execz .LBB48_30
.LBB48_11:                              ; =>This Loop Header: Depth=1
                                        ;     Child Loop BB48_14 Depth 2
	v_add_co_u32 v7, vcc_lo, v7, v0
	v_dual_mov_b32 v39, s5 :: v_dual_mov_b32 v20, v2
	v_add_co_ci_u32_e32 v8, vcc_lo, 0, v8, vcc_lo
	v_mov_b32_e32 v19, v1
	s_mov_b32 s1, exec_lo
	ds_store_b8 v24, v6 offset:2048
	ds_store_2addr_b32 v37, v6, v6 offset1:4
	s_waitcnt lgkmcnt(0)
	buffer_gl0_inv
	v_cmpx_lt_i64_e64 v[7:8], v[1:2]
	s_cbranch_execz .LBB48_19
; %bb.12:                               ;   in Loop: Header=BB48_11 Depth=1
	v_lshlrev_b64 v[17:18], 2, v[7:8]
	v_dual_mov_b32 v39, s5 :: v_dual_mov_b32 v20, v2
	v_mov_b32_e32 v19, v1
	s_mov_b32 s20, 0
	s_delay_alu instid0(VALU_DEP_3) | instskip(NEXT) | instid1(VALU_DEP_4)
	v_add_co_u32 v15, vcc_lo, s2, v17
	v_add_co_ci_u32_e32 v16, vcc_lo, s3, v18, vcc_lo
	v_add_co_u32 v17, vcc_lo, s10, v17
	v_add_co_ci_u32_e32 v18, vcc_lo, s11, v18, vcc_lo
	s_branch .LBB48_14
.LBB48_13:                              ;   in Loop: Header=BB48_14 Depth=2
	s_or_b32 exec_lo, exec_lo, s0
	v_add_co_u32 v7, s0, v7, 4
	s_delay_alu instid0(VALU_DEP_1) | instskip(SKIP_2) | instid1(VALU_DEP_2)
	v_add_co_ci_u32_e64 v8, s0, 0, v8, s0
	s_xor_b32 s21, vcc_lo, -1
	v_add_co_u32 v15, vcc_lo, v15, 16
	v_cmp_ge_i64_e64 s0, v[7:8], v[1:2]
	v_add_co_ci_u32_e32 v16, vcc_lo, 0, v16, vcc_lo
	v_add_co_u32 v17, vcc_lo, v17, 16
	v_add_co_ci_u32_e32 v18, vcc_lo, 0, v18, vcc_lo
	s_delay_alu instid0(VALU_DEP_4) | instskip(NEXT) | instid1(SALU_CYCLE_1)
	s_or_b32 s0, s21, s0
	s_and_b32 s0, exec_lo, s0
	s_delay_alu instid0(SALU_CYCLE_1) | instskip(NEXT) | instid1(SALU_CYCLE_1)
	s_or_b32 s20, s0, s20
	s_and_not1_b32 exec_lo, exec_lo, s20
	s_cbranch_execz .LBB48_18
.LBB48_14:                              ;   Parent Loop BB48_11 Depth=1
                                        ; =>  This Inner Loop Header: Depth=2
	global_load_b32 v21, v[17:18], off
	s_waitcnt vmcnt(0)
	v_subrev_nc_u32_e32 v40, s7, v21
	s_delay_alu instid0(VALU_DEP_1) | instskip(NEXT) | instid1(VALU_DEP_1)
	v_sub_nc_u32_e32 v21, 0, v40
	v_max_i32_e32 v21, v40, v21
	s_delay_alu instid0(VALU_DEP_1) | instskip(NEXT) | instid1(VALU_DEP_1)
	v_mul_hi_u32 v22, v21, v38
	v_mul_lo_u32 v23, v22, s14
	s_delay_alu instid0(VALU_DEP_1) | instskip(SKIP_1) | instid1(VALU_DEP_2)
	v_sub_nc_u32_e32 v21, v21, v23
	v_add_nc_u32_e32 v23, 1, v22
	v_subrev_nc_u32_e32 v41, s14, v21
	v_cmp_le_u32_e32 vcc_lo, s14, v21
	s_delay_alu instid0(VALU_DEP_2) | instskip(SKIP_1) | instid1(VALU_DEP_2)
	v_dual_cndmask_b32 v22, v22, v23 :: v_dual_cndmask_b32 v21, v21, v41
	v_ashrrev_i32_e32 v23, 31, v40
	v_add_nc_u32_e32 v41, 1, v22
	s_delay_alu instid0(VALU_DEP_3) | instskip(NEXT) | instid1(VALU_DEP_3)
	v_cmp_le_u32_e32 vcc_lo, s14, v21
	v_xor_b32_e32 v23, s19, v23
	s_delay_alu instid0(VALU_DEP_3) | instskip(NEXT) | instid1(VALU_DEP_1)
	v_cndmask_b32_e32 v21, v22, v41, vcc_lo
	v_xor_b32_e32 v21, v21, v23
	s_delay_alu instid0(VALU_DEP_1) | instskip(NEXT) | instid1(VALU_DEP_1)
	v_sub_nc_u32_e32 v21, v21, v23
	v_ashrrev_i32_e32 v22, 31, v21
	s_delay_alu instid0(VALU_DEP_1) | instskip(SKIP_2) | instid1(VALU_DEP_2)
	v_cmp_eq_u64_e32 vcc_lo, v[13:14], v[21:22]
	v_cmp_ne_u64_e64 s0, v[13:14], v[21:22]
	v_dual_mov_b32 v23, v20 :: v_dual_mov_b32 v22, v19
	s_and_saveexec_b32 s21, s0
	s_delay_alu instid0(SALU_CYCLE_1)
	s_xor_b32 s0, exec_lo, s21
; %bb.15:                               ;   in Loop: Header=BB48_14 Depth=2
	v_min_i32_e32 v39, v21, v39
                                        ; implicit-def: $vgpr21
                                        ; implicit-def: $vgpr40
                                        ; implicit-def: $vgpr22_vgpr23
; %bb.16:                               ;   in Loop: Header=BB48_14 Depth=2
	s_or_saveexec_b32 s0, s0
	v_dual_mov_b32 v20, v8 :: v_dual_mov_b32 v19, v7
	s_xor_b32 exec_lo, exec_lo, s0
	s_cbranch_execz .LBB48_13
; %bb.17:                               ;   in Loop: Header=BB48_14 Depth=2
	global_load_b32 v41, v[15:16], off
	v_mul_lo_u32 v19, v21, s6
	s_delay_alu instid0(VALU_DEP_1) | instskip(NEXT) | instid1(VALU_DEP_1)
	v_sub_nc_u32_e32 v19, v40, v19
	v_add_lshl_u32 v21, v25, v19, 2
	v_dual_mov_b32 v19, v22 :: v_dual_mov_b32 v20, v23
	ds_store_b8 v24, v5 offset:2048
	s_waitcnt vmcnt(0)
	ds_store_b32 v21, v41
	s_branch .LBB48_13
.LBB48_18:                              ;   in Loop: Header=BB48_11 Depth=1
	s_or_b32 exec_lo, exec_lo, s20
.LBB48_19:                              ;   in Loop: Header=BB48_11 Depth=1
	s_delay_alu instid0(SALU_CYCLE_1)
	s_or_b32 exec_lo, exec_lo, s1
	ds_bpermute_b32 v7, v26, v19
	ds_bpermute_b32 v8, v26, v20
	s_waitcnt lgkmcnt(0)
	buffer_gl0_inv
	ds_load_u8 v16, v24 offset:2048
	s_mov_b32 s20, exec_lo
	v_cmp_lt_i64_e32 vcc_lo, v[7:8], v[19:20]
	s_waitcnt lgkmcnt(0)
	v_and_b32_e32 v16, 1, v16
	v_dual_cndmask_b32 v8, v20, v8 :: v_dual_cndmask_b32 v7, v19, v7
	ds_bpermute_b32 v15, v27, v8
	ds_bpermute_b32 v14, v27, v7
	s_waitcnt lgkmcnt(0)
	v_cmp_lt_i64_e32 vcc_lo, v[14:15], v[7:8]
	v_dual_cndmask_b32 v8, v8, v15 :: v_dual_cndmask_b32 v7, v7, v14
	v_mov_b32_e32 v14, 0
	v_mov_b32_e32 v15, 0
	ds_bpermute_b32 v8, v28, v8
	ds_bpermute_b32 v7, v28, v7
	v_cmpx_eq_u32_e32 1, v16
	s_cbranch_execz .LBB48_10
; %bb.20:                               ;   in Loop: Header=BB48_11 Depth=1
	v_mul_lo_u32 v16, s15, v3
	v_mul_lo_u32 v17, s16, v4
	v_mad_u64_u32 v[14:15], null, s16, v3, 0
	v_add_nc_u32_e32 v21, s13, v13
	s_delay_alu instid0(VALU_DEP_2) | instskip(SKIP_1) | instid1(VALU_DEP_2)
	v_add3_u32 v15, v15, v17, v16
	v_lshlrev_b64 v[16:17], 2, v[3:4]
	v_lshlrev_b64 v[13:14], 2, v[14:15]
	s_delay_alu instid0(VALU_DEP_2) | instskip(NEXT) | instid1(VALU_DEP_3)
	v_add_co_u32 v19, vcc_lo, s8, v16
	v_add_co_ci_u32_e32 v20, vcc_lo, s9, v17, vcc_lo
	s_delay_alu instid0(VALU_DEP_3) | instskip(NEXT) | instid1(VALU_DEP_4)
	v_add_co_u32 v17, vcc_lo, v29, v13
	v_add_co_ci_u32_e32 v18, vcc_lo, v30, v14, vcc_lo
	v_add_co_u32 v13, vcc_lo, v31, v13
	v_add_co_ci_u32_e32 v16, vcc_lo, v32, v14, vcc_lo
	global_store_b32 v[19:20], v21, off
	s_and_saveexec_b32 s0, s17
	s_cbranch_execz .LBB48_24
; %bb.21:                               ;   in Loop: Header=BB48_11 Depth=1
	s_and_b32 vcc_lo, exec_lo, s12
	s_cbranch_vccz .LBB48_27
; %bb.22:                               ;   in Loop: Header=BB48_11 Depth=1
	ds_load_b32 v19, v37
	v_add_co_u32 v14, vcc_lo, v17, v9
	v_add_co_ci_u32_e32 v15, vcc_lo, v18, v10, vcc_lo
	s_waitcnt lgkmcnt(0)
	global_store_b32 v[14:15], v19, off
	s_cbranch_execnz .LBB48_24
.LBB48_23:                              ;   in Loop: Header=BB48_11 Depth=1
	ds_load_b32 v19, v37
	v_lshlrev_b32_e32 v14, 2, v0
	s_delay_alu instid0(VALU_DEP_1)
	v_add_co_u32 v14, vcc_lo, v13, v14
	v_add_co_ci_u32_e32 v15, vcc_lo, 0, v16, vcc_lo
	s_waitcnt lgkmcnt(0)
	global_store_b32 v[14:15], v19, off
.LBB48_24:                              ;   in Loop: Header=BB48_11 Depth=1
	s_or_b32 exec_lo, exec_lo, s0
	v_mov_b32_e32 v14, 1
	v_mov_b32_e32 v15, 0
	s_and_saveexec_b32 s21, s18
	s_cbranch_execz .LBB48_9
; %bb.25:                               ;   in Loop: Header=BB48_11 Depth=1
	s_and_not1_b32 vcc_lo, exec_lo, s12
	s_cbranch_vccnz .LBB48_28
; %bb.26:                               ;   in Loop: Header=BB48_11 Depth=1
	ds_load_b32 v19, v37 offset:16
	v_add_co_u32 v14, vcc_lo, v17, v11
	v_add_co_ci_u32_e32 v15, vcc_lo, v18, v12, vcc_lo
	s_mov_b64 s[0:1], 1
	s_waitcnt lgkmcnt(0)
	global_store_b32 v[14:15], v19, off
	s_cbranch_execnz .LBB48_8
	s_branch .LBB48_29
.LBB48_27:                              ;   in Loop: Header=BB48_11 Depth=1
	s_branch .LBB48_23
.LBB48_28:                              ;   in Loop: Header=BB48_11 Depth=1
                                        ; implicit-def: $sgpr0_sgpr1
.LBB48_29:                              ;   in Loop: Header=BB48_11 Depth=1
	ds_load_b32 v15, v37 offset:16
	v_lshlrev_b32_e32 v14, 2, v0
	s_mov_b64 s[0:1], 1
	s_delay_alu instid0(VALU_DEP_1)
	v_add_co_u32 v13, vcc_lo, v13, v14
	v_add_co_ci_u32_e32 v14, vcc_lo, 0, v16, vcc_lo
	s_waitcnt lgkmcnt(0)
	global_store_b32 v[13:14], v15, off offset:16
	s_branch .LBB48_8
.LBB48_30:
	s_endpgm
	.section	.rodata,"a",@progbits
	.p2align	6, 0x0
	.amdhsa_kernel _ZN9rocsparseL42csr2bsr_wavefront_per_row_multipass_kernelILj256ELj32ELj8EfliEEv20rocsparse_direction_T4_S2_S2_S2_S2_21rocsparse_index_base_PKT2_PKT3_PKS2_S3_PS4_PS7_PS2_
		.amdhsa_group_segment_fixed_size 2056
		.amdhsa_private_segment_fixed_size 0
		.amdhsa_kernarg_size 88
		.amdhsa_user_sgpr_count 15
		.amdhsa_user_sgpr_dispatch_ptr 0
		.amdhsa_user_sgpr_queue_ptr 0
		.amdhsa_user_sgpr_kernarg_segment_ptr 1
		.amdhsa_user_sgpr_dispatch_id 0
		.amdhsa_user_sgpr_private_segment_size 0
		.amdhsa_wavefront_size32 1
		.amdhsa_uses_dynamic_stack 0
		.amdhsa_enable_private_segment 0
		.amdhsa_system_sgpr_workgroup_id_x 1
		.amdhsa_system_sgpr_workgroup_id_y 0
		.amdhsa_system_sgpr_workgroup_id_z 0
		.amdhsa_system_sgpr_workgroup_info 0
		.amdhsa_system_vgpr_workitem_id 0
		.amdhsa_next_free_vgpr 42
		.amdhsa_next_free_sgpr 22
		.amdhsa_reserve_vcc 1
		.amdhsa_float_round_mode_32 0
		.amdhsa_float_round_mode_16_64 0
		.amdhsa_float_denorm_mode_32 3
		.amdhsa_float_denorm_mode_16_64 3
		.amdhsa_dx10_clamp 1
		.amdhsa_ieee_mode 1
		.amdhsa_fp16_overflow 0
		.amdhsa_workgroup_processor_mode 1
		.amdhsa_memory_ordered 1
		.amdhsa_forward_progress 0
		.amdhsa_shared_vgpr_count 0
		.amdhsa_exception_fp_ieee_invalid_op 0
		.amdhsa_exception_fp_denorm_src 0
		.amdhsa_exception_fp_ieee_div_zero 0
		.amdhsa_exception_fp_ieee_overflow 0
		.amdhsa_exception_fp_ieee_underflow 0
		.amdhsa_exception_fp_ieee_inexact 0
		.amdhsa_exception_int_div_zero 0
	.end_amdhsa_kernel
	.section	.text._ZN9rocsparseL42csr2bsr_wavefront_per_row_multipass_kernelILj256ELj32ELj8EfliEEv20rocsparse_direction_T4_S2_S2_S2_S2_21rocsparse_index_base_PKT2_PKT3_PKS2_S3_PS4_PS7_PS2_,"axG",@progbits,_ZN9rocsparseL42csr2bsr_wavefront_per_row_multipass_kernelILj256ELj32ELj8EfliEEv20rocsparse_direction_T4_S2_S2_S2_S2_21rocsparse_index_base_PKT2_PKT3_PKS2_S3_PS4_PS7_PS2_,comdat
.Lfunc_end48:
	.size	_ZN9rocsparseL42csr2bsr_wavefront_per_row_multipass_kernelILj256ELj32ELj8EfliEEv20rocsparse_direction_T4_S2_S2_S2_S2_21rocsparse_index_base_PKT2_PKT3_PKS2_S3_PS4_PS7_PS2_, .Lfunc_end48-_ZN9rocsparseL42csr2bsr_wavefront_per_row_multipass_kernelILj256ELj32ELj8EfliEEv20rocsparse_direction_T4_S2_S2_S2_S2_21rocsparse_index_base_PKT2_PKT3_PKS2_S3_PS4_PS7_PS2_
                                        ; -- End function
	.section	.AMDGPU.csdata,"",@progbits
; Kernel info:
; codeLenInByte = 1920
; NumSgprs: 24
; NumVgprs: 42
; ScratchSize: 0
; MemoryBound: 0
; FloatMode: 240
; IeeeMode: 1
; LDSByteSize: 2056 bytes/workgroup (compile time only)
; SGPRBlocks: 2
; VGPRBlocks: 5
; NumSGPRsForWavesPerEU: 24
; NumVGPRsForWavesPerEU: 42
; Occupancy: 16
; WaveLimiterHint : 0
; COMPUTE_PGM_RSRC2:SCRATCH_EN: 0
; COMPUTE_PGM_RSRC2:USER_SGPR: 15
; COMPUTE_PGM_RSRC2:TRAP_HANDLER: 0
; COMPUTE_PGM_RSRC2:TGID_X_EN: 1
; COMPUTE_PGM_RSRC2:TGID_Y_EN: 0
; COMPUTE_PGM_RSRC2:TGID_Z_EN: 0
; COMPUTE_PGM_RSRC2:TIDIG_COMP_CNT: 0
	.section	.text._ZN9rocsparseL42csr2bsr_wavefront_per_row_multipass_kernelILj256ELj64ELj16EfliEEv20rocsparse_direction_T4_S2_S2_S2_S2_21rocsparse_index_base_PKT2_PKT3_PKS2_S3_PS4_PS7_PS2_,"axG",@progbits,_ZN9rocsparseL42csr2bsr_wavefront_per_row_multipass_kernelILj256ELj64ELj16EfliEEv20rocsparse_direction_T4_S2_S2_S2_S2_21rocsparse_index_base_PKT2_PKT3_PKS2_S3_PS4_PS7_PS2_,comdat
	.globl	_ZN9rocsparseL42csr2bsr_wavefront_per_row_multipass_kernelILj256ELj64ELj16EfliEEv20rocsparse_direction_T4_S2_S2_S2_S2_21rocsparse_index_base_PKT2_PKT3_PKS2_S3_PS4_PS7_PS2_ ; -- Begin function _ZN9rocsparseL42csr2bsr_wavefront_per_row_multipass_kernelILj256ELj64ELj16EfliEEv20rocsparse_direction_T4_S2_S2_S2_S2_21rocsparse_index_base_PKT2_PKT3_PKS2_S3_PS4_PS7_PS2_
	.p2align	8
	.type	_ZN9rocsparseL42csr2bsr_wavefront_per_row_multipass_kernelILj256ELj64ELj16EfliEEv20rocsparse_direction_T4_S2_S2_S2_S2_21rocsparse_index_base_PKT2_PKT3_PKS2_S3_PS4_PS7_PS2_,@function
_ZN9rocsparseL42csr2bsr_wavefront_per_row_multipass_kernelILj256ELj64ELj16EfliEEv20rocsparse_direction_T4_S2_S2_S2_S2_21rocsparse_index_base_PKT2_PKT3_PKS2_S3_PS4_PS7_PS2_: ; @_ZN9rocsparseL42csr2bsr_wavefront_per_row_multipass_kernelILj256ELj64ELj16EfliEEv20rocsparse_direction_T4_S2_S2_S2_S2_21rocsparse_index_base_PKT2_PKT3_PKS2_S3_PS4_PS7_PS2_
; %bb.0:
	s_clause 0x1
	s_load_b128 s[4:7], s[0:1], 0xc
	s_load_b64 s[16:17], s[0:1], 0x0
	v_lshrrev_b32_e32 v28, 6, v0
	v_bfe_u32 v9, v0, 2, 4
	s_load_b64 s[8:9], s[0:1], 0x28
	v_mov_b32_e32 v1, 0
	v_mov_b32_e32 v2, 0
	v_lshl_or_b32 v5, s15, 2, v28
	s_delay_alu instid0(VALU_DEP_2) | instskip(SKIP_1) | instid1(VALU_DEP_2)
	v_dual_mov_b32 v8, v2 :: v_dual_mov_b32 v7, v1
	s_waitcnt lgkmcnt(0)
	v_mad_u64_u32 v[3:4], null, v5, s6, v[9:10]
	v_cmp_gt_i32_e32 vcc_lo, s6, v9
	s_delay_alu instid0(VALU_DEP_2) | instskip(NEXT) | instid1(VALU_DEP_1)
	v_cmp_gt_i32_e64 s2, s17, v3
	s_and_b32 s3, vcc_lo, s2
	s_delay_alu instid0(SALU_CYCLE_1)
	s_and_saveexec_b32 s10, s3
	s_cbranch_execz .LBB49_2
; %bb.1:
	v_ashrrev_i32_e32 v4, 31, v3
	s_delay_alu instid0(VALU_DEP_1) | instskip(NEXT) | instid1(VALU_DEP_1)
	v_lshlrev_b64 v[6:7], 3, v[3:4]
	v_add_co_u32 v6, s2, s8, v6
	s_delay_alu instid0(VALU_DEP_1) | instskip(SKIP_3) | instid1(VALU_DEP_1)
	v_add_co_ci_u32_e64 v7, s2, s9, v7, s2
	global_load_b64 v[7:8], v[6:7], off
	s_waitcnt vmcnt(0)
	v_sub_co_u32 v7, s2, v7, s7
	v_subrev_co_ci_u32_e64 v8, s2, 0, v8, s2
.LBB49_2:
	s_or_b32 exec_lo, exec_lo, s10
	s_and_saveexec_b32 s10, s3
	s_cbranch_execz .LBB49_4
; %bb.3:
	v_ashrrev_i32_e32 v4, 31, v3
	s_delay_alu instid0(VALU_DEP_1) | instskip(NEXT) | instid1(VALU_DEP_1)
	v_lshlrev_b64 v[1:2], 3, v[3:4]
	v_add_co_u32 v1, s2, s8, v1
	s_delay_alu instid0(VALU_DEP_1) | instskip(SKIP_3) | instid1(VALU_DEP_1)
	v_add_co_ci_u32_e64 v2, s2, s9, v2, s2
	global_load_b64 v[1:2], v[1:2], off offset:8
	s_waitcnt vmcnt(0)
	v_sub_co_u32 v1, s2, v1, s7
	v_subrev_co_ci_u32_e64 v2, s2, 0, v2, s2
.LBB49_4:
	s_or_b32 exec_lo, exec_lo, s10
	s_load_b32 s14, s[0:1], 0x38
	v_mov_b32_e32 v3, 0
	v_mov_b32_e32 v4, 0
	s_mov_b32 s3, exec_lo
	v_cmpx_gt_i32_e64 s4, v5
	s_cbranch_execz .LBB49_6
; %bb.5:
	s_load_b64 s[8:9], s[0:1], 0x48
	v_ashrrev_i32_e32 v6, 31, v5
	s_delay_alu instid0(VALU_DEP_1) | instskip(SKIP_1) | instid1(VALU_DEP_1)
	v_lshlrev_b64 v[3:4], 3, v[5:6]
	s_waitcnt lgkmcnt(0)
	v_add_co_u32 v3, s2, s8, v3
	s_delay_alu instid0(VALU_DEP_1) | instskip(SKIP_3) | instid1(VALU_DEP_1)
	v_add_co_ci_u32_e64 v4, s2, s9, v4, s2
	global_load_b64 v[3:4], v[3:4], off
	s_waitcnt vmcnt(0)
	v_sub_co_u32 v3, s2, v3, s14
	v_subrev_co_ci_u32_e64 v4, s2, 0, v4, s2
.LBB49_6:
	s_or_b32 exec_lo, exec_lo, s3
	s_cmp_lt_i32 s5, 1
	s_cbranch_scc1 .LBB49_40
; %bb.7:
	v_mbcnt_lo_u32_b32 v11, -1, 0
	s_load_b64 s[8:9], s[0:1], 0x20
	v_lshlrev_b32_e32 v5, 8, v28
	s_clause 0x2
	s_load_b64 s[10:11], s[0:1], 0x50
	s_load_b64 s[2:3], s[0:1], 0x40
	;; [unrolled: 1-line block ×3, first 2 shown]
	v_lshlrev_b32_e32 v12, 2, v9
	v_xor_b32_e32 v6, 2, v11
	v_xor_b32_e32 v10, 1, v11
	v_lshl_or_b32 v29, v9, 4, v5
	s_cmp_lg_u32 s16, 0
	v_xor_b32_e32 v13, 4, v11
	v_cmp_gt_i32_e64 s0, 32, v6
	s_cselect_b32 s15, -1, 0
	s_abs_i32 s18, s6
	s_lshl_b32 s19, s6, 2
	v_lshl_or_b32 v32, v11, 2, 12
	v_cndmask_b32_e64 v5, v11, v6, s0
	v_cmp_gt_i32_e64 s0, 32, v10
	v_mov_b32_e32 v6, 0
	v_bfrev_b32_e32 v41, 0.5
	s_mov_b32 s4, 0
	v_lshlrev_b32_e32 v30, 2, v5
	v_mul_lo_u32 v5, v9, s6
	v_cndmask_b32_e64 v10, v11, v10, s0
	s_waitcnt lgkmcnt(0)
	v_add_co_u32 v33, s0, s2, v12
	s_delay_alu instid0(VALU_DEP_1) | instskip(NEXT) | instid1(VALU_DEP_3)
	v_add_co_ci_u32_e64 v34, null, s3, 0, s0
	v_lshlrev_b32_e32 v31, 2, v10
	v_xor_b32_e32 v12, 8, v11
	v_lshlrev_b64 v[9:10], 2, v[5:6]
	v_or_b32_e32 v5, 32, v11
	s_mul_hi_u32 s16, s6, s6
	s_mul_i32 s17, s6, s6
	s_ashr_i32 s21, s6, 31
	v_mov_b32_e32 v16, v6
	v_add_co_u32 v35, s0, s2, v9
	s_delay_alu instid0(VALU_DEP_1) | instskip(SKIP_3) | instid1(VALU_DEP_2)
	v_add_co_ci_u32_e64 v36, s0, s3, v10, s0
	v_xor_b32_e32 v9, 16, v11
	v_cvt_f32_u32_e32 v10, s18
	v_cmp_gt_i32_e64 s0, 32, v5
	v_rcp_iflag_f32_e32 v10, v10
	s_delay_alu instid0(VALU_DEP_1) | instskip(SKIP_2) | instid1(VALU_DEP_3)
	v_cndmask_b32_e64 v5, v11, v5, s0
	v_cmp_gt_i32_e64 s0, 32, v9
	v_and_b32_e32 v0, 3, v0
	v_lshlrev_b32_e32 v37, 2, v5
	s_delay_alu instid0(VALU_DEP_3)
	v_cndmask_b32_e64 v9, v11, v9, s0
	v_cmp_gt_i32_e64 s0, 32, v12
	s_delay_alu instid0(TRANS32_DEP_1) | instid1(VALU_DEP_2)
	v_dual_mul_f32 v9, 0x4f7ffffe, v10 :: v_dual_lshlrev_b32 v38, 2, v9
	s_delay_alu instid0(VALU_DEP_2)
	v_cndmask_b32_e64 v12, v11, v12, s0
	v_cmp_gt_i32_e64 s0, 32, v13
	v_or_b32_e32 v10, v29, v0
	v_or_b32_e32 v15, 12, v0
	v_cvt_u32_f32_e32 v9, v9
	v_lshlrev_b32_e32 v39, 2, v12
	v_cndmask_b32_e64 v5, v11, v13, s0
	s_sub_i32 s0, 0, s18
	v_lshlrev_b32_e32 v42, 2, v10
	v_mul_lo_u32 v14, s0, v9
	v_or_b32_e32 v10, 4, v0
	v_lshlrev_b32_e32 v40, 2, v5
	v_mul_lo_u32 v5, v0, s6
	v_mov_b32_e32 v12, v6
	v_cmp_gt_u32_e64 s3, s6, v15
	v_cmp_gt_u32_e64 s1, s6, v10
	v_or_b32_e32 v10, 8, v0
	v_mul_hi_u32 v17, v9, v14
	v_mov_b32_e32 v14, v6
	v_cmp_gt_u32_e64 s0, s6, v0
	v_add_nc_u32_e32 v11, s19, v5
	v_cmp_gt_u32_e64 s2, s6, v10
	s_and_b32 s20, vcc_lo, s1
	s_and_b32 s3, vcc_lo, s3
	v_add_nc_u32_e32 v43, v9, v17
	v_mov_b32_e32 v17, 0
	v_dual_mov_b32 v18, 0 :: v_dual_add_nc_u32 v13, s19, v11
	v_lshlrev_b64 v[9:10], 2, v[5:6]
	v_lshlrev_b64 v[11:12], 2, v[11:12]
	v_mov_b32_e32 v5, 1
	s_and_b32 s2, vcc_lo, s2
	v_add_nc_u32_e32 v15, s19, v13
	v_lshlrev_b64 v[13:14], 2, v[13:14]
	s_and_b32 s19, s0, vcc_lo
	s_delay_alu instid0(VALU_DEP_2)
	v_lshlrev_b64 v[15:16], 2, v[15:16]
	s_branch .LBB49_11
.LBB49_8:                               ;   in Loop: Header=BB49_11 Depth=1
	v_dual_mov_b32 v19, s1 :: v_dual_mov_b32 v18, s0
.LBB49_9:                               ;   in Loop: Header=BB49_11 Depth=1
	s_or_b32 exec_lo, exec_lo, s23
.LBB49_10:                              ;   in Loop: Header=BB49_11 Depth=1
	s_delay_alu instid0(SALU_CYCLE_1) | instskip(SKIP_2) | instid1(VALU_DEP_1)
	s_or_b32 exec_lo, exec_lo, s22
	ds_bpermute_b32 v17, v37, v44
	v_add_co_u32 v3, s0, v18, v3
	v_add_co_ci_u32_e64 v4, s0, v19, v4, s0
	s_waitcnt lgkmcnt(0)
	s_waitcnt_vscnt null, 0x0
	buffer_gl0_inv
	buffer_gl0_inv
	v_min_i32_e32 v17, v17, v44
	ds_bpermute_b32 v20, v38, v17
	s_waitcnt lgkmcnt(0)
	v_min_i32_e32 v17, v20, v17
	ds_bpermute_b32 v20, v39, v17
	s_waitcnt lgkmcnt(0)
	;; [unrolled: 3-line block ×6, first 2 shown]
	v_cmp_le_i32_e32 vcc_lo, s5, v17
	v_ashrrev_i32_e32 v18, 31, v17
	s_or_b32 s4, vcc_lo, s4
	s_delay_alu instid0(SALU_CYCLE_1)
	s_and_not1_b32 exec_lo, exec_lo, s4
	s_cbranch_execz .LBB49_40
.LBB49_11:                              ; =>This Loop Header: Depth=1
                                        ;     Child Loop BB49_14 Depth 2
	v_add_co_u32 v7, vcc_lo, v7, v0
	v_mov_b32_e32 v24, v2
	v_add_co_ci_u32_e32 v8, vcc_lo, 0, v8, vcc_lo
	v_dual_mov_b32 v44, s5 :: v_dual_mov_b32 v23, v1
	s_mov_b32 s1, exec_lo
	ds_store_b8 v28, v6 offset:4096
	ds_store_2addr_b32 v42, v6, v6 offset1:4
	ds_store_2addr_b32 v42, v6, v6 offset0:8 offset1:12
	s_waitcnt lgkmcnt(0)
	buffer_gl0_inv
	v_cmpx_lt_i64_e64 v[7:8], v[1:2]
	s_cbranch_execz .LBB49_19
; %bb.12:                               ;   in Loop: Header=BB49_11 Depth=1
	v_lshlrev_b64 v[21:22], 2, v[7:8]
	v_mov_b32_e32 v24, v2
	v_dual_mov_b32 v44, s5 :: v_dual_mov_b32 v23, v1
	s_mov_b32 s22, 0
	s_delay_alu instid0(VALU_DEP_3) | instskip(NEXT) | instid1(VALU_DEP_4)
	v_add_co_u32 v19, vcc_lo, s8, v21
	v_add_co_ci_u32_e32 v20, vcc_lo, s9, v22, vcc_lo
	v_add_co_u32 v21, vcc_lo, s12, v21
	v_add_co_ci_u32_e32 v22, vcc_lo, s13, v22, vcc_lo
	s_branch .LBB49_14
.LBB49_13:                              ;   in Loop: Header=BB49_14 Depth=2
	s_or_b32 exec_lo, exec_lo, s0
	v_add_co_u32 v7, s0, v7, 4
	s_delay_alu instid0(VALU_DEP_1) | instskip(SKIP_2) | instid1(VALU_DEP_2)
	v_add_co_ci_u32_e64 v8, s0, 0, v8, s0
	s_xor_b32 s23, vcc_lo, -1
	v_add_co_u32 v19, vcc_lo, v19, 16
	v_cmp_ge_i64_e64 s0, v[7:8], v[1:2]
	v_add_co_ci_u32_e32 v20, vcc_lo, 0, v20, vcc_lo
	v_add_co_u32 v21, vcc_lo, v21, 16
	v_add_co_ci_u32_e32 v22, vcc_lo, 0, v22, vcc_lo
	s_delay_alu instid0(VALU_DEP_4) | instskip(NEXT) | instid1(SALU_CYCLE_1)
	s_or_b32 s0, s23, s0
	s_and_b32 s0, exec_lo, s0
	s_delay_alu instid0(SALU_CYCLE_1) | instskip(NEXT) | instid1(SALU_CYCLE_1)
	s_or_b32 s22, s0, s22
	s_and_not1_b32 exec_lo, exec_lo, s22
	s_cbranch_execz .LBB49_18
.LBB49_14:                              ;   Parent Loop BB49_11 Depth=1
                                        ; =>  This Inner Loop Header: Depth=2
	global_load_b32 v25, v[21:22], off
	s_waitcnt vmcnt(0)
	v_subrev_nc_u32_e32 v45, s7, v25
	s_delay_alu instid0(VALU_DEP_1) | instskip(NEXT) | instid1(VALU_DEP_1)
	v_sub_nc_u32_e32 v25, 0, v45
	v_max_i32_e32 v25, v45, v25
	s_delay_alu instid0(VALU_DEP_1) | instskip(NEXT) | instid1(VALU_DEP_1)
	v_mul_hi_u32 v26, v25, v43
	v_mul_lo_u32 v27, v26, s18
	s_delay_alu instid0(VALU_DEP_1) | instskip(SKIP_1) | instid1(VALU_DEP_2)
	v_sub_nc_u32_e32 v25, v25, v27
	v_add_nc_u32_e32 v27, 1, v26
	v_subrev_nc_u32_e32 v46, s18, v25
	v_cmp_le_u32_e32 vcc_lo, s18, v25
	s_delay_alu instid0(VALU_DEP_2) | instskip(SKIP_1) | instid1(VALU_DEP_2)
	v_dual_cndmask_b32 v26, v26, v27 :: v_dual_cndmask_b32 v25, v25, v46
	v_ashrrev_i32_e32 v27, 31, v45
	v_add_nc_u32_e32 v46, 1, v26
	s_delay_alu instid0(VALU_DEP_3) | instskip(NEXT) | instid1(VALU_DEP_3)
	v_cmp_le_u32_e32 vcc_lo, s18, v25
	v_xor_b32_e32 v27, s21, v27
	s_delay_alu instid0(VALU_DEP_3) | instskip(NEXT) | instid1(VALU_DEP_1)
	v_cndmask_b32_e32 v25, v26, v46, vcc_lo
	v_xor_b32_e32 v25, v25, v27
	s_delay_alu instid0(VALU_DEP_1) | instskip(NEXT) | instid1(VALU_DEP_1)
	v_sub_nc_u32_e32 v25, v25, v27
	v_ashrrev_i32_e32 v26, 31, v25
	s_delay_alu instid0(VALU_DEP_1) | instskip(SKIP_2) | instid1(VALU_DEP_2)
	v_cmp_eq_u64_e32 vcc_lo, v[17:18], v[25:26]
	v_cmp_ne_u64_e64 s0, v[17:18], v[25:26]
	v_dual_mov_b32 v27, v24 :: v_dual_mov_b32 v26, v23
	s_and_saveexec_b32 s23, s0
	s_delay_alu instid0(SALU_CYCLE_1)
	s_xor_b32 s0, exec_lo, s23
; %bb.15:                               ;   in Loop: Header=BB49_14 Depth=2
	v_min_i32_e32 v44, v25, v44
                                        ; implicit-def: $vgpr25
                                        ; implicit-def: $vgpr45
                                        ; implicit-def: $vgpr26_vgpr27
; %bb.16:                               ;   in Loop: Header=BB49_14 Depth=2
	s_or_saveexec_b32 s0, s0
	v_dual_mov_b32 v24, v8 :: v_dual_mov_b32 v23, v7
	s_xor_b32 exec_lo, exec_lo, s0
	s_cbranch_execz .LBB49_13
; %bb.17:                               ;   in Loop: Header=BB49_14 Depth=2
	global_load_b32 v46, v[19:20], off
	v_mul_lo_u32 v23, v25, s6
	s_delay_alu instid0(VALU_DEP_1) | instskip(NEXT) | instid1(VALU_DEP_1)
	v_sub_nc_u32_e32 v23, v45, v23
	v_add_lshl_u32 v25, v29, v23, 2
	v_dual_mov_b32 v23, v26 :: v_dual_mov_b32 v24, v27
	ds_store_b8 v28, v5 offset:4096
	s_waitcnt vmcnt(0)
	ds_store_b32 v25, v46
	s_branch .LBB49_13
.LBB49_18:                              ;   in Loop: Header=BB49_11 Depth=1
	s_or_b32 exec_lo, exec_lo, s22
.LBB49_19:                              ;   in Loop: Header=BB49_11 Depth=1
	s_delay_alu instid0(SALU_CYCLE_1)
	s_or_b32 exec_lo, exec_lo, s1
	ds_bpermute_b32 v7, v30, v23
	ds_bpermute_b32 v8, v30, v24
	s_waitcnt lgkmcnt(0)
	buffer_gl0_inv
	ds_load_u8 v20, v28 offset:4096
	s_mov_b32 s22, exec_lo
	v_cmp_lt_i64_e32 vcc_lo, v[7:8], v[23:24]
	s_waitcnt lgkmcnt(0)
	v_and_b32_e32 v20, 1, v20
	v_dual_cndmask_b32 v8, v24, v8 :: v_dual_cndmask_b32 v7, v23, v7
	ds_bpermute_b32 v19, v31, v8
	ds_bpermute_b32 v18, v31, v7
	s_waitcnt lgkmcnt(0)
	v_cmp_lt_i64_e32 vcc_lo, v[18:19], v[7:8]
	v_dual_cndmask_b32 v8, v8, v19 :: v_dual_cndmask_b32 v7, v7, v18
	v_mov_b32_e32 v18, 0
	v_mov_b32_e32 v19, 0
	ds_bpermute_b32 v8, v32, v8
	ds_bpermute_b32 v7, v32, v7
	v_cmpx_eq_u32_e32 1, v20
	s_cbranch_execz .LBB49_10
; %bb.20:                               ;   in Loop: Header=BB49_11 Depth=1
	v_mul_lo_u32 v20, s16, v3
	v_mul_lo_u32 v21, s17, v4
	v_mad_u64_u32 v[18:19], null, s17, v3, 0
	v_add_nc_u32_e32 v25, s14, v17
	s_delay_alu instid0(VALU_DEP_2) | instskip(SKIP_1) | instid1(VALU_DEP_2)
	v_add3_u32 v19, v19, v21, v20
	v_lshlrev_b64 v[20:21], 2, v[3:4]
	v_lshlrev_b64 v[17:18], 2, v[18:19]
	s_delay_alu instid0(VALU_DEP_2) | instskip(NEXT) | instid1(VALU_DEP_3)
	v_add_co_u32 v23, vcc_lo, s10, v20
	v_add_co_ci_u32_e32 v24, vcc_lo, s11, v21, vcc_lo
	s_delay_alu instid0(VALU_DEP_3) | instskip(NEXT) | instid1(VALU_DEP_4)
	v_add_co_u32 v21, vcc_lo, v33, v17
	v_add_co_ci_u32_e32 v22, vcc_lo, v34, v18, vcc_lo
	v_add_co_u32 v17, vcc_lo, v35, v17
	v_add_co_ci_u32_e32 v20, vcc_lo, v36, v18, vcc_lo
	global_store_b32 v[23:24], v25, off
	s_and_saveexec_b32 s0, s19
	s_cbranch_execz .LBB49_24
; %bb.21:                               ;   in Loop: Header=BB49_11 Depth=1
	s_and_b32 vcc_lo, exec_lo, s15
	s_cbranch_vccz .LBB49_35
; %bb.22:                               ;   in Loop: Header=BB49_11 Depth=1
	ds_load_b32 v23, v42
	v_add_co_u32 v18, vcc_lo, v21, v9
	v_add_co_ci_u32_e32 v19, vcc_lo, v22, v10, vcc_lo
	s_waitcnt lgkmcnt(0)
	global_store_b32 v[18:19], v23, off
	s_cbranch_execnz .LBB49_24
.LBB49_23:                              ;   in Loop: Header=BB49_11 Depth=1
	ds_load_b32 v23, v42
	v_lshlrev_b32_e32 v18, 2, v0
	s_delay_alu instid0(VALU_DEP_1)
	v_add_co_u32 v18, vcc_lo, v17, v18
	v_add_co_ci_u32_e32 v19, vcc_lo, 0, v20, vcc_lo
	s_waitcnt lgkmcnt(0)
	global_store_b32 v[18:19], v23, off
.LBB49_24:                              ;   in Loop: Header=BB49_11 Depth=1
	s_or_b32 exec_lo, exec_lo, s0
	s_and_saveexec_b32 s0, s20
	s_cbranch_execz .LBB49_28
; %bb.25:                               ;   in Loop: Header=BB49_11 Depth=1
	s_and_not1_b32 vcc_lo, exec_lo, s15
	s_cbranch_vccnz .LBB49_36
; %bb.26:                               ;   in Loop: Header=BB49_11 Depth=1
	ds_load_b32 v23, v42 offset:16
	v_add_co_u32 v18, vcc_lo, v21, v11
	v_add_co_ci_u32_e32 v19, vcc_lo, v22, v12, vcc_lo
	s_waitcnt lgkmcnt(0)
	global_store_b32 v[18:19], v23, off
	s_cbranch_execnz .LBB49_28
.LBB49_27:                              ;   in Loop: Header=BB49_11 Depth=1
	ds_load_b32 v23, v42 offset:16
	v_lshlrev_b32_e32 v18, 2, v0
	s_delay_alu instid0(VALU_DEP_1)
	v_add_co_u32 v18, vcc_lo, v17, v18
	v_add_co_ci_u32_e32 v19, vcc_lo, 0, v20, vcc_lo
	s_waitcnt lgkmcnt(0)
	global_store_b32 v[18:19], v23, off offset:16
.LBB49_28:                              ;   in Loop: Header=BB49_11 Depth=1
	s_or_b32 exec_lo, exec_lo, s0
	s_and_saveexec_b32 s0, s2
	s_cbranch_execz .LBB49_32
; %bb.29:                               ;   in Loop: Header=BB49_11 Depth=1
	s_and_not1_b32 vcc_lo, exec_lo, s15
	s_cbranch_vccnz .LBB49_37
; %bb.30:                               ;   in Loop: Header=BB49_11 Depth=1
	ds_load_b32 v23, v42 offset:32
	v_add_co_u32 v18, vcc_lo, v21, v13
	v_add_co_ci_u32_e32 v19, vcc_lo, v22, v14, vcc_lo
	s_waitcnt lgkmcnt(0)
	global_store_b32 v[18:19], v23, off
	s_cbranch_execnz .LBB49_32
.LBB49_31:                              ;   in Loop: Header=BB49_11 Depth=1
	ds_load_b32 v23, v42 offset:32
	v_lshlrev_b32_e32 v18, 2, v0
	s_delay_alu instid0(VALU_DEP_1)
	v_add_co_u32 v18, vcc_lo, v17, v18
	v_add_co_ci_u32_e32 v19, vcc_lo, 0, v20, vcc_lo
	s_waitcnt lgkmcnt(0)
	global_store_b32 v[18:19], v23, off offset:32
.LBB49_32:                              ;   in Loop: Header=BB49_11 Depth=1
	s_or_b32 exec_lo, exec_lo, s0
	v_mov_b32_e32 v18, 1
	v_mov_b32_e32 v19, 0
	s_and_saveexec_b32 s23, s3
	s_cbranch_execz .LBB49_9
; %bb.33:                               ;   in Loop: Header=BB49_11 Depth=1
	s_and_not1_b32 vcc_lo, exec_lo, s15
	s_cbranch_vccnz .LBB49_38
; %bb.34:                               ;   in Loop: Header=BB49_11 Depth=1
	ds_load_b32 v23, v42 offset:48
	v_add_co_u32 v18, vcc_lo, v21, v15
	v_add_co_ci_u32_e32 v19, vcc_lo, v22, v16, vcc_lo
	s_mov_b64 s[0:1], 1
	s_waitcnt lgkmcnt(0)
	global_store_b32 v[18:19], v23, off
	s_cbranch_execnz .LBB49_8
	s_branch .LBB49_39
.LBB49_35:                              ;   in Loop: Header=BB49_11 Depth=1
	s_branch .LBB49_23
.LBB49_36:                              ;   in Loop: Header=BB49_11 Depth=1
	s_branch .LBB49_27
.LBB49_37:                              ;   in Loop: Header=BB49_11 Depth=1
	s_branch .LBB49_31
.LBB49_38:                              ;   in Loop: Header=BB49_11 Depth=1
                                        ; implicit-def: $sgpr0_sgpr1
.LBB49_39:                              ;   in Loop: Header=BB49_11 Depth=1
	ds_load_b32 v19, v42 offset:48
	v_lshlrev_b32_e32 v18, 2, v0
	s_mov_b64 s[0:1], 1
	s_delay_alu instid0(VALU_DEP_1)
	v_add_co_u32 v17, vcc_lo, v17, v18
	v_add_co_ci_u32_e32 v18, vcc_lo, 0, v20, vcc_lo
	s_waitcnt lgkmcnt(0)
	global_store_b32 v[17:18], v19, off offset:48
	s_branch .LBB49_8
.LBB49_40:
	s_endpgm
	.section	.rodata,"a",@progbits
	.p2align	6, 0x0
	.amdhsa_kernel _ZN9rocsparseL42csr2bsr_wavefront_per_row_multipass_kernelILj256ELj64ELj16EfliEEv20rocsparse_direction_T4_S2_S2_S2_S2_21rocsparse_index_base_PKT2_PKT3_PKS2_S3_PS4_PS7_PS2_
		.amdhsa_group_segment_fixed_size 4100
		.amdhsa_private_segment_fixed_size 0
		.amdhsa_kernarg_size 88
		.amdhsa_user_sgpr_count 15
		.amdhsa_user_sgpr_dispatch_ptr 0
		.amdhsa_user_sgpr_queue_ptr 0
		.amdhsa_user_sgpr_kernarg_segment_ptr 1
		.amdhsa_user_sgpr_dispatch_id 0
		.amdhsa_user_sgpr_private_segment_size 0
		.amdhsa_wavefront_size32 1
		.amdhsa_uses_dynamic_stack 0
		.amdhsa_enable_private_segment 0
		.amdhsa_system_sgpr_workgroup_id_x 1
		.amdhsa_system_sgpr_workgroup_id_y 0
		.amdhsa_system_sgpr_workgroup_id_z 0
		.amdhsa_system_sgpr_workgroup_info 0
		.amdhsa_system_vgpr_workitem_id 0
		.amdhsa_next_free_vgpr 47
		.amdhsa_next_free_sgpr 24
		.amdhsa_reserve_vcc 1
		.amdhsa_float_round_mode_32 0
		.amdhsa_float_round_mode_16_64 0
		.amdhsa_float_denorm_mode_32 3
		.amdhsa_float_denorm_mode_16_64 3
		.amdhsa_dx10_clamp 1
		.amdhsa_ieee_mode 1
		.amdhsa_fp16_overflow 0
		.amdhsa_workgroup_processor_mode 1
		.amdhsa_memory_ordered 1
		.amdhsa_forward_progress 0
		.amdhsa_shared_vgpr_count 0
		.amdhsa_exception_fp_ieee_invalid_op 0
		.amdhsa_exception_fp_denorm_src 0
		.amdhsa_exception_fp_ieee_div_zero 0
		.amdhsa_exception_fp_ieee_overflow 0
		.amdhsa_exception_fp_ieee_underflow 0
		.amdhsa_exception_fp_ieee_inexact 0
		.amdhsa_exception_int_div_zero 0
	.end_amdhsa_kernel
	.section	.text._ZN9rocsparseL42csr2bsr_wavefront_per_row_multipass_kernelILj256ELj64ELj16EfliEEv20rocsparse_direction_T4_S2_S2_S2_S2_21rocsparse_index_base_PKT2_PKT3_PKS2_S3_PS4_PS7_PS2_,"axG",@progbits,_ZN9rocsparseL42csr2bsr_wavefront_per_row_multipass_kernelILj256ELj64ELj16EfliEEv20rocsparse_direction_T4_S2_S2_S2_S2_21rocsparse_index_base_PKT2_PKT3_PKS2_S3_PS4_PS7_PS2_,comdat
.Lfunc_end49:
	.size	_ZN9rocsparseL42csr2bsr_wavefront_per_row_multipass_kernelILj256ELj64ELj16EfliEEv20rocsparse_direction_T4_S2_S2_S2_S2_21rocsparse_index_base_PKT2_PKT3_PKS2_S3_PS4_PS7_PS2_, .Lfunc_end49-_ZN9rocsparseL42csr2bsr_wavefront_per_row_multipass_kernelILj256ELj64ELj16EfliEEv20rocsparse_direction_T4_S2_S2_S2_S2_21rocsparse_index_base_PKT2_PKT3_PKS2_S3_PS4_PS7_PS2_
                                        ; -- End function
	.section	.AMDGPU.csdata,"",@progbits
; Kernel info:
; codeLenInByte = 2224
; NumSgprs: 26
; NumVgprs: 47
; ScratchSize: 0
; MemoryBound: 0
; FloatMode: 240
; IeeeMode: 1
; LDSByteSize: 4100 bytes/workgroup (compile time only)
; SGPRBlocks: 3
; VGPRBlocks: 5
; NumSGPRsForWavesPerEU: 26
; NumVGPRsForWavesPerEU: 47
; Occupancy: 16
; WaveLimiterHint : 0
; COMPUTE_PGM_RSRC2:SCRATCH_EN: 0
; COMPUTE_PGM_RSRC2:USER_SGPR: 15
; COMPUTE_PGM_RSRC2:TRAP_HANDLER: 0
; COMPUTE_PGM_RSRC2:TGID_X_EN: 1
; COMPUTE_PGM_RSRC2:TGID_Y_EN: 0
; COMPUTE_PGM_RSRC2:TGID_Z_EN: 0
; COMPUTE_PGM_RSRC2:TIDIG_COMP_CNT: 0
	.section	.text._ZN9rocsparseL42csr2bsr_wavefront_per_row_multipass_kernelILj256ELj32ELj16EfliEEv20rocsparse_direction_T4_S2_S2_S2_S2_21rocsparse_index_base_PKT2_PKT3_PKS2_S3_PS4_PS7_PS2_,"axG",@progbits,_ZN9rocsparseL42csr2bsr_wavefront_per_row_multipass_kernelILj256ELj32ELj16EfliEEv20rocsparse_direction_T4_S2_S2_S2_S2_21rocsparse_index_base_PKT2_PKT3_PKS2_S3_PS4_PS7_PS2_,comdat
	.globl	_ZN9rocsparseL42csr2bsr_wavefront_per_row_multipass_kernelILj256ELj32ELj16EfliEEv20rocsparse_direction_T4_S2_S2_S2_S2_21rocsparse_index_base_PKT2_PKT3_PKS2_S3_PS4_PS7_PS2_ ; -- Begin function _ZN9rocsparseL42csr2bsr_wavefront_per_row_multipass_kernelILj256ELj32ELj16EfliEEv20rocsparse_direction_T4_S2_S2_S2_S2_21rocsparse_index_base_PKT2_PKT3_PKS2_S3_PS4_PS7_PS2_
	.p2align	8
	.type	_ZN9rocsparseL42csr2bsr_wavefront_per_row_multipass_kernelILj256ELj32ELj16EfliEEv20rocsparse_direction_T4_S2_S2_S2_S2_21rocsparse_index_base_PKT2_PKT3_PKS2_S3_PS4_PS7_PS2_,@function
_ZN9rocsparseL42csr2bsr_wavefront_per_row_multipass_kernelILj256ELj32ELj16EfliEEv20rocsparse_direction_T4_S2_S2_S2_S2_21rocsparse_index_base_PKT2_PKT3_PKS2_S3_PS4_PS7_PS2_: ; @_ZN9rocsparseL42csr2bsr_wavefront_per_row_multipass_kernelILj256ELj32ELj16EfliEEv20rocsparse_direction_T4_S2_S2_S2_S2_21rocsparse_index_base_PKT2_PKT3_PKS2_S3_PS4_PS7_PS2_
; %bb.0:
	s_clause 0x1
	s_load_b128 s[8:11], s[0:1], 0xc
	s_load_b64 s[4:5], s[0:1], 0x0
	v_lshrrev_b32_e32 v36, 5, v0
	v_bfe_u32 v9, v0, 1, 4
	s_load_b64 s[6:7], s[0:1], 0x28
	v_mov_b32_e32 v1, 0
	v_mov_b32_e32 v2, 0
	v_lshl_or_b32 v5, s15, 3, v36
	s_delay_alu instid0(VALU_DEP_2) | instskip(SKIP_1) | instid1(VALU_DEP_2)
	v_dual_mov_b32 v8, v2 :: v_dual_mov_b32 v7, v1
	s_waitcnt lgkmcnt(0)
	v_mad_u64_u32 v[3:4], null, v5, s10, v[9:10]
	v_cmp_gt_i32_e32 vcc_lo, s10, v9
	s_delay_alu instid0(VALU_DEP_2) | instskip(NEXT) | instid1(VALU_DEP_1)
	v_cmp_gt_i32_e64 s2, s5, v3
	s_and_b32 s3, vcc_lo, s2
	s_delay_alu instid0(SALU_CYCLE_1)
	s_and_saveexec_b32 s5, s3
	s_cbranch_execz .LBB50_2
; %bb.1:
	v_ashrrev_i32_e32 v4, 31, v3
	s_delay_alu instid0(VALU_DEP_1) | instskip(NEXT) | instid1(VALU_DEP_1)
	v_lshlrev_b64 v[6:7], 3, v[3:4]
	v_add_co_u32 v6, s2, s6, v6
	s_delay_alu instid0(VALU_DEP_1) | instskip(SKIP_3) | instid1(VALU_DEP_1)
	v_add_co_ci_u32_e64 v7, s2, s7, v7, s2
	global_load_b64 v[7:8], v[6:7], off
	s_waitcnt vmcnt(0)
	v_sub_co_u32 v7, s2, v7, s11
	v_subrev_co_ci_u32_e64 v8, s2, 0, v8, s2
.LBB50_2:
	s_or_b32 exec_lo, exec_lo, s5
	s_and_saveexec_b32 s5, s3
	s_cbranch_execz .LBB50_4
; %bb.3:
	v_ashrrev_i32_e32 v4, 31, v3
	s_delay_alu instid0(VALU_DEP_1) | instskip(NEXT) | instid1(VALU_DEP_1)
	v_lshlrev_b64 v[1:2], 3, v[3:4]
	v_add_co_u32 v1, s2, s6, v1
	s_delay_alu instid0(VALU_DEP_1) | instskip(SKIP_3) | instid1(VALU_DEP_1)
	v_add_co_ci_u32_e64 v2, s2, s7, v2, s2
	global_load_b64 v[1:2], v[1:2], off offset:8
	s_waitcnt vmcnt(0)
	v_sub_co_u32 v1, s2, v1, s11
	v_subrev_co_ci_u32_e64 v2, s2, 0, v2, s2
.LBB50_4:
	s_or_b32 exec_lo, exec_lo, s5
	s_load_b32 s18, s[0:1], 0x38
	v_mov_b32_e32 v3, 0
	v_mov_b32_e32 v4, 0
	s_mov_b32 s3, exec_lo
	v_cmpx_gt_i32_e64 s8, v5
	s_cbranch_execz .LBB50_6
; %bb.5:
	s_load_b64 s[6:7], s[0:1], 0x48
	v_ashrrev_i32_e32 v6, 31, v5
	s_delay_alu instid0(VALU_DEP_1) | instskip(SKIP_1) | instid1(VALU_DEP_1)
	v_lshlrev_b64 v[3:4], 3, v[5:6]
	s_waitcnt lgkmcnt(0)
	v_add_co_u32 v3, s2, s6, v3
	s_delay_alu instid0(VALU_DEP_1) | instskip(SKIP_3) | instid1(VALU_DEP_1)
	v_add_co_ci_u32_e64 v4, s2, s7, v4, s2
	global_load_b64 v[3:4], v[3:4], off
	s_waitcnt vmcnt(0)
	v_sub_co_u32 v3, s2, v3, s18
	v_subrev_co_ci_u32_e64 v4, s2, 0, v4, s2
.LBB50_6:
	s_or_b32 exec_lo, exec_lo, s3
	s_cmp_lt_i32 s9, 1
	s_cbranch_scc1 .LBB50_60
; %bb.7:
	v_mbcnt_lo_u32_b32 v11, -1, 0
	s_clause 0x3
	s_load_b64 s[12:13], s[0:1], 0x20
	s_load_b64 s[14:15], s[0:1], 0x50
	;; [unrolled: 1-line block ×4, first 2 shown]
	v_lshlrev_b32_e32 v10, 8, v36
	v_mov_b32_e32 v6, 0
	v_xor_b32_e32 v5, 1, v11
	v_dual_mov_b32 v25, 0 :: v_dual_and_b32 v0, 1, v0
	s_delay_alu instid0(VALU_DEP_4) | instskip(SKIP_1) | instid1(VALU_DEP_3)
	v_lshl_or_b32 v37, v9, 4, v10
	s_cmp_lg_u32 s4, 0
	v_cmp_gt_i32_e64 s0, 32, v5
	s_cselect_b32 s19, -1, 0
	s_abs_i32 s22, s10
	v_lshl_or_b32 v39, v11, 2, 4
	s_lshl_b32 s23, s10, 1
	v_cndmask_b32_e64 v12, v11, v5, s0
	v_mul_lo_u32 v5, v9, s10
	v_or_b32_e32 v15, 6, v0
	v_or_b32_e32 v19, 10, v0
	s_sub_i32 s6, 0, s22
	v_lshlrev_b32_e32 v38, 2, v12
	v_lshlrev_b32_e32 v12, 2, v9
	v_or_b32_e32 v23, 14, v0
	v_cmp_gt_u32_e64 s5, s10, v19
	v_lshlrev_b64 v[9:10], 2, v[5:6]
	v_xor_b32_e32 v5, 16, v11
	s_waitcnt lgkmcnt(0)
	v_add_co_u32 v40, s0, s2, v12
	s_delay_alu instid0(VALU_DEP_1) | instskip(NEXT) | instid1(VALU_DEP_4)
	v_add_co_ci_u32_e64 v41, null, s3, 0, s0
	v_add_co_u32 v42, s0, s2, v9
	s_delay_alu instid0(VALU_DEP_1)
	v_add_co_ci_u32_e64 v43, s0, s3, v10, s0
	v_xor_b32_e32 v9, 8, v11
	v_cmp_gt_i32_e64 s0, 32, v5
	v_xor_b32_e32 v10, 4, v11
	v_xor_b32_e32 v12, 2, v11
	v_cmp_gt_u32_e64 s3, s10, v15
	v_cmp_gt_u32_e64 s7, s10, v23
	v_cndmask_b32_e64 v5, v11, v5, s0
	v_cmp_gt_i32_e64 s0, 32, v9
	v_mov_b32_e32 v26, 0
	s_mov_b32 s8, 0
	s_mul_hi_u32 s20, s10, s10
	v_lshlrev_b32_e32 v44, 2, v5
	v_cndmask_b32_e64 v9, v11, v9, s0
	v_cmp_gt_i32_e64 s0, 32, v10
	v_mul_lo_u32 v5, v0, s10
	s_mul_i32 s21, s10, s10
	s_and_b32 s3, vcc_lo, s3
	v_lshlrev_b32_e32 v45, 2, v9
	v_cndmask_b32_e64 v10, v11, v10, s0
	v_cmp_gt_i32_e64 s0, 32, v12
	v_or_b32_e32 v9, v37, v0
	s_and_b32 s5, vcc_lo, s5
	s_and_b32 s7, vcc_lo, s7
	v_lshlrev_b32_e32 v46, 2, v10
	v_cndmask_b32_e64 v11, v11, v12, s0
	v_cvt_f32_u32_e32 v10, s22
	v_dual_mov_b32 v12, v6 :: v_dual_lshlrev_b32 v49, 2, v9
	v_or_b32_e32 v9, 2, v0
	s_delay_alu instid0(VALU_DEP_4) | instskip(SKIP_2) | instid1(VALU_DEP_3)
	v_dual_mov_b32 v48, 0x7c :: v_dual_lshlrev_b32 v47, 2, v11
	v_dual_mov_b32 v14, v6 :: v_dual_add_nc_u32 v11, s23, v5
	v_rcp_iflag_f32_e32 v10, v10
	v_cmp_gt_u32_e64 s1, s10, v9
	v_or_b32_e32 v9, 4, v0
	s_delay_alu instid0(VALU_DEP_3) | instskip(SKIP_2) | instid1(VALU_DEP_4)
	v_dual_mov_b32 v16, v6 :: v_dual_add_nc_u32 v13, s23, v11
	v_mov_b32_e32 v18, v6
	v_cmp_gt_u32_e64 s0, s10, v0
	v_cmp_gt_u32_e64 s2, s10, v9
	s_delay_alu instid0(VALU_DEP_4) | instskip(SKIP_1) | instid1(TRANS32_DEP_1)
	v_add_nc_u32_e32 v15, s23, v13
	v_or_b32_e32 v9, 8, v0
	v_mul_f32_e32 v10, 0x4f7ffffe, v10
	v_mov_b32_e32 v20, v6
	v_lshlrev_b64 v[11:12], 2, v[11:12]
	v_add_nc_u32_e32 v17, s23, v15
	v_cmp_gt_u32_e64 s4, s10, v9
	v_cvt_u32_f32_e32 v9, v10
	v_or_b32_e32 v10, 12, v0
	s_delay_alu instid0(VALU_DEP_4) | instskip(SKIP_1) | instid1(VALU_DEP_4)
	v_dual_mov_b32 v22, v6 :: v_dual_add_nc_u32 v19, s23, v17
	v_lshlrev_b64 v[13:14], 2, v[13:14]
	v_mul_lo_u32 v24, s6, v9
	s_delay_alu instid0(VALU_DEP_4)
	v_cmp_gt_u32_e64 s6, s10, v10
	v_lshlrev_b64 v[15:16], 2, v[15:16]
	v_add_nc_u32_e32 v21, s23, v19
	v_lshlrev_b64 v[17:18], 2, v[17:18]
	v_lshlrev_b64 v[19:20], 2, v[19:20]
	s_and_b32 s24, vcc_lo, s1
	s_and_b32 s2, vcc_lo, s2
	v_mul_hi_u32 v10, v9, v24
	v_dual_mov_b32 v24, v6 :: v_dual_add_nc_u32 v23, s23, v21
	v_lshlrev_b64 v[21:22], 2, v[21:22]
	s_and_b32 s23, s0, vcc_lo
	s_and_b32 s4, vcc_lo, s4
	s_and_b32 s6, vcc_lo, s6
	v_lshlrev_b64 v[23:24], 2, v[23:24]
	s_delay_alu instid0(VALU_DEP_4)
	v_add_nc_u32_e32 v50, v9, v10
	v_lshlrev_b64 v[9:10], 2, v[5:6]
	v_mov_b32_e32 v5, 1
	s_ashr_i32 s25, s10, 31
	s_branch .LBB50_11
.LBB50_8:                               ;   in Loop: Header=BB50_11 Depth=1
	v_dual_mov_b32 v27, s1 :: v_dual_mov_b32 v26, s0
.LBB50_9:                               ;   in Loop: Header=BB50_11 Depth=1
	s_or_b32 exec_lo, exec_lo, s27
.LBB50_10:                              ;   in Loop: Header=BB50_11 Depth=1
	s_delay_alu instid0(SALU_CYCLE_1) | instskip(SKIP_2) | instid1(VALU_DEP_1)
	s_or_b32 exec_lo, exec_lo, s26
	ds_bpermute_b32 v25, v44, v51
	v_add_co_u32 v3, s0, v26, v3
	v_add_co_ci_u32_e64 v4, s0, v27, v4, s0
	s_waitcnt lgkmcnt(0)
	s_waitcnt_vscnt null, 0x0
	buffer_gl0_inv
	buffer_gl0_inv
	v_min_i32_e32 v25, v25, v51
	ds_bpermute_b32 v28, v45, v25
	s_waitcnt lgkmcnt(0)
	v_min_i32_e32 v25, v28, v25
	ds_bpermute_b32 v28, v46, v25
	s_waitcnt lgkmcnt(0)
	;; [unrolled: 3-line block ×5, first 2 shown]
	v_cmp_le_i32_e32 vcc_lo, s9, v25
	v_ashrrev_i32_e32 v26, 31, v25
	s_or_b32 s8, vcc_lo, s8
	s_delay_alu instid0(SALU_CYCLE_1)
	s_and_not1_b32 exec_lo, exec_lo, s8
	s_cbranch_execz .LBB50_60
.LBB50_11:                              ; =>This Loop Header: Depth=1
                                        ;     Child Loop BB50_14 Depth 2
	v_add_co_u32 v7, vcc_lo, v7, v0
	v_dual_mov_b32 v51, s9 :: v_dual_mov_b32 v32, v2
	v_add_co_ci_u32_e32 v8, vcc_lo, 0, v8, vcc_lo
	v_mov_b32_e32 v31, v1
	s_mov_b32 s1, exec_lo
	ds_store_b8 v36, v6 offset:8192
	ds_store_2addr_b32 v49, v6, v6 offset1:2
	ds_store_2addr_b32 v49, v6, v6 offset0:4 offset1:6
	ds_store_2addr_b32 v49, v6, v6 offset0:8 offset1:10
	ds_store_2addr_b32 v49, v6, v6 offset0:12 offset1:14
	s_waitcnt lgkmcnt(0)
	buffer_gl0_inv
	v_cmpx_lt_i64_e64 v[7:8], v[1:2]
	s_cbranch_execz .LBB50_19
; %bb.12:                               ;   in Loop: Header=BB50_11 Depth=1
	v_lshlrev_b64 v[29:30], 2, v[7:8]
	v_dual_mov_b32 v51, s9 :: v_dual_mov_b32 v32, v2
	v_mov_b32_e32 v31, v1
	s_mov_b32 s26, 0
	s_delay_alu instid0(VALU_DEP_3) | instskip(NEXT) | instid1(VALU_DEP_4)
	v_add_co_u32 v27, vcc_lo, s12, v29
	v_add_co_ci_u32_e32 v28, vcc_lo, s13, v30, vcc_lo
	v_add_co_u32 v29, vcc_lo, s16, v29
	v_add_co_ci_u32_e32 v30, vcc_lo, s17, v30, vcc_lo
	s_branch .LBB50_14
.LBB50_13:                              ;   in Loop: Header=BB50_14 Depth=2
	s_or_b32 exec_lo, exec_lo, s0
	v_add_co_u32 v7, s0, v7, 2
	s_delay_alu instid0(VALU_DEP_1) | instskip(SKIP_2) | instid1(VALU_DEP_2)
	v_add_co_ci_u32_e64 v8, s0, 0, v8, s0
	s_xor_b32 s27, vcc_lo, -1
	v_add_co_u32 v27, vcc_lo, v27, 8
	v_cmp_ge_i64_e64 s0, v[7:8], v[1:2]
	v_add_co_ci_u32_e32 v28, vcc_lo, 0, v28, vcc_lo
	v_add_co_u32 v29, vcc_lo, v29, 8
	v_add_co_ci_u32_e32 v30, vcc_lo, 0, v30, vcc_lo
	s_delay_alu instid0(VALU_DEP_4) | instskip(NEXT) | instid1(SALU_CYCLE_1)
	s_or_b32 s0, s27, s0
	s_and_b32 s0, exec_lo, s0
	s_delay_alu instid0(SALU_CYCLE_1) | instskip(NEXT) | instid1(SALU_CYCLE_1)
	s_or_b32 s26, s0, s26
	s_and_not1_b32 exec_lo, exec_lo, s26
	s_cbranch_execz .LBB50_18
.LBB50_14:                              ;   Parent Loop BB50_11 Depth=1
                                        ; =>  This Inner Loop Header: Depth=2
	global_load_b32 v33, v[29:30], off
	s_waitcnt vmcnt(0)
	v_subrev_nc_u32_e32 v52, s11, v33
	s_delay_alu instid0(VALU_DEP_1) | instskip(NEXT) | instid1(VALU_DEP_1)
	v_sub_nc_u32_e32 v33, 0, v52
	v_max_i32_e32 v33, v52, v33
	s_delay_alu instid0(VALU_DEP_1) | instskip(NEXT) | instid1(VALU_DEP_1)
	v_mul_hi_u32 v34, v33, v50
	v_mul_lo_u32 v35, v34, s22
	s_delay_alu instid0(VALU_DEP_1) | instskip(SKIP_1) | instid1(VALU_DEP_2)
	v_sub_nc_u32_e32 v33, v33, v35
	v_add_nc_u32_e32 v35, 1, v34
	v_subrev_nc_u32_e32 v53, s22, v33
	v_cmp_le_u32_e32 vcc_lo, s22, v33
	s_delay_alu instid0(VALU_DEP_2) | instskip(SKIP_1) | instid1(VALU_DEP_2)
	v_dual_cndmask_b32 v34, v34, v35 :: v_dual_cndmask_b32 v33, v33, v53
	v_ashrrev_i32_e32 v35, 31, v52
	v_add_nc_u32_e32 v53, 1, v34
	s_delay_alu instid0(VALU_DEP_3) | instskip(NEXT) | instid1(VALU_DEP_3)
	v_cmp_le_u32_e32 vcc_lo, s22, v33
	v_xor_b32_e32 v35, s25, v35
	s_delay_alu instid0(VALU_DEP_3) | instskip(NEXT) | instid1(VALU_DEP_1)
	v_cndmask_b32_e32 v33, v34, v53, vcc_lo
	v_xor_b32_e32 v33, v33, v35
	s_delay_alu instid0(VALU_DEP_1) | instskip(NEXT) | instid1(VALU_DEP_1)
	v_sub_nc_u32_e32 v33, v33, v35
	v_ashrrev_i32_e32 v34, 31, v33
	s_delay_alu instid0(VALU_DEP_1) | instskip(SKIP_2) | instid1(VALU_DEP_2)
	v_cmp_eq_u64_e32 vcc_lo, v[25:26], v[33:34]
	v_cmp_ne_u64_e64 s0, v[25:26], v[33:34]
	v_dual_mov_b32 v35, v32 :: v_dual_mov_b32 v34, v31
	s_and_saveexec_b32 s27, s0
	s_delay_alu instid0(SALU_CYCLE_1)
	s_xor_b32 s0, exec_lo, s27
; %bb.15:                               ;   in Loop: Header=BB50_14 Depth=2
	v_min_i32_e32 v51, v33, v51
                                        ; implicit-def: $vgpr33
                                        ; implicit-def: $vgpr52
                                        ; implicit-def: $vgpr34_vgpr35
; %bb.16:                               ;   in Loop: Header=BB50_14 Depth=2
	s_or_saveexec_b32 s0, s0
	v_dual_mov_b32 v32, v8 :: v_dual_mov_b32 v31, v7
	s_xor_b32 exec_lo, exec_lo, s0
	s_cbranch_execz .LBB50_13
; %bb.17:                               ;   in Loop: Header=BB50_14 Depth=2
	global_load_b32 v53, v[27:28], off
	v_mul_lo_u32 v31, v33, s10
	s_delay_alu instid0(VALU_DEP_1) | instskip(NEXT) | instid1(VALU_DEP_1)
	v_sub_nc_u32_e32 v31, v52, v31
	v_add_lshl_u32 v33, v37, v31, 2
	v_dual_mov_b32 v31, v34 :: v_dual_mov_b32 v32, v35
	ds_store_b8 v36, v5 offset:8192
	s_waitcnt vmcnt(0)
	ds_store_b32 v33, v53
	s_branch .LBB50_13
.LBB50_18:                              ;   in Loop: Header=BB50_11 Depth=1
	s_or_b32 exec_lo, exec_lo, s26
.LBB50_19:                              ;   in Loop: Header=BB50_11 Depth=1
	s_delay_alu instid0(SALU_CYCLE_1)
	s_or_b32 exec_lo, exec_lo, s1
	ds_bpermute_b32 v7, v38, v31
	ds_bpermute_b32 v8, v38, v32
	s_waitcnt lgkmcnt(0)
	buffer_gl0_inv
	ds_load_u8 v26, v36 offset:8192
	s_mov_b32 s26, exec_lo
	v_cmp_lt_i64_e32 vcc_lo, v[7:8], v[31:32]
	s_waitcnt lgkmcnt(0)
	v_and_b32_e32 v28, 1, v26
	v_mov_b32_e32 v26, 0
	v_dual_mov_b32 v27, 0 :: v_dual_cndmask_b32 v8, v32, v8
	v_cndmask_b32_e32 v7, v31, v7, vcc_lo
	ds_bpermute_b32 v8, v39, v8
	ds_bpermute_b32 v7, v39, v7
	v_cmpx_eq_u32_e32 1, v28
	s_cbranch_execz .LBB50_10
; %bb.20:                               ;   in Loop: Header=BB50_11 Depth=1
	v_mul_lo_u32 v28, s20, v3
	v_mul_lo_u32 v29, s21, v4
	v_mad_u64_u32 v[26:27], null, s21, v3, 0
	v_add_nc_u32_e32 v33, s18, v25
	s_delay_alu instid0(VALU_DEP_2) | instskip(SKIP_1) | instid1(VALU_DEP_2)
	v_add3_u32 v27, v27, v29, v28
	v_lshlrev_b64 v[28:29], 2, v[3:4]
	v_lshlrev_b64 v[25:26], 2, v[26:27]
	s_delay_alu instid0(VALU_DEP_2) | instskip(NEXT) | instid1(VALU_DEP_3)
	v_add_co_u32 v31, vcc_lo, s14, v28
	v_add_co_ci_u32_e32 v32, vcc_lo, s15, v29, vcc_lo
	s_delay_alu instid0(VALU_DEP_3) | instskip(NEXT) | instid1(VALU_DEP_4)
	v_add_co_u32 v29, vcc_lo, v40, v25
	v_add_co_ci_u32_e32 v30, vcc_lo, v41, v26, vcc_lo
	v_add_co_u32 v25, vcc_lo, v42, v25
	v_add_co_ci_u32_e32 v28, vcc_lo, v43, v26, vcc_lo
	global_store_b32 v[31:32], v33, off
	s_and_saveexec_b32 s0, s23
	s_cbranch_execz .LBB50_24
; %bb.21:                               ;   in Loop: Header=BB50_11 Depth=1
	s_and_b32 vcc_lo, exec_lo, s19
	s_cbranch_vccz .LBB50_51
; %bb.22:                               ;   in Loop: Header=BB50_11 Depth=1
	ds_load_b32 v31, v49
	v_add_co_u32 v26, vcc_lo, v29, v9
	v_add_co_ci_u32_e32 v27, vcc_lo, v30, v10, vcc_lo
	s_waitcnt lgkmcnt(0)
	global_store_b32 v[26:27], v31, off
	s_cbranch_execnz .LBB50_24
.LBB50_23:                              ;   in Loop: Header=BB50_11 Depth=1
	ds_load_b32 v31, v49
	v_lshlrev_b32_e32 v26, 2, v0
	s_delay_alu instid0(VALU_DEP_1)
	v_add_co_u32 v26, vcc_lo, v25, v26
	v_add_co_ci_u32_e32 v27, vcc_lo, 0, v28, vcc_lo
	s_waitcnt lgkmcnt(0)
	global_store_b32 v[26:27], v31, off
.LBB50_24:                              ;   in Loop: Header=BB50_11 Depth=1
	s_or_b32 exec_lo, exec_lo, s0
	s_and_saveexec_b32 s0, s24
	s_cbranch_execz .LBB50_28
; %bb.25:                               ;   in Loop: Header=BB50_11 Depth=1
	s_and_not1_b32 vcc_lo, exec_lo, s19
	s_cbranch_vccnz .LBB50_52
; %bb.26:                               ;   in Loop: Header=BB50_11 Depth=1
	ds_load_b32 v31, v49 offset:8
	v_add_co_u32 v26, vcc_lo, v29, v11
	v_add_co_ci_u32_e32 v27, vcc_lo, v30, v12, vcc_lo
	s_waitcnt lgkmcnt(0)
	global_store_b32 v[26:27], v31, off
	s_cbranch_execnz .LBB50_28
.LBB50_27:                              ;   in Loop: Header=BB50_11 Depth=1
	ds_load_b32 v31, v49 offset:8
	v_lshlrev_b32_e32 v26, 2, v0
	s_delay_alu instid0(VALU_DEP_1)
	v_add_co_u32 v26, vcc_lo, v25, v26
	v_add_co_ci_u32_e32 v27, vcc_lo, 0, v28, vcc_lo
	s_waitcnt lgkmcnt(0)
	global_store_b32 v[26:27], v31, off offset:8
.LBB50_28:                              ;   in Loop: Header=BB50_11 Depth=1
	s_or_b32 exec_lo, exec_lo, s0
	s_and_saveexec_b32 s0, s2
	s_cbranch_execz .LBB50_32
; %bb.29:                               ;   in Loop: Header=BB50_11 Depth=1
	s_and_not1_b32 vcc_lo, exec_lo, s19
	s_cbranch_vccnz .LBB50_53
; %bb.30:                               ;   in Loop: Header=BB50_11 Depth=1
	ds_load_b32 v31, v49 offset:16
	v_add_co_u32 v26, vcc_lo, v29, v13
	v_add_co_ci_u32_e32 v27, vcc_lo, v30, v14, vcc_lo
	s_waitcnt lgkmcnt(0)
	global_store_b32 v[26:27], v31, off
	s_cbranch_execnz .LBB50_32
.LBB50_31:                              ;   in Loop: Header=BB50_11 Depth=1
	ds_load_b32 v31, v49 offset:16
	v_lshlrev_b32_e32 v26, 2, v0
	s_delay_alu instid0(VALU_DEP_1)
	v_add_co_u32 v26, vcc_lo, v25, v26
	v_add_co_ci_u32_e32 v27, vcc_lo, 0, v28, vcc_lo
	s_waitcnt lgkmcnt(0)
	global_store_b32 v[26:27], v31, off offset:16
.LBB50_32:                              ;   in Loop: Header=BB50_11 Depth=1
	s_or_b32 exec_lo, exec_lo, s0
	s_and_saveexec_b32 s0, s3
	s_cbranch_execz .LBB50_36
; %bb.33:                               ;   in Loop: Header=BB50_11 Depth=1
	s_and_not1_b32 vcc_lo, exec_lo, s19
	s_cbranch_vccnz .LBB50_54
; %bb.34:                               ;   in Loop: Header=BB50_11 Depth=1
	ds_load_b32 v31, v49 offset:24
	v_add_co_u32 v26, vcc_lo, v29, v15
	v_add_co_ci_u32_e32 v27, vcc_lo, v30, v16, vcc_lo
	s_waitcnt lgkmcnt(0)
	global_store_b32 v[26:27], v31, off
	s_cbranch_execnz .LBB50_36
.LBB50_35:                              ;   in Loop: Header=BB50_11 Depth=1
	ds_load_b32 v31, v49 offset:24
	v_lshlrev_b32_e32 v26, 2, v0
	s_delay_alu instid0(VALU_DEP_1)
	v_add_co_u32 v26, vcc_lo, v25, v26
	v_add_co_ci_u32_e32 v27, vcc_lo, 0, v28, vcc_lo
	s_waitcnt lgkmcnt(0)
	global_store_b32 v[26:27], v31, off offset:24
.LBB50_36:                              ;   in Loop: Header=BB50_11 Depth=1
	s_or_b32 exec_lo, exec_lo, s0
	s_and_saveexec_b32 s0, s4
	s_cbranch_execz .LBB50_40
; %bb.37:                               ;   in Loop: Header=BB50_11 Depth=1
	s_and_not1_b32 vcc_lo, exec_lo, s19
	s_cbranch_vccnz .LBB50_55
; %bb.38:                               ;   in Loop: Header=BB50_11 Depth=1
	ds_load_b32 v31, v49 offset:32
	v_add_co_u32 v26, vcc_lo, v29, v17
	v_add_co_ci_u32_e32 v27, vcc_lo, v30, v18, vcc_lo
	s_waitcnt lgkmcnt(0)
	global_store_b32 v[26:27], v31, off
	s_cbranch_execnz .LBB50_40
.LBB50_39:                              ;   in Loop: Header=BB50_11 Depth=1
	ds_load_b32 v31, v49 offset:32
	v_lshlrev_b32_e32 v26, 2, v0
	s_delay_alu instid0(VALU_DEP_1)
	v_add_co_u32 v26, vcc_lo, v25, v26
	v_add_co_ci_u32_e32 v27, vcc_lo, 0, v28, vcc_lo
	s_waitcnt lgkmcnt(0)
	global_store_b32 v[26:27], v31, off offset:32
.LBB50_40:                              ;   in Loop: Header=BB50_11 Depth=1
	s_or_b32 exec_lo, exec_lo, s0
	s_and_saveexec_b32 s0, s5
	s_cbranch_execz .LBB50_44
; %bb.41:                               ;   in Loop: Header=BB50_11 Depth=1
	s_and_not1_b32 vcc_lo, exec_lo, s19
	s_cbranch_vccnz .LBB50_56
; %bb.42:                               ;   in Loop: Header=BB50_11 Depth=1
	ds_load_b32 v31, v49 offset:40
	v_add_co_u32 v26, vcc_lo, v29, v19
	v_add_co_ci_u32_e32 v27, vcc_lo, v30, v20, vcc_lo
	s_waitcnt lgkmcnt(0)
	global_store_b32 v[26:27], v31, off
	s_cbranch_execnz .LBB50_44
.LBB50_43:                              ;   in Loop: Header=BB50_11 Depth=1
	ds_load_b32 v31, v49 offset:40
	v_lshlrev_b32_e32 v26, 2, v0
	s_delay_alu instid0(VALU_DEP_1)
	v_add_co_u32 v26, vcc_lo, v25, v26
	v_add_co_ci_u32_e32 v27, vcc_lo, 0, v28, vcc_lo
	s_waitcnt lgkmcnt(0)
	global_store_b32 v[26:27], v31, off offset:40
.LBB50_44:                              ;   in Loop: Header=BB50_11 Depth=1
	s_or_b32 exec_lo, exec_lo, s0
	s_and_saveexec_b32 s0, s6
	s_cbranch_execz .LBB50_48
; %bb.45:                               ;   in Loop: Header=BB50_11 Depth=1
	s_and_not1_b32 vcc_lo, exec_lo, s19
	s_cbranch_vccnz .LBB50_57
; %bb.46:                               ;   in Loop: Header=BB50_11 Depth=1
	ds_load_b32 v31, v49 offset:48
	v_add_co_u32 v26, vcc_lo, v29, v21
	v_add_co_ci_u32_e32 v27, vcc_lo, v30, v22, vcc_lo
	s_waitcnt lgkmcnt(0)
	global_store_b32 v[26:27], v31, off
	s_cbranch_execnz .LBB50_48
.LBB50_47:                              ;   in Loop: Header=BB50_11 Depth=1
	ds_load_b32 v31, v49 offset:48
	v_lshlrev_b32_e32 v26, 2, v0
	s_delay_alu instid0(VALU_DEP_1)
	v_add_co_u32 v26, vcc_lo, v25, v26
	v_add_co_ci_u32_e32 v27, vcc_lo, 0, v28, vcc_lo
	s_waitcnt lgkmcnt(0)
	global_store_b32 v[26:27], v31, off offset:48
.LBB50_48:                              ;   in Loop: Header=BB50_11 Depth=1
	s_or_b32 exec_lo, exec_lo, s0
	v_mov_b32_e32 v26, 1
	v_mov_b32_e32 v27, 0
	s_and_saveexec_b32 s27, s7
	s_cbranch_execz .LBB50_9
; %bb.49:                               ;   in Loop: Header=BB50_11 Depth=1
	s_and_not1_b32 vcc_lo, exec_lo, s19
	s_cbranch_vccnz .LBB50_58
; %bb.50:                               ;   in Loop: Header=BB50_11 Depth=1
	ds_load_b32 v31, v49 offset:56
	v_add_co_u32 v26, vcc_lo, v29, v23
	v_add_co_ci_u32_e32 v27, vcc_lo, v30, v24, vcc_lo
	s_mov_b64 s[0:1], 1
	s_waitcnt lgkmcnt(0)
	global_store_b32 v[26:27], v31, off
	s_cbranch_execnz .LBB50_8
	s_branch .LBB50_59
.LBB50_51:                              ;   in Loop: Header=BB50_11 Depth=1
	s_branch .LBB50_23
.LBB50_52:                              ;   in Loop: Header=BB50_11 Depth=1
	s_branch .LBB50_27
.LBB50_53:                              ;   in Loop: Header=BB50_11 Depth=1
	s_branch .LBB50_31
.LBB50_54:                              ;   in Loop: Header=BB50_11 Depth=1
	s_branch .LBB50_35
.LBB50_55:                              ;   in Loop: Header=BB50_11 Depth=1
	s_branch .LBB50_39
.LBB50_56:                              ;   in Loop: Header=BB50_11 Depth=1
	s_branch .LBB50_43
.LBB50_57:                              ;   in Loop: Header=BB50_11 Depth=1
	s_branch .LBB50_47
.LBB50_58:                              ;   in Loop: Header=BB50_11 Depth=1
                                        ; implicit-def: $sgpr0_sgpr1
.LBB50_59:                              ;   in Loop: Header=BB50_11 Depth=1
	ds_load_b32 v27, v49 offset:56
	v_lshlrev_b32_e32 v26, 2, v0
	s_mov_b64 s[0:1], 1
	s_delay_alu instid0(VALU_DEP_1)
	v_add_co_u32 v25, vcc_lo, v25, v26
	v_add_co_ci_u32_e32 v26, vcc_lo, 0, v28, vcc_lo
	s_waitcnt lgkmcnt(0)
	global_store_b32 v[25:26], v27, off offset:56
	s_branch .LBB50_8
.LBB50_60:
	s_endpgm
	.section	.rodata,"a",@progbits
	.p2align	6, 0x0
	.amdhsa_kernel _ZN9rocsparseL42csr2bsr_wavefront_per_row_multipass_kernelILj256ELj32ELj16EfliEEv20rocsparse_direction_T4_S2_S2_S2_S2_21rocsparse_index_base_PKT2_PKT3_PKS2_S3_PS4_PS7_PS2_
		.amdhsa_group_segment_fixed_size 8200
		.amdhsa_private_segment_fixed_size 0
		.amdhsa_kernarg_size 88
		.amdhsa_user_sgpr_count 15
		.amdhsa_user_sgpr_dispatch_ptr 0
		.amdhsa_user_sgpr_queue_ptr 0
		.amdhsa_user_sgpr_kernarg_segment_ptr 1
		.amdhsa_user_sgpr_dispatch_id 0
		.amdhsa_user_sgpr_private_segment_size 0
		.amdhsa_wavefront_size32 1
		.amdhsa_uses_dynamic_stack 0
		.amdhsa_enable_private_segment 0
		.amdhsa_system_sgpr_workgroup_id_x 1
		.amdhsa_system_sgpr_workgroup_id_y 0
		.amdhsa_system_sgpr_workgroup_id_z 0
		.amdhsa_system_sgpr_workgroup_info 0
		.amdhsa_system_vgpr_workitem_id 0
		.amdhsa_next_free_vgpr 54
		.amdhsa_next_free_sgpr 28
		.amdhsa_reserve_vcc 1
		.amdhsa_float_round_mode_32 0
		.amdhsa_float_round_mode_16_64 0
		.amdhsa_float_denorm_mode_32 3
		.amdhsa_float_denorm_mode_16_64 3
		.amdhsa_dx10_clamp 1
		.amdhsa_ieee_mode 1
		.amdhsa_fp16_overflow 0
		.amdhsa_workgroup_processor_mode 1
		.amdhsa_memory_ordered 1
		.amdhsa_forward_progress 0
		.amdhsa_shared_vgpr_count 0
		.amdhsa_exception_fp_ieee_invalid_op 0
		.amdhsa_exception_fp_denorm_src 0
		.amdhsa_exception_fp_ieee_div_zero 0
		.amdhsa_exception_fp_ieee_overflow 0
		.amdhsa_exception_fp_ieee_underflow 0
		.amdhsa_exception_fp_ieee_inexact 0
		.amdhsa_exception_int_div_zero 0
	.end_amdhsa_kernel
	.section	.text._ZN9rocsparseL42csr2bsr_wavefront_per_row_multipass_kernelILj256ELj32ELj16EfliEEv20rocsparse_direction_T4_S2_S2_S2_S2_21rocsparse_index_base_PKT2_PKT3_PKS2_S3_PS4_PS7_PS2_,"axG",@progbits,_ZN9rocsparseL42csr2bsr_wavefront_per_row_multipass_kernelILj256ELj32ELj16EfliEEv20rocsparse_direction_T4_S2_S2_S2_S2_21rocsparse_index_base_PKT2_PKT3_PKS2_S3_PS4_PS7_PS2_,comdat
.Lfunc_end50:
	.size	_ZN9rocsparseL42csr2bsr_wavefront_per_row_multipass_kernelILj256ELj32ELj16EfliEEv20rocsparse_direction_T4_S2_S2_S2_S2_21rocsparse_index_base_PKT2_PKT3_PKS2_S3_PS4_PS7_PS2_, .Lfunc_end50-_ZN9rocsparseL42csr2bsr_wavefront_per_row_multipass_kernelILj256ELj32ELj16EfliEEv20rocsparse_direction_T4_S2_S2_S2_S2_21rocsparse_index_base_PKT2_PKT3_PKS2_S3_PS4_PS7_PS2_
                                        ; -- End function
	.section	.AMDGPU.csdata,"",@progbits
; Kernel info:
; codeLenInByte = 2708
; NumSgprs: 30
; NumVgprs: 54
; ScratchSize: 0
; MemoryBound: 0
; FloatMode: 240
; IeeeMode: 1
; LDSByteSize: 8200 bytes/workgroup (compile time only)
; SGPRBlocks: 3
; VGPRBlocks: 6
; NumSGPRsForWavesPerEU: 30
; NumVGPRsForWavesPerEU: 54
; Occupancy: 16
; WaveLimiterHint : 0
; COMPUTE_PGM_RSRC2:SCRATCH_EN: 0
; COMPUTE_PGM_RSRC2:USER_SGPR: 15
; COMPUTE_PGM_RSRC2:TRAP_HANDLER: 0
; COMPUTE_PGM_RSRC2:TGID_X_EN: 1
; COMPUTE_PGM_RSRC2:TGID_Y_EN: 0
; COMPUTE_PGM_RSRC2:TGID_Z_EN: 0
; COMPUTE_PGM_RSRC2:TIDIG_COMP_CNT: 0
	.section	.text._ZN9rocsparseL38csr2bsr_block_per_row_multipass_kernelILj256ELj32EfliEEv20rocsparse_direction_T3_S2_S2_S2_S2_21rocsparse_index_base_PKT1_PKT2_PKS2_S3_PS4_PS7_PS2_,"axG",@progbits,_ZN9rocsparseL38csr2bsr_block_per_row_multipass_kernelILj256ELj32EfliEEv20rocsparse_direction_T3_S2_S2_S2_S2_21rocsparse_index_base_PKT1_PKT2_PKS2_S3_PS4_PS7_PS2_,comdat
	.globl	_ZN9rocsparseL38csr2bsr_block_per_row_multipass_kernelILj256ELj32EfliEEv20rocsparse_direction_T3_S2_S2_S2_S2_21rocsparse_index_base_PKT1_PKT2_PKS2_S3_PS4_PS7_PS2_ ; -- Begin function _ZN9rocsparseL38csr2bsr_block_per_row_multipass_kernelILj256ELj32EfliEEv20rocsparse_direction_T3_S2_S2_S2_S2_21rocsparse_index_base_PKT1_PKT2_PKS2_S3_PS4_PS7_PS2_
	.p2align	8
	.type	_ZN9rocsparseL38csr2bsr_block_per_row_multipass_kernelILj256ELj32EfliEEv20rocsparse_direction_T3_S2_S2_S2_S2_21rocsparse_index_base_PKT1_PKT2_PKS2_S3_PS4_PS7_PS2_,@function
_ZN9rocsparseL38csr2bsr_block_per_row_multipass_kernelILj256ELj32EfliEEv20rocsparse_direction_T3_S2_S2_S2_S2_21rocsparse_index_base_PKT1_PKT2_PKS2_S3_PS4_PS7_PS2_: ; @_ZN9rocsparseL38csr2bsr_block_per_row_multipass_kernelILj256ELj32EfliEEv20rocsparse_direction_T3_S2_S2_S2_S2_21rocsparse_index_base_PKT1_PKT2_PKS2_S3_PS4_PS7_PS2_
; %bb.0:
	s_clause 0x1
	s_load_b128 s[16:19], s[0:1], 0x10
	s_load_b64 s[8:9], s[0:1], 0x0
	v_lshrrev_b32_e32 v3, 3, v0
	s_load_b64 s[6:7], s[0:1], 0x28
	s_mov_b32 s4, s15
	v_mov_b32_e32 v1, 0
	v_mov_b32_e32 v2, 0
	s_delay_alu instid0(VALU_DEP_1) | instskip(SKIP_3) | instid1(VALU_DEP_2)
	v_dual_mov_b32 v10, v2 :: v_dual_mov_b32 v9, v1
	s_waitcnt lgkmcnt(0)
	v_mad_u64_u32 v[4:5], null, s4, s17, v[3:4]
	v_cmp_gt_i32_e32 vcc_lo, s17, v3
	v_cmp_gt_i32_e64 s2, s9, v4
	s_delay_alu instid0(VALU_DEP_1) | instskip(NEXT) | instid1(SALU_CYCLE_1)
	s_and_b32 s3, vcc_lo, s2
	s_and_saveexec_b32 s5, s3
	s_cbranch_execnz .LBB51_3
; %bb.1:
	s_or_b32 exec_lo, exec_lo, s5
	s_and_saveexec_b32 s5, s3
	s_cbranch_execnz .LBB51_4
.LBB51_2:
	s_or_b32 exec_lo, exec_lo, s5
	s_cmp_lt_i32 s16, 1
	s_cbranch_scc0 .LBB51_5
	s_branch .LBB51_41
.LBB51_3:
	v_ashrrev_i32_e32 v5, 31, v4
	s_delay_alu instid0(VALU_DEP_1) | instskip(NEXT) | instid1(VALU_DEP_1)
	v_lshlrev_b64 v[5:6], 3, v[4:5]
	v_add_co_u32 v5, s2, s6, v5
	s_delay_alu instid0(VALU_DEP_1) | instskip(SKIP_3) | instid1(VALU_DEP_1)
	v_add_co_ci_u32_e64 v6, s2, s7, v6, s2
	global_load_b64 v[5:6], v[5:6], off
	s_waitcnt vmcnt(0)
	v_sub_co_u32 v9, s2, v5, s18
	v_subrev_co_ci_u32_e64 v10, s2, 0, v6, s2
	s_or_b32 exec_lo, exec_lo, s5
	s_and_saveexec_b32 s5, s3
	s_cbranch_execz .LBB51_2
.LBB51_4:
	v_ashrrev_i32_e32 v5, 31, v4
	s_delay_alu instid0(VALU_DEP_1) | instskip(NEXT) | instid1(VALU_DEP_1)
	v_lshlrev_b64 v[1:2], 3, v[4:5]
	v_add_co_u32 v1, s2, s6, v1
	s_delay_alu instid0(VALU_DEP_1) | instskip(SKIP_3) | instid1(VALU_DEP_1)
	v_add_co_ci_u32_e64 v2, s2, s7, v2, s2
	global_load_b64 v[1:2], v[1:2], off offset:8
	s_waitcnt vmcnt(0)
	v_sub_co_u32 v1, s2, v1, s18
	v_subrev_co_ci_u32_e64 v2, s2, 0, v2, s2
	s_or_b32 exec_lo, exec_lo, s5
	s_cmp_lt_i32 s16, 1
	s_cbranch_scc1 .LBB51_41
.LBB51_5:
	s_clause 0x4
	s_load_b128 s[20:23], s[0:1], 0x40
	s_load_b64 s[14:15], s[0:1], 0x50
	s_load_b64 s[24:25], s[0:1], 0x20
	s_load_b64 s[26:27], s[0:1], 0x30
	s_load_b32 s19, s[0:1], 0x38
	s_ashr_i32 s5, s4, 31
	v_mbcnt_lo_u32_b32 v5, -1, 0
	s_lshl_b64 s[0:1], s[4:5], 3
	v_dual_mov_b32 v4, 0 :: v_dual_lshlrev_b32 v27, 5, v3
	v_lshlrev_b32_e32 v7, 2, v3
	s_delay_alu instid0(VALU_DEP_3)
	v_xor_b32_e32 v6, 4, v5
	v_xor_b32_e32 v11, 2, v5
	;; [unrolled: 1-line block ×3, first 2 shown]
	v_mul_lo_u32 v3, v3, s17
	v_dual_mov_b32 v15, 0 :: v_dual_and_b32 v26, 7, v0
	v_cmp_gt_u32_e64 s2, 32, v0
	v_cmp_gt_u32_e64 s3, 16, v0
	v_cmp_gt_u32_e64 s4, 8, v0
	s_waitcnt lgkmcnt(0)
	s_add_u32 s0, s22, s0
	s_addc_u32 s1, s23, s1
	v_cmp_gt_u32_e64 s5, 4, v0
	s_load_b64 s[10:11], s[0:1], 0x0
	v_cmp_gt_u32_e64 s0, 0x80, v0
	v_cmp_gt_u32_e64 s1, 64, v0
	;; [unrolled: 1-line block ×3, first 2 shown]
	v_cmp_eq_u32_e64 s7, 0, v0
	v_or_b32_e32 v20, v27, v26
	v_lshlrev_b64 v[17:18], 2, v[3:4]
	v_mul_lo_u32 v3, v26, s17
	v_mov_b32_e32 v12, v4
	s_delay_alu instid0(VALU_DEP_4)
	v_dual_mov_b32 v16, 0 :: v_dual_lshlrev_b32 v29, 2, v20
	v_dual_mov_b32 v8, v4 :: v_dual_lshlrev_b32 v19, 2, v26
	v_or_b32_e32 v21, 8, v26
	v_or_b32_e32 v22, 16, v26
	;; [unrolled: 1-line block ×3, first 2 shown]
	v_cmp_gt_u32_e64 s9, s17, v26
	s_mul_hi_u32 s28, s17, s17
	s_mul_i32 s29, s17, s17
	v_mov_b32_e32 v37, 1
	s_waitcnt lgkmcnt(0)
	s_sub_u32 s22, s10, s19
	s_subb_u32 s23, s11, 0
	s_cmp_eq_u32 s8, 0
	v_cmp_gt_i32_e64 s10, 32, v6
	s_cselect_b32 s8, -1, 0
	s_abs_i32 s30, s17
	s_lshl_b32 s31, s17, 3
	v_cvt_f32_u32_e32 v23, s30
	v_cndmask_b32_e64 v6, v5, v6, s10
	v_cmp_gt_i32_e64 s10, 32, v11
	s_sub_i32 s13, 0, s30
	v_cmp_gt_u32_e64 s11, s17, v22
	v_rcp_iflag_f32_e32 v23, v23
	v_lshlrev_b32_e32 v28, 2, v0
	v_cndmask_b32_e64 v11, v5, v11, s10
	v_cmp_gt_i32_e64 s10, 32, v13
	v_lshl_or_b32 v0, v5, 2, 28
	v_mov_b32_e32 v14, v4
	v_lshlrev_b32_e32 v30, 2, v6
	v_lshlrev_b32_e32 v31, 2, v11
	v_cndmask_b32_e64 v5, v5, v13, s10
	v_cmp_gt_u32_e64 s10, s17, v21
	v_mul_f32_e32 v13, 0x4f7ffffe, v23
	v_cmp_gt_u32_e64 s12, s17, v24
	s_delay_alu instid0(VALU_DEP_4) | instskip(SKIP_1) | instid1(VALU_DEP_4)
	v_lshlrev_b32_e32 v32, 2, v5
	v_lshlrev_b64 v[5:6], 2, v[3:4]
	v_cvt_u32_f32_e32 v20, v13
	s_delay_alu instid0(VALU_DEP_4) | instskip(NEXT) | instid1(VALU_DEP_1)
	s_and_b32 s12, vcc_lo, s12
	v_mul_lo_u32 v13, s13, v20
	v_add_co_u32 v33, s13, s20, v7
	v_add_nc_u32_e32 v7, s31, v3
	v_add_co_ci_u32_e64 v34, null, s21, 0, s13
	v_add_co_u32 v3, s13, s20, v17
	s_delay_alu instid0(VALU_DEP_3) | instskip(SKIP_2) | instid1(VALU_DEP_4)
	v_add_nc_u32_e32 v11, s31, v7
	v_add_co_ci_u32_e64 v17, s13, s21, v18, s13
	v_mul_hi_u32 v18, v20, v13
	v_add_co_u32 v3, s13, v3, v19
	s_delay_alu instid0(VALU_DEP_4) | instskip(SKIP_3) | instid1(VALU_DEP_4)
	v_add_nc_u32_e32 v13, s31, v11
	v_lshlrev_b64 v[7:8], 2, v[7:8]
	v_lshlrev_b64 v[11:12], 2, v[11:12]
	v_add_co_ci_u32_e64 v35, s13, 0, v17, s13
	v_lshlrev_b64 v[13:14], 2, v[13:14]
	v_add_nc_u32_e32 v36, v20, v18
	s_and_b32 s13, vcc_lo, s9
	s_and_b32 s20, vcc_lo, s10
	;; [unrolled: 1-line block ×3, first 2 shown]
	s_ashr_i32 s31, s17, 31
	s_branch .LBB51_7
.LBB51_6:                               ;   in Loop: Header=BB51_7 Depth=1
	s_or_b32 exec_lo, exec_lo, s9
	s_waitcnt lgkmcnt(0)
	s_barrier
	buffer_gl0_inv
	ds_load_b32 v15, v4
	s_add_u32 s22, s10, s22
	s_addc_u32 s23, s11, s23
	s_waitcnt lgkmcnt(0)
	s_barrier
	buffer_gl0_inv
	v_cmp_gt_i32_e32 vcc_lo, s16, v15
	v_ashrrev_i32_e32 v16, 31, v15
	s_cbranch_vccz .LBB51_41
.LBB51_7:                               ; =>This Loop Header: Depth=1
                                        ;     Child Loop BB51_10 Depth 2
	v_add_co_u32 v9, vcc_lo, v9, v26
	v_mov_b32_e32 v22, v2
	v_add_co_ci_u32_e32 v10, vcc_lo, 0, v10, vcc_lo
	v_dual_mov_b32 v38, s16 :: v_dual_mov_b32 v21, v1
	s_mov_b32 s10, exec_lo
	ds_store_b8 v4, v4 offset:4096
	ds_store_2addr_b32 v29, v4, v4 offset1:8
	ds_store_2addr_b32 v29, v4, v4 offset0:16 offset1:24
	s_waitcnt lgkmcnt(0)
	s_barrier
	buffer_gl0_inv
	v_cmpx_lt_i64_e64 v[9:10], v[1:2]
	s_cbranch_execz .LBB51_15
; %bb.8:                                ;   in Loop: Header=BB51_7 Depth=1
	v_lshlrev_b64 v[19:20], 2, v[9:10]
	v_mov_b32_e32 v22, v2
	v_dual_mov_b32 v38, s16 :: v_dual_mov_b32 v21, v1
	s_mov_b32 s11, 0
	s_delay_alu instid0(VALU_DEP_3) | instskip(NEXT) | instid1(VALU_DEP_4)
	v_add_co_u32 v17, vcc_lo, s24, v19
	v_add_co_ci_u32_e32 v18, vcc_lo, s25, v20, vcc_lo
	v_add_co_u32 v19, vcc_lo, s26, v19
	v_add_co_ci_u32_e32 v20, vcc_lo, s27, v20, vcc_lo
	s_branch .LBB51_10
.LBB51_9:                               ;   in Loop: Header=BB51_10 Depth=2
	s_or_b32 exec_lo, exec_lo, s9
	v_add_co_u32 v9, s9, v9, 8
	s_delay_alu instid0(VALU_DEP_1) | instskip(SKIP_2) | instid1(VALU_DEP_2)
	v_add_co_ci_u32_e64 v10, s9, 0, v10, s9
	s_xor_b32 s33, vcc_lo, -1
	v_add_co_u32 v17, vcc_lo, v17, 32
	v_cmp_ge_i64_e64 s9, v[9:10], v[1:2]
	v_add_co_ci_u32_e32 v18, vcc_lo, 0, v18, vcc_lo
	v_add_co_u32 v19, vcc_lo, v19, 32
	v_add_co_ci_u32_e32 v20, vcc_lo, 0, v20, vcc_lo
	s_delay_alu instid0(VALU_DEP_4) | instskip(NEXT) | instid1(SALU_CYCLE_1)
	s_or_b32 s9, s33, s9
	s_and_b32 s9, exec_lo, s9
	s_delay_alu instid0(SALU_CYCLE_1) | instskip(NEXT) | instid1(SALU_CYCLE_1)
	s_or_b32 s11, s9, s11
	s_and_not1_b32 exec_lo, exec_lo, s11
	s_cbranch_execz .LBB51_14
.LBB51_10:                              ;   Parent Loop BB51_7 Depth=1
                                        ; =>  This Inner Loop Header: Depth=2
	global_load_b32 v23, v[19:20], off
	s_waitcnt vmcnt(0)
	v_subrev_nc_u32_e32 v39, s18, v23
	s_delay_alu instid0(VALU_DEP_1) | instskip(NEXT) | instid1(VALU_DEP_1)
	v_sub_nc_u32_e32 v23, 0, v39
	v_max_i32_e32 v23, v39, v23
	s_delay_alu instid0(VALU_DEP_1) | instskip(NEXT) | instid1(VALU_DEP_1)
	v_mul_hi_u32 v24, v23, v36
	v_mul_lo_u32 v25, v24, s30
	s_delay_alu instid0(VALU_DEP_1) | instskip(SKIP_1) | instid1(VALU_DEP_2)
	v_sub_nc_u32_e32 v23, v23, v25
	v_add_nc_u32_e32 v25, 1, v24
	v_subrev_nc_u32_e32 v40, s30, v23
	v_cmp_le_u32_e32 vcc_lo, s30, v23
	s_delay_alu instid0(VALU_DEP_2) | instskip(SKIP_1) | instid1(VALU_DEP_2)
	v_dual_cndmask_b32 v24, v24, v25 :: v_dual_cndmask_b32 v23, v23, v40
	v_ashrrev_i32_e32 v25, 31, v39
	v_add_nc_u32_e32 v40, 1, v24
	s_delay_alu instid0(VALU_DEP_3) | instskip(NEXT) | instid1(VALU_DEP_3)
	v_cmp_le_u32_e32 vcc_lo, s30, v23
	v_xor_b32_e32 v25, s31, v25
	s_delay_alu instid0(VALU_DEP_3) | instskip(NEXT) | instid1(VALU_DEP_1)
	v_cndmask_b32_e32 v23, v24, v40, vcc_lo
	v_xor_b32_e32 v23, v23, v25
	s_delay_alu instid0(VALU_DEP_1) | instskip(NEXT) | instid1(VALU_DEP_1)
	v_sub_nc_u32_e32 v23, v23, v25
	v_ashrrev_i32_e32 v24, 31, v23
	s_delay_alu instid0(VALU_DEP_1) | instskip(SKIP_2) | instid1(VALU_DEP_2)
	v_cmp_eq_u64_e32 vcc_lo, v[15:16], v[23:24]
	v_cmp_ne_u64_e64 s9, v[15:16], v[23:24]
	v_dual_mov_b32 v25, v22 :: v_dual_mov_b32 v24, v21
	s_and_saveexec_b32 s33, s9
	s_delay_alu instid0(SALU_CYCLE_1)
	s_xor_b32 s9, exec_lo, s33
; %bb.11:                               ;   in Loop: Header=BB51_10 Depth=2
	v_min_i32_e32 v38, v23, v38
                                        ; implicit-def: $vgpr23
                                        ; implicit-def: $vgpr39
                                        ; implicit-def: $vgpr24_vgpr25
; %bb.12:                               ;   in Loop: Header=BB51_10 Depth=2
	s_or_saveexec_b32 s9, s9
	v_dual_mov_b32 v22, v10 :: v_dual_mov_b32 v21, v9
	s_xor_b32 exec_lo, exec_lo, s9
	s_cbranch_execz .LBB51_9
; %bb.13:                               ;   in Loop: Header=BB51_10 Depth=2
	global_load_b32 v40, v[17:18], off
	v_mul_lo_u32 v21, v23, s17
	s_delay_alu instid0(VALU_DEP_1) | instskip(NEXT) | instid1(VALU_DEP_1)
	v_sub_nc_u32_e32 v21, v39, v21
	v_add_lshl_u32 v23, v21, v27, 2
	v_dual_mov_b32 v21, v24 :: v_dual_mov_b32 v22, v25
	ds_store_b8 v4, v37 offset:4096
	s_waitcnt vmcnt(0)
	ds_store_b32 v23, v40
	s_branch .LBB51_9
.LBB51_14:                              ;   in Loop: Header=BB51_7 Depth=1
	s_or_b32 exec_lo, exec_lo, s11
.LBB51_15:                              ;   in Loop: Header=BB51_7 Depth=1
	s_delay_alu instid0(SALU_CYCLE_1)
	s_or_b32 exec_lo, exec_lo, s10
	ds_bpermute_b32 v9, v30, v21
	ds_bpermute_b32 v10, v30, v22
	s_waitcnt lgkmcnt(0)
	s_barrier
	buffer_gl0_inv
	ds_load_u8 v18, v4 offset:4096
	s_mov_b64 s[10:11], 0
	v_cmp_lt_i64_e32 vcc_lo, v[9:10], v[21:22]
	v_dual_cndmask_b32 v10, v22, v10 :: v_dual_cndmask_b32 v9, v21, v9
	ds_bpermute_b32 v17, v31, v10
	ds_bpermute_b32 v16, v31, v9
	s_waitcnt lgkmcnt(0)
	v_cmp_lt_i64_e32 vcc_lo, v[16:17], v[9:10]
	v_dual_cndmask_b32 v10, v10, v17 :: v_dual_cndmask_b32 v9, v9, v16
	ds_bpermute_b32 v17, v32, v10
	ds_bpermute_b32 v16, v32, v9
	s_waitcnt lgkmcnt(0)
	v_cmp_lt_i64_e32 vcc_lo, v[16:17], v[9:10]
	v_dual_cndmask_b32 v10, v10, v17 :: v_dual_cndmask_b32 v9, v9, v16
	v_cmp_eq_u32_e32 vcc_lo, 0, v18
	ds_bpermute_b32 v10, v0, v10
	ds_bpermute_b32 v9, v0, v9
	s_cbranch_vccnz .LBB51_22
; %bb.16:                               ;   in Loop: Header=BB51_7 Depth=1
	s_lshl_b64 s[10:11], s[22:23], 2
	s_mul_i32 s9, s29, s23
	s_mul_hi_u32 s33, s29, s22
	s_add_u32 s10, s14, s10
	s_addc_u32 s11, s15, s11
	s_add_i32 s9, s33, s9
	s_mul_i32 s33, s28, s22
	s_mul_i32 s34, s29, s22
	s_add_i32 s35, s9, s33
	v_add_nc_u32_e32 v19, s19, v15
	s_lshl_b64 s[34:35], s[34:35], 2
	s_delay_alu instid0(SALU_CYCLE_1)
	v_add_co_u32 v15, vcc_lo, v33, s34
	v_add_co_ci_u32_e32 v16, vcc_lo, s35, v34, vcc_lo
	v_add_co_u32 v17, vcc_lo, v3, s34
	v_add_co_ci_u32_e32 v18, vcc_lo, s35, v35, vcc_lo
	global_store_b32 v4, v19, s[10:11]
	s_and_saveexec_b32 s9, s13
	s_cbranch_execnz .LBB51_38
; %bb.17:                               ;   in Loop: Header=BB51_7 Depth=1
	s_or_b32 exec_lo, exec_lo, s9
	s_and_saveexec_b32 s9, s20
	s_cbranch_execnz .LBB51_39
.LBB51_18:                              ;   in Loop: Header=BB51_7 Depth=1
	s_or_b32 exec_lo, exec_lo, s9
	s_and_saveexec_b32 s9, s21
	s_cbranch_execnz .LBB51_40
.LBB51_19:                              ;   in Loop: Header=BB51_7 Depth=1
	s_or_b32 exec_lo, exec_lo, s9
	s_and_saveexec_b32 s9, s12
	s_cbranch_execz .LBB51_21
.LBB51_20:                              ;   in Loop: Header=BB51_7 Depth=1
	ds_load_b32 v19, v29 offset:96
	v_add_co_u32 v17, vcc_lo, 0x60, v17
	v_add_co_ci_u32_e32 v18, vcc_lo, 0, v18, vcc_lo
	v_add_co_u32 v15, vcc_lo, v15, v13
	v_add_co_ci_u32_e32 v16, vcc_lo, v16, v14, vcc_lo
	s_delay_alu instid0(VALU_DEP_2) | instskip(NEXT) | instid1(VALU_DEP_2)
	v_cndmask_b32_e64 v15, v15, v17, s8
	v_cndmask_b32_e64 v16, v16, v18, s8
	s_waitcnt lgkmcnt(0)
	global_store_b32 v[15:16], v19, off
.LBB51_21:                              ;   in Loop: Header=BB51_7 Depth=1
	s_or_b32 exec_lo, exec_lo, s9
	s_mov_b64 s[10:11], 1
.LBB51_22:                              ;   in Loop: Header=BB51_7 Depth=1
	s_waitcnt lgkmcnt(0)
	s_waitcnt_vscnt null, 0x0
	s_barrier
	buffer_gl0_inv
	ds_store_b32 v28, v38
	s_waitcnt lgkmcnt(0)
	s_barrier
	buffer_gl0_inv
	s_and_saveexec_b32 s9, s0
	s_cbranch_execz .LBB51_24
; %bb.23:                               ;   in Loop: Header=BB51_7 Depth=1
	ds_load_2addr_stride64_b32 v[15:16], v28 offset1:2
	s_waitcnt lgkmcnt(0)
	v_min_i32_e32 v15, v16, v15
	ds_store_b32 v28, v15
.LBB51_24:                              ;   in Loop: Header=BB51_7 Depth=1
	s_or_b32 exec_lo, exec_lo, s9
	s_waitcnt lgkmcnt(0)
	s_barrier
	buffer_gl0_inv
	s_and_saveexec_b32 s9, s1
	s_cbranch_execz .LBB51_26
; %bb.25:                               ;   in Loop: Header=BB51_7 Depth=1
	ds_load_2addr_stride64_b32 v[15:16], v28 offset1:1
	s_waitcnt lgkmcnt(0)
	v_min_i32_e32 v15, v16, v15
	ds_store_b32 v28, v15
.LBB51_26:                              ;   in Loop: Header=BB51_7 Depth=1
	s_or_b32 exec_lo, exec_lo, s9
	s_waitcnt lgkmcnt(0)
	s_barrier
	buffer_gl0_inv
	s_and_saveexec_b32 s9, s2
	s_cbranch_execz .LBB51_28
; %bb.27:                               ;   in Loop: Header=BB51_7 Depth=1
	ds_load_2addr_b32 v[15:16], v28 offset1:32
	s_waitcnt lgkmcnt(0)
	v_min_i32_e32 v15, v16, v15
	ds_store_b32 v28, v15
.LBB51_28:                              ;   in Loop: Header=BB51_7 Depth=1
	s_or_b32 exec_lo, exec_lo, s9
	s_waitcnt lgkmcnt(0)
	s_barrier
	buffer_gl0_inv
	s_and_saveexec_b32 s9, s3
	s_cbranch_execz .LBB51_30
; %bb.29:                               ;   in Loop: Header=BB51_7 Depth=1
	ds_load_2addr_b32 v[15:16], v28 offset1:16
	s_waitcnt lgkmcnt(0)
	v_min_i32_e32 v15, v16, v15
	ds_store_b32 v28, v15
.LBB51_30:                              ;   in Loop: Header=BB51_7 Depth=1
	;; [unrolled: 12-line block ×5, first 2 shown]
	s_or_b32 exec_lo, exec_lo, s9
	s_waitcnt lgkmcnt(0)
	s_barrier
	buffer_gl0_inv
	s_and_saveexec_b32 s9, s7
	s_cbranch_execz .LBB51_6
; %bb.37:                               ;   in Loop: Header=BB51_7 Depth=1
	ds_load_b64 v[15:16], v4
	s_waitcnt lgkmcnt(0)
	v_min_i32_e32 v15, v16, v15
	ds_store_b32 v4, v15
	s_branch .LBB51_6
.LBB51_38:                              ;   in Loop: Header=BB51_7 Depth=1
	ds_load_b32 v21, v29
	v_add_co_u32 v19, vcc_lo, v15, v5
	v_add_co_ci_u32_e32 v20, vcc_lo, v16, v6, vcc_lo
	s_delay_alu instid0(VALU_DEP_2) | instskip(NEXT) | instid1(VALU_DEP_2)
	v_cndmask_b32_e64 v19, v19, v17, s8
	v_cndmask_b32_e64 v20, v20, v18, s8
	s_waitcnt lgkmcnt(0)
	global_store_b32 v[19:20], v21, off
	s_or_b32 exec_lo, exec_lo, s9
	s_and_saveexec_b32 s9, s20
	s_cbranch_execz .LBB51_18
.LBB51_39:                              ;   in Loop: Header=BB51_7 Depth=1
	ds_load_b32 v21, v29 offset:32
	v_add_co_u32 v19, vcc_lo, v17, 32
	v_add_co_ci_u32_e32 v20, vcc_lo, 0, v18, vcc_lo
	v_add_co_u32 v22, vcc_lo, v15, v7
	v_add_co_ci_u32_e32 v23, vcc_lo, v16, v8, vcc_lo
	s_delay_alu instid0(VALU_DEP_2) | instskip(NEXT) | instid1(VALU_DEP_2)
	v_cndmask_b32_e64 v19, v22, v19, s8
	v_cndmask_b32_e64 v20, v23, v20, s8
	s_waitcnt lgkmcnt(0)
	global_store_b32 v[19:20], v21, off
	s_or_b32 exec_lo, exec_lo, s9
	s_and_saveexec_b32 s9, s21
	s_cbranch_execz .LBB51_19
.LBB51_40:                              ;   in Loop: Header=BB51_7 Depth=1
	ds_load_b32 v21, v29 offset:64
	v_add_co_u32 v19, vcc_lo, v17, 64
	v_add_co_ci_u32_e32 v20, vcc_lo, 0, v18, vcc_lo
	v_add_co_u32 v22, vcc_lo, v15, v11
	v_add_co_ci_u32_e32 v23, vcc_lo, v16, v12, vcc_lo
	s_delay_alu instid0(VALU_DEP_2) | instskip(NEXT) | instid1(VALU_DEP_2)
	v_cndmask_b32_e64 v19, v22, v19, s8
	v_cndmask_b32_e64 v20, v23, v20, s8
	s_waitcnt lgkmcnt(0)
	global_store_b32 v[19:20], v21, off
	s_or_b32 exec_lo, exec_lo, s9
	s_and_saveexec_b32 s9, s12
	s_cbranch_execnz .LBB51_20
	s_branch .LBB51_21
.LBB51_41:
	s_endpgm
	.section	.rodata,"a",@progbits
	.p2align	6, 0x0
	.amdhsa_kernel _ZN9rocsparseL38csr2bsr_block_per_row_multipass_kernelILj256ELj32EfliEEv20rocsparse_direction_T3_S2_S2_S2_S2_21rocsparse_index_base_PKT1_PKT2_PKS2_S3_PS4_PS7_PS2_
		.amdhsa_group_segment_fixed_size 4100
		.amdhsa_private_segment_fixed_size 0
		.amdhsa_kernarg_size 88
		.amdhsa_user_sgpr_count 15
		.amdhsa_user_sgpr_dispatch_ptr 0
		.amdhsa_user_sgpr_queue_ptr 0
		.amdhsa_user_sgpr_kernarg_segment_ptr 1
		.amdhsa_user_sgpr_dispatch_id 0
		.amdhsa_user_sgpr_private_segment_size 0
		.amdhsa_wavefront_size32 1
		.amdhsa_uses_dynamic_stack 0
		.amdhsa_enable_private_segment 0
		.amdhsa_system_sgpr_workgroup_id_x 1
		.amdhsa_system_sgpr_workgroup_id_y 0
		.amdhsa_system_sgpr_workgroup_id_z 0
		.amdhsa_system_sgpr_workgroup_info 0
		.amdhsa_system_vgpr_workitem_id 0
		.amdhsa_next_free_vgpr 41
		.amdhsa_next_free_sgpr 36
		.amdhsa_reserve_vcc 1
		.amdhsa_float_round_mode_32 0
		.amdhsa_float_round_mode_16_64 0
		.amdhsa_float_denorm_mode_32 3
		.amdhsa_float_denorm_mode_16_64 3
		.amdhsa_dx10_clamp 1
		.amdhsa_ieee_mode 1
		.amdhsa_fp16_overflow 0
		.amdhsa_workgroup_processor_mode 1
		.amdhsa_memory_ordered 1
		.amdhsa_forward_progress 0
		.amdhsa_shared_vgpr_count 0
		.amdhsa_exception_fp_ieee_invalid_op 0
		.amdhsa_exception_fp_denorm_src 0
		.amdhsa_exception_fp_ieee_div_zero 0
		.amdhsa_exception_fp_ieee_overflow 0
		.amdhsa_exception_fp_ieee_underflow 0
		.amdhsa_exception_fp_ieee_inexact 0
		.amdhsa_exception_int_div_zero 0
	.end_amdhsa_kernel
	.section	.text._ZN9rocsparseL38csr2bsr_block_per_row_multipass_kernelILj256ELj32EfliEEv20rocsparse_direction_T3_S2_S2_S2_S2_21rocsparse_index_base_PKT1_PKT2_PKS2_S3_PS4_PS7_PS2_,"axG",@progbits,_ZN9rocsparseL38csr2bsr_block_per_row_multipass_kernelILj256ELj32EfliEEv20rocsparse_direction_T3_S2_S2_S2_S2_21rocsparse_index_base_PKT1_PKT2_PKS2_S3_PS4_PS7_PS2_,comdat
.Lfunc_end51:
	.size	_ZN9rocsparseL38csr2bsr_block_per_row_multipass_kernelILj256ELj32EfliEEv20rocsparse_direction_T3_S2_S2_S2_S2_21rocsparse_index_base_PKT1_PKT2_PKS2_S3_PS4_PS7_PS2_, .Lfunc_end51-_ZN9rocsparseL38csr2bsr_block_per_row_multipass_kernelILj256ELj32EfliEEv20rocsparse_direction_T3_S2_S2_S2_S2_21rocsparse_index_base_PKT1_PKT2_PKS2_S3_PS4_PS7_PS2_
                                        ; -- End function
	.section	.AMDGPU.csdata,"",@progbits
; Kernel info:
; codeLenInByte = 2408
; NumSgprs: 38
; NumVgprs: 41
; ScratchSize: 0
; MemoryBound: 0
; FloatMode: 240
; IeeeMode: 1
; LDSByteSize: 4100 bytes/workgroup (compile time only)
; SGPRBlocks: 4
; VGPRBlocks: 5
; NumSGPRsForWavesPerEU: 38
; NumVGPRsForWavesPerEU: 41
; Occupancy: 16
; WaveLimiterHint : 0
; COMPUTE_PGM_RSRC2:SCRATCH_EN: 0
; COMPUTE_PGM_RSRC2:USER_SGPR: 15
; COMPUTE_PGM_RSRC2:TRAP_HANDLER: 0
; COMPUTE_PGM_RSRC2:TGID_X_EN: 1
; COMPUTE_PGM_RSRC2:TGID_Y_EN: 0
; COMPUTE_PGM_RSRC2:TGID_Z_EN: 0
; COMPUTE_PGM_RSRC2:TIDIG_COMP_CNT: 0
	.section	.text._ZN9rocsparseL38csr2bsr_block_per_row_multipass_kernelILj256ELj64EfliEEv20rocsparse_direction_T3_S2_S2_S2_S2_21rocsparse_index_base_PKT1_PKT2_PKS2_S3_PS4_PS7_PS2_,"axG",@progbits,_ZN9rocsparseL38csr2bsr_block_per_row_multipass_kernelILj256ELj64EfliEEv20rocsparse_direction_T3_S2_S2_S2_S2_21rocsparse_index_base_PKT1_PKT2_PKS2_S3_PS4_PS7_PS2_,comdat
	.globl	_ZN9rocsparseL38csr2bsr_block_per_row_multipass_kernelILj256ELj64EfliEEv20rocsparse_direction_T3_S2_S2_S2_S2_21rocsparse_index_base_PKT1_PKT2_PKS2_S3_PS4_PS7_PS2_ ; -- Begin function _ZN9rocsparseL38csr2bsr_block_per_row_multipass_kernelILj256ELj64EfliEEv20rocsparse_direction_T3_S2_S2_S2_S2_21rocsparse_index_base_PKT1_PKT2_PKS2_S3_PS4_PS7_PS2_
	.p2align	8
	.type	_ZN9rocsparseL38csr2bsr_block_per_row_multipass_kernelILj256ELj64EfliEEv20rocsparse_direction_T3_S2_S2_S2_S2_21rocsparse_index_base_PKT1_PKT2_PKS2_S3_PS4_PS7_PS2_,@function
_ZN9rocsparseL38csr2bsr_block_per_row_multipass_kernelILj256ELj64EfliEEv20rocsparse_direction_T3_S2_S2_S2_S2_21rocsparse_index_base_PKT1_PKT2_PKS2_S3_PS4_PS7_PS2_: ; @_ZN9rocsparseL38csr2bsr_block_per_row_multipass_kernelILj256ELj64EfliEEv20rocsparse_direction_T3_S2_S2_S2_S2_21rocsparse_index_base_PKT1_PKT2_PKS2_S3_PS4_PS7_PS2_
; %bb.0:
	s_mov_b32 s10, s15
	s_clause 0x1
	s_load_b128 s[12:15], s[0:1], 0x10
	s_load_b64 s[8:9], s[0:1], 0x0
	v_lshrrev_b32_e32 v3, 2, v0
	s_load_b64 s[4:5], s[0:1], 0x28
	v_mov_b32_e32 v1, 0
	v_mov_b32_e32 v2, 0
	s_delay_alu instid0(VALU_DEP_1) | instskip(SKIP_3) | instid1(VALU_DEP_2)
	v_dual_mov_b32 v6, v2 :: v_dual_mov_b32 v5, v1
	s_waitcnt lgkmcnt(0)
	v_mad_u64_u32 v[7:8], null, s10, s13, v[3:4]
	v_cmp_gt_i32_e32 vcc_lo, s13, v3
	v_cmp_gt_i32_e64 s2, s9, v7
	s_delay_alu instid0(VALU_DEP_1) | instskip(NEXT) | instid1(SALU_CYCLE_1)
	s_and_b32 s3, vcc_lo, s2
	s_and_saveexec_b32 s6, s3
	s_cbranch_execnz .LBB52_3
; %bb.1:
	s_or_b32 exec_lo, exec_lo, s6
	s_and_saveexec_b32 s6, s3
	s_cbranch_execnz .LBB52_4
.LBB52_2:
	s_or_b32 exec_lo, exec_lo, s6
	s_cmp_lt_i32 s12, 1
	s_cbranch_scc0 .LBB52_5
	s_branch .LBB52_65
.LBB52_3:
	v_ashrrev_i32_e32 v8, 31, v7
	s_delay_alu instid0(VALU_DEP_1) | instskip(NEXT) | instid1(VALU_DEP_1)
	v_lshlrev_b64 v[4:5], 3, v[7:8]
	v_add_co_u32 v4, s2, s4, v4
	s_delay_alu instid0(VALU_DEP_1) | instskip(SKIP_3) | instid1(VALU_DEP_1)
	v_add_co_ci_u32_e64 v5, s2, s5, v5, s2
	global_load_b64 v[5:6], v[4:5], off
	s_waitcnt vmcnt(0)
	v_sub_co_u32 v5, s2, v5, s14
	v_subrev_co_ci_u32_e64 v6, s2, 0, v6, s2
	s_or_b32 exec_lo, exec_lo, s6
	s_and_saveexec_b32 s6, s3
	s_cbranch_execz .LBB52_2
.LBB52_4:
	v_ashrrev_i32_e32 v8, 31, v7
	s_delay_alu instid0(VALU_DEP_1) | instskip(NEXT) | instid1(VALU_DEP_1)
	v_lshlrev_b64 v[1:2], 3, v[7:8]
	v_add_co_u32 v1, s2, s4, v1
	s_delay_alu instid0(VALU_DEP_1) | instskip(SKIP_3) | instid1(VALU_DEP_1)
	v_add_co_ci_u32_e64 v2, s2, s5, v2, s2
	global_load_b64 v[1:2], v[1:2], off offset:8
	s_waitcnt vmcnt(0)
	v_sub_co_u32 v1, s2, v1, s14
	v_subrev_co_ci_u32_e64 v2, s2, 0, v2, s2
	s_or_b32 exec_lo, exec_lo, s6
	s_cmp_lt_i32 s12, 1
	s_cbranch_scc1 .LBB52_65
.LBB52_5:
	s_clause 0x4
	s_load_b128 s[4:7], s[0:1], 0x40
	s_load_b64 s[16:17], s[0:1], 0x50
	s_load_b64 s[18:19], s[0:1], 0x20
	;; [unrolled: 1-line block ×3, first 2 shown]
	s_load_b32 s15, s[0:1], 0x38
	v_mbcnt_lo_u32_b32 v7, -1, 0
	s_ashr_i32 s11, s10, 31
	v_dual_mov_b32 v4, 0 :: v_dual_lshlrev_b32 v51, 6, v3
	s_lshl_b64 s[0:1], s[10:11], 3
	s_delay_alu instid0(VALU_DEP_2)
	v_xor_b32_e32 v8, 2, v7
	v_xor_b32_e32 v10, 1, v7
	v_lshlrev_b32_e32 v9, 2, v3
	v_mul_lo_u32 v3, v3, s13
	v_lshl_or_b32 v53, v7, 2, 12
	v_cmp_gt_i32_e64 s2, 32, v8
	v_and_b32_e32 v50, 3, v0
	v_dual_mov_b32 v39, 0 :: v_dual_lshlrev_b32 v52, 2, v0
	v_cmp_gt_u32_e64 s3, 32, v0
	s_waitcnt lgkmcnt(0)
	s_add_u32 s0, s6, s0
	s_addc_u32 s1, s7, s1
	v_cndmask_b32_e64 v11, v7, v8, s2
	s_load_b64 s[6:7], s[0:1], 0x0
	v_cmp_gt_i32_e64 s2, 32, v10
	v_lshlrev_b32_e32 v12, 2, v50
	v_cmp_gt_u32_e64 s0, 0x80, v0
	v_cmp_gt_u32_e64 s1, 64, v0
	;; [unrolled: 1-line block ×3, first 2 shown]
	v_cndmask_b32_e64 v10, v7, v10, s2
	v_lshlrev_b64 v[7:8], 2, v[3:4]
	v_lshlrev_b32_e32 v54, 2, v11
	s_mul_hi_u32 s24, s13, s13
	s_mul_i32 s25, s13, s13
	v_dual_mov_b32 v10, v4 :: v_dual_lshlrev_b32 v55, 2, v10
	v_add_co_u32 v56, s2, s4, v9
	s_delay_alu instid0(VALU_DEP_1) | instskip(SKIP_1) | instid1(VALU_DEP_1)
	v_add_co_ci_u32_e64 v57, null, s5, 0, s2
	v_add_co_u32 v3, s2, s4, v7
	v_add_co_ci_u32_e64 v7, s2, s5, v8, s2
	s_waitcnt lgkmcnt(0)
	s_sub_u32 s22, s6, s15
	s_delay_alu instid0(VALU_DEP_2)
	v_add_co_u32 v58, s2, v3, v12
	v_mov_b32_e32 v12, v4
	s_subb_u32 s23, s7, 0
	s_cmp_eq_u32 s8, 0
	v_add_co_ci_u32_e64 v59, s2, 0, v7, s2
	v_cmp_gt_u32_e64 s4, 16, v0
	v_cmp_gt_u32_e64 s5, 8, v0
	;; [unrolled: 1-line block ×4, first 2 shown]
	v_cmp_eq_u32_e64 s8, 0, v0
	v_or_b32_e32 v0, 4, v50
	v_or_b32_e32 v7, v51, v50
	;; [unrolled: 1-line block ×3, first 2 shown]
	s_cselect_b32 s2, -1, 0
	s_and_b32 s26, vcc_lo, s9
	v_cmp_gt_u32_e64 s10, s13, v0
	v_lshlrev_b32_e32 v0, 2, v7
	v_cmp_gt_u32_e64 s9, s13, v8
	v_or_b32_e32 v7, 12, v50
	v_or_b32_e32 v8, 16, v50
	s_and_b32 s27, vcc_lo, s10
	s_abs_i32 s36, s13
	s_and_b32 s28, vcc_lo, s9
	v_cmp_gt_u32_e64 s9, s13, v7
	v_or_b32_e32 v7, 20, v50
	v_cmp_gt_u32_e64 s10, s13, v8
	v_or_b32_e32 v8, 28, v50
	s_lshl_b32 s11, s13, 2
	s_and_b32 s29, vcc_lo, s9
	v_cmp_gt_u32_e64 s9, s13, v7
	v_or_b32_e32 v7, 24, v50
	s_and_b32 s30, vcc_lo, s10
	v_cmp_gt_u32_e64 s10, s13, v8
	v_cvt_f32_u32_e32 v8, s36
	s_and_b32 s31, vcc_lo, s9
	v_cmp_gt_u32_e64 s9, s13, v7
	v_or_b32_e32 v7, 32, v50
	s_and_b32 s34, vcc_lo, s10
	s_sub_i32 s40, 0, s36
	s_ashr_i32 s44, s13, 31
	s_and_b32 s33, vcc_lo, s9
	v_cmp_gt_u32_e64 s9, s13, v7
	v_or_b32_e32 v7, 36, v50
	v_mov_b32_e32 v14, v4
	v_mov_b32_e32 v16, v4
	;; [unrolled: 1-line block ×3, first 2 shown]
	s_and_b32 s35, vcc_lo, s9
	v_cmp_gt_u32_e64 s9, s13, v7
	v_rcp_iflag_f32_e32 v7, v8
	v_mov_b32_e32 v20, v4
	v_mov_b32_e32 v22, v4
	;; [unrolled: 1-line block ×3, first 2 shown]
	s_and_b32 s37, vcc_lo, s9
	v_mov_b32_e32 v26, v4
	v_mov_b32_e32 v28, v4
	;; [unrolled: 1-line block ×4, first 2 shown]
	s_delay_alu instid0(TRANS32_DEP_1)
	v_dual_mov_b32 v38, v4 :: v_dual_mul_f32 v7, 0x4f7ffffe, v7
	v_mul_lo_u32 v3, v50, s13
	v_or_b32_e32 v25, 40, v50
	v_or_b32_e32 v30, 52, v50
	;; [unrolled: 1-line block ×3, first 2 shown]
	v_cvt_u32_f32_e32 v7, v7
	v_or_b32_e32 v36, 56, v50
	v_cmp_gt_u32_e64 s10, s13, v25
	v_or_b32_e32 v37, 60, v50
	v_add_nc_u32_e32 v9, s11, v3
	v_cmp_gt_u32_e64 s9, s13, v8
	v_or_b32_e32 v8, 48, v50
	s_and_b32 s38, vcc_lo, s10
	v_cmp_gt_u32_e64 s10, s13, v30
	v_dual_mov_b32 v30, v4 :: v_dual_add_nc_u32 v11, s11, v9
	s_and_b32 s39, vcc_lo, s9
	v_cmp_gt_u32_e64 s9, s13, v8
	v_mul_lo_u32 v8, s40, v7
	s_delay_alu instid0(VALU_DEP_3)
	v_add_nc_u32_e32 v13, s11, v11
	s_and_b32 s41, vcc_lo, s10
	v_cmp_gt_u32_e64 s10, s13, v37
	s_and_b32 s40, vcc_lo, s9
	v_cmp_gt_u32_e64 s9, s13, v36
	v_dual_mov_b32 v36, v4 :: v_dual_add_nc_u32 v15, s11, v13
	v_mul_hi_u32 v8, v7, v8
	v_lshlrev_b64 v[9:10], 2, v[9:10]
	v_lshlrev_b64 v[11:12], 2, v[11:12]
	s_delay_alu instid0(VALU_DEP_4)
	v_add_nc_u32_e32 v17, s11, v15
	v_lshlrev_b64 v[13:14], 2, v[13:14]
	v_lshlrev_b64 v[15:16], 2, v[15:16]
	s_and_b32 s42, vcc_lo, s9
	s_and_b32 s43, vcc_lo, s10
	v_add_nc_u32_e32 v19, s11, v17
	v_add_nc_u32_e32 v60, v7, v8
	v_lshlrev_b64 v[7:8], 2, v[3:4]
	v_lshlrev_b64 v[17:18], 2, v[17:18]
	v_mov_b32_e32 v3, 1
	v_add_nc_u32_e32 v21, s11, v19
	v_lshlrev_b64 v[19:20], 2, v[19:20]
	s_delay_alu instid0(VALU_DEP_2) | instskip(SKIP_1) | instid1(VALU_DEP_2)
	v_dual_mov_b32 v40, 0 :: v_dual_add_nc_u32 v23, s11, v21
	v_lshlrev_b64 v[21:22], 2, v[21:22]
	v_add_nc_u32_e32 v25, s11, v23
	v_lshlrev_b64 v[23:24], 2, v[23:24]
	s_delay_alu instid0(VALU_DEP_2) | instskip(SKIP_1) | instid1(VALU_DEP_2)
	v_add_nc_u32_e32 v27, s11, v25
	v_lshlrev_b64 v[25:26], 2, v[25:26]
	v_add_nc_u32_e32 v29, s11, v27
	v_lshlrev_b64 v[27:28], 2, v[27:28]
	s_delay_alu instid0(VALU_DEP_2) | instskip(SKIP_1) | instid1(VALU_DEP_2)
	v_add_nc_u32_e32 v31, s11, v29
	;; [unrolled: 5-line block ×3, first 2 shown]
	v_lshlrev_b64 v[33:34], 2, v[33:34]
	v_add_nc_u32_e32 v37, s11, v35
	v_lshlrev_b64 v[35:36], 2, v[35:36]
	s_delay_alu instid0(VALU_DEP_2)
	v_lshlrev_b64 v[37:38], 2, v[37:38]
	s_branch .LBB52_7
.LBB52_6:                               ;   in Loop: Header=BB52_7 Depth=1
	s_or_b32 exec_lo, exec_lo, s9
	s_waitcnt lgkmcnt(0)
	s_barrier
	buffer_gl0_inv
	ds_load_b32 v39, v4
	s_add_u32 s22, s10, s22
	s_addc_u32 s23, s11, s23
	s_waitcnt lgkmcnt(0)
	s_barrier
	buffer_gl0_inv
	v_cmp_gt_i32_e32 vcc_lo, s12, v39
	v_ashrrev_i32_e32 v40, 31, v39
	s_cbranch_vccz .LBB52_65
.LBB52_7:                               ; =>This Loop Header: Depth=1
                                        ;     Child Loop BB52_10 Depth 2
	v_add_co_u32 v5, vcc_lo, v5, v50
	v_dual_mov_b32 v61, s12 :: v_dual_mov_b32 v46, v2
	v_add_co_ci_u32_e32 v6, vcc_lo, 0, v6, vcc_lo
	v_mov_b32_e32 v45, v1
	s_mov_b32 s10, exec_lo
	ds_store_b8 v4, v4 offset:16384
	ds_store_2addr_b32 v0, v4, v4 offset1:4
	ds_store_2addr_b32 v0, v4, v4 offset0:8 offset1:12
	ds_store_2addr_b32 v0, v4, v4 offset0:16 offset1:20
	ds_store_2addr_b32 v0, v4, v4 offset0:24 offset1:28
	ds_store_2addr_b32 v0, v4, v4 offset0:32 offset1:36
	ds_store_2addr_b32 v0, v4, v4 offset0:40 offset1:44
	ds_store_2addr_b32 v0, v4, v4 offset0:48 offset1:52
	ds_store_2addr_b32 v0, v4, v4 offset0:56 offset1:60
	s_waitcnt lgkmcnt(0)
	s_barrier
	buffer_gl0_inv
	v_cmpx_lt_i64_e64 v[5:6], v[1:2]
	s_cbranch_execz .LBB52_15
; %bb.8:                                ;   in Loop: Header=BB52_7 Depth=1
	v_lshlrev_b64 v[43:44], 2, v[5:6]
	v_dual_mov_b32 v61, s12 :: v_dual_mov_b32 v46, v2
	v_mov_b32_e32 v45, v1
	s_mov_b32 s11, 0
	s_delay_alu instid0(VALU_DEP_3) | instskip(NEXT) | instid1(VALU_DEP_4)
	v_add_co_u32 v41, vcc_lo, s18, v43
	v_add_co_ci_u32_e32 v42, vcc_lo, s19, v44, vcc_lo
	v_add_co_u32 v43, vcc_lo, s20, v43
	v_add_co_ci_u32_e32 v44, vcc_lo, s21, v44, vcc_lo
	s_branch .LBB52_10
.LBB52_9:                               ;   in Loop: Header=BB52_10 Depth=2
	s_or_b32 exec_lo, exec_lo, s9
	v_add_co_u32 v5, s9, v5, 4
	s_delay_alu instid0(VALU_DEP_1) | instskip(SKIP_2) | instid1(VALU_DEP_2)
	v_add_co_ci_u32_e64 v6, s9, 0, v6, s9
	s_xor_b32 s45, vcc_lo, -1
	v_add_co_u32 v41, vcc_lo, v41, 16
	v_cmp_ge_i64_e64 s9, v[5:6], v[1:2]
	v_add_co_ci_u32_e32 v42, vcc_lo, 0, v42, vcc_lo
	v_add_co_u32 v43, vcc_lo, v43, 16
	v_add_co_ci_u32_e32 v44, vcc_lo, 0, v44, vcc_lo
	s_delay_alu instid0(VALU_DEP_4) | instskip(NEXT) | instid1(SALU_CYCLE_1)
	s_or_b32 s9, s45, s9
	s_and_b32 s9, exec_lo, s9
	s_delay_alu instid0(SALU_CYCLE_1) | instskip(NEXT) | instid1(SALU_CYCLE_1)
	s_or_b32 s11, s9, s11
	s_and_not1_b32 exec_lo, exec_lo, s11
	s_cbranch_execz .LBB52_14
.LBB52_10:                              ;   Parent Loop BB52_7 Depth=1
                                        ; =>  This Inner Loop Header: Depth=2
	global_load_b32 v47, v[43:44], off
	s_waitcnt vmcnt(0)
	v_subrev_nc_u32_e32 v62, s14, v47
	s_delay_alu instid0(VALU_DEP_1) | instskip(NEXT) | instid1(VALU_DEP_1)
	v_sub_nc_u32_e32 v47, 0, v62
	v_max_i32_e32 v47, v62, v47
	s_delay_alu instid0(VALU_DEP_1) | instskip(NEXT) | instid1(VALU_DEP_1)
	v_mul_hi_u32 v48, v47, v60
	v_mul_lo_u32 v49, v48, s36
	s_delay_alu instid0(VALU_DEP_1) | instskip(SKIP_1) | instid1(VALU_DEP_2)
	v_sub_nc_u32_e32 v47, v47, v49
	v_add_nc_u32_e32 v49, 1, v48
	v_subrev_nc_u32_e32 v63, s36, v47
	v_cmp_le_u32_e32 vcc_lo, s36, v47
	s_delay_alu instid0(VALU_DEP_2) | instskip(SKIP_1) | instid1(VALU_DEP_2)
	v_dual_cndmask_b32 v48, v48, v49 :: v_dual_cndmask_b32 v47, v47, v63
	v_ashrrev_i32_e32 v49, 31, v62
	v_add_nc_u32_e32 v63, 1, v48
	s_delay_alu instid0(VALU_DEP_3) | instskip(NEXT) | instid1(VALU_DEP_3)
	v_cmp_le_u32_e32 vcc_lo, s36, v47
	v_xor_b32_e32 v49, s44, v49
	s_delay_alu instid0(VALU_DEP_3) | instskip(NEXT) | instid1(VALU_DEP_1)
	v_cndmask_b32_e32 v47, v48, v63, vcc_lo
	v_xor_b32_e32 v47, v47, v49
	s_delay_alu instid0(VALU_DEP_1) | instskip(NEXT) | instid1(VALU_DEP_1)
	v_sub_nc_u32_e32 v47, v47, v49
	v_ashrrev_i32_e32 v48, 31, v47
	s_delay_alu instid0(VALU_DEP_1) | instskip(SKIP_2) | instid1(VALU_DEP_2)
	v_cmp_eq_u64_e32 vcc_lo, v[39:40], v[47:48]
	v_cmp_ne_u64_e64 s9, v[39:40], v[47:48]
	v_dual_mov_b32 v49, v46 :: v_dual_mov_b32 v48, v45
	s_and_saveexec_b32 s45, s9
	s_delay_alu instid0(SALU_CYCLE_1)
	s_xor_b32 s9, exec_lo, s45
; %bb.11:                               ;   in Loop: Header=BB52_10 Depth=2
	v_min_i32_e32 v61, v47, v61
                                        ; implicit-def: $vgpr47
                                        ; implicit-def: $vgpr62
                                        ; implicit-def: $vgpr48_vgpr49
; %bb.12:                               ;   in Loop: Header=BB52_10 Depth=2
	s_or_saveexec_b32 s9, s9
	v_dual_mov_b32 v46, v6 :: v_dual_mov_b32 v45, v5
	s_xor_b32 exec_lo, exec_lo, s9
	s_cbranch_execz .LBB52_9
; %bb.13:                               ;   in Loop: Header=BB52_10 Depth=2
	global_load_b32 v63, v[41:42], off
	v_mul_lo_u32 v45, v47, s13
	s_delay_alu instid0(VALU_DEP_1) | instskip(NEXT) | instid1(VALU_DEP_1)
	v_sub_nc_u32_e32 v45, v62, v45
	v_add_lshl_u32 v47, v45, v51, 2
	v_dual_mov_b32 v45, v48 :: v_dual_mov_b32 v46, v49
	ds_store_b8 v4, v3 offset:16384
	s_waitcnt vmcnt(0)
	ds_store_b32 v47, v63
	s_branch .LBB52_9
.LBB52_14:                              ;   in Loop: Header=BB52_7 Depth=1
	s_or_b32 exec_lo, exec_lo, s11
.LBB52_15:                              ;   in Loop: Header=BB52_7 Depth=1
	s_delay_alu instid0(SALU_CYCLE_1)
	s_or_b32 exec_lo, exec_lo, s10
	ds_bpermute_b32 v5, v54, v45
	ds_bpermute_b32 v6, v54, v46
	s_waitcnt lgkmcnt(0)
	s_barrier
	buffer_gl0_inv
	ds_load_u8 v42, v4 offset:16384
	s_mov_b64 s[10:11], 0
	v_cmp_lt_i64_e32 vcc_lo, v[5:6], v[45:46]
	v_dual_cndmask_b32 v6, v46, v6 :: v_dual_cndmask_b32 v5, v45, v5
	ds_bpermute_b32 v41, v55, v6
	ds_bpermute_b32 v40, v55, v5
	s_waitcnt lgkmcnt(0)
	v_cmp_lt_i64_e32 vcc_lo, v[40:41], v[5:6]
	v_dual_cndmask_b32 v6, v6, v41 :: v_dual_cndmask_b32 v5, v5, v40
	v_cmp_eq_u32_e32 vcc_lo, 0, v42
	ds_bpermute_b32 v6, v53, v6
	ds_bpermute_b32 v5, v53, v5
	s_cbranch_vccnz .LBB52_34
; %bb.16:                               ;   in Loop: Header=BB52_7 Depth=1
	s_lshl_b64 s[10:11], s[22:23], 2
	s_mul_i32 s9, s25, s23
	s_mul_hi_u32 s45, s25, s22
	s_add_u32 s10, s16, s10
	s_addc_u32 s11, s17, s11
	s_add_i32 s9, s45, s9
	s_mul_i32 s45, s24, s22
	s_mul_i32 s46, s25, s22
	s_add_i32 s47, s9, s45
	v_add_nc_u32_e32 v43, s15, v39
	s_lshl_b64 s[46:47], s[46:47], 2
	s_delay_alu instid0(SALU_CYCLE_1)
	v_add_co_u32 v39, vcc_lo, v56, s46
	v_add_co_ci_u32_e32 v40, vcc_lo, s47, v57, vcc_lo
	v_add_co_u32 v41, vcc_lo, v58, s46
	v_add_co_ci_u32_e32 v42, vcc_lo, s47, v59, vcc_lo
	global_store_b32 v4, v43, s[10:11]
	s_and_saveexec_b32 s9, s26
	s_cbranch_execnz .LBB52_50
; %bb.17:                               ;   in Loop: Header=BB52_7 Depth=1
	s_or_b32 exec_lo, exec_lo, s9
	s_and_saveexec_b32 s9, s27
	s_cbranch_execnz .LBB52_51
.LBB52_18:                              ;   in Loop: Header=BB52_7 Depth=1
	s_or_b32 exec_lo, exec_lo, s9
	s_and_saveexec_b32 s9, s28
	s_cbranch_execnz .LBB52_52
.LBB52_19:                              ;   in Loop: Header=BB52_7 Depth=1
	s_or_b32 exec_lo, exec_lo, s9
	s_and_saveexec_b32 s9, s29
	s_cbranch_execnz .LBB52_53
.LBB52_20:                              ;   in Loop: Header=BB52_7 Depth=1
	s_or_b32 exec_lo, exec_lo, s9
	s_and_saveexec_b32 s9, s30
	s_cbranch_execnz .LBB52_54
.LBB52_21:                              ;   in Loop: Header=BB52_7 Depth=1
	s_or_b32 exec_lo, exec_lo, s9
	s_and_saveexec_b32 s9, s31
	s_cbranch_execnz .LBB52_55
.LBB52_22:                              ;   in Loop: Header=BB52_7 Depth=1
	s_or_b32 exec_lo, exec_lo, s9
	s_and_saveexec_b32 s9, s33
	s_cbranch_execnz .LBB52_56
.LBB52_23:                              ;   in Loop: Header=BB52_7 Depth=1
	s_or_b32 exec_lo, exec_lo, s9
	s_and_saveexec_b32 s9, s34
	s_cbranch_execnz .LBB52_57
.LBB52_24:                              ;   in Loop: Header=BB52_7 Depth=1
	s_or_b32 exec_lo, exec_lo, s9
	s_and_saveexec_b32 s9, s35
	s_cbranch_execnz .LBB52_58
.LBB52_25:                              ;   in Loop: Header=BB52_7 Depth=1
	s_or_b32 exec_lo, exec_lo, s9
	s_and_saveexec_b32 s9, s37
	s_cbranch_execnz .LBB52_59
.LBB52_26:                              ;   in Loop: Header=BB52_7 Depth=1
	s_or_b32 exec_lo, exec_lo, s9
	s_and_saveexec_b32 s9, s38
	s_cbranch_execnz .LBB52_60
.LBB52_27:                              ;   in Loop: Header=BB52_7 Depth=1
	s_or_b32 exec_lo, exec_lo, s9
	s_and_saveexec_b32 s9, s39
	s_cbranch_execnz .LBB52_61
.LBB52_28:                              ;   in Loop: Header=BB52_7 Depth=1
	s_or_b32 exec_lo, exec_lo, s9
	s_and_saveexec_b32 s9, s40
	s_cbranch_execnz .LBB52_62
.LBB52_29:                              ;   in Loop: Header=BB52_7 Depth=1
	s_or_b32 exec_lo, exec_lo, s9
	s_and_saveexec_b32 s9, s41
	s_cbranch_execnz .LBB52_63
.LBB52_30:                              ;   in Loop: Header=BB52_7 Depth=1
	s_or_b32 exec_lo, exec_lo, s9
	s_and_saveexec_b32 s9, s42
	s_cbranch_execnz .LBB52_64
.LBB52_31:                              ;   in Loop: Header=BB52_7 Depth=1
	s_or_b32 exec_lo, exec_lo, s9
	s_and_saveexec_b32 s9, s43
	s_cbranch_execz .LBB52_33
.LBB52_32:                              ;   in Loop: Header=BB52_7 Depth=1
	ds_load_b32 v43, v0 offset:240
	v_add_co_u32 v41, vcc_lo, 0xf0, v41
	v_add_co_ci_u32_e32 v42, vcc_lo, 0, v42, vcc_lo
	v_add_co_u32 v39, vcc_lo, v39, v37
	v_add_co_ci_u32_e32 v40, vcc_lo, v40, v38, vcc_lo
	s_delay_alu instid0(VALU_DEP_2) | instskip(NEXT) | instid1(VALU_DEP_2)
	v_cndmask_b32_e64 v39, v39, v41, s2
	v_cndmask_b32_e64 v40, v40, v42, s2
	s_waitcnt lgkmcnt(0)
	global_store_b32 v[39:40], v43, off
.LBB52_33:                              ;   in Loop: Header=BB52_7 Depth=1
	s_or_b32 exec_lo, exec_lo, s9
	s_mov_b64 s[10:11], 1
.LBB52_34:                              ;   in Loop: Header=BB52_7 Depth=1
	s_waitcnt lgkmcnt(0)
	s_waitcnt_vscnt null, 0x0
	s_barrier
	buffer_gl0_inv
	ds_store_b32 v52, v61
	s_waitcnt lgkmcnt(0)
	s_barrier
	buffer_gl0_inv
	s_and_saveexec_b32 s9, s0
	s_cbranch_execz .LBB52_36
; %bb.35:                               ;   in Loop: Header=BB52_7 Depth=1
	ds_load_2addr_stride64_b32 v[39:40], v52 offset1:2
	s_waitcnt lgkmcnt(0)
	v_min_i32_e32 v39, v40, v39
	ds_store_b32 v52, v39
.LBB52_36:                              ;   in Loop: Header=BB52_7 Depth=1
	s_or_b32 exec_lo, exec_lo, s9
	s_waitcnt lgkmcnt(0)
	s_barrier
	buffer_gl0_inv
	s_and_saveexec_b32 s9, s1
	s_cbranch_execz .LBB52_38
; %bb.37:                               ;   in Loop: Header=BB52_7 Depth=1
	ds_load_2addr_stride64_b32 v[39:40], v52 offset1:1
	s_waitcnt lgkmcnt(0)
	v_min_i32_e32 v39, v40, v39
	ds_store_b32 v52, v39
.LBB52_38:                              ;   in Loop: Header=BB52_7 Depth=1
	s_or_b32 exec_lo, exec_lo, s9
	s_waitcnt lgkmcnt(0)
	s_barrier
	buffer_gl0_inv
	s_and_saveexec_b32 s9, s3
	s_cbranch_execz .LBB52_40
; %bb.39:                               ;   in Loop: Header=BB52_7 Depth=1
	ds_load_2addr_b32 v[39:40], v52 offset1:32
	s_waitcnt lgkmcnt(0)
	v_min_i32_e32 v39, v40, v39
	ds_store_b32 v52, v39
.LBB52_40:                              ;   in Loop: Header=BB52_7 Depth=1
	s_or_b32 exec_lo, exec_lo, s9
	s_waitcnt lgkmcnt(0)
	s_barrier
	buffer_gl0_inv
	s_and_saveexec_b32 s9, s4
	s_cbranch_execz .LBB52_42
; %bb.41:                               ;   in Loop: Header=BB52_7 Depth=1
	ds_load_2addr_b32 v[39:40], v52 offset1:16
	s_waitcnt lgkmcnt(0)
	v_min_i32_e32 v39, v40, v39
	ds_store_b32 v52, v39
.LBB52_42:                              ;   in Loop: Header=BB52_7 Depth=1
	;; [unrolled: 12-line block ×5, first 2 shown]
	s_or_b32 exec_lo, exec_lo, s9
	s_waitcnt lgkmcnt(0)
	s_barrier
	buffer_gl0_inv
	s_and_saveexec_b32 s9, s8
	s_cbranch_execz .LBB52_6
; %bb.49:                               ;   in Loop: Header=BB52_7 Depth=1
	ds_load_b64 v[39:40], v4
	s_waitcnt lgkmcnt(0)
	v_min_i32_e32 v39, v40, v39
	ds_store_b32 v4, v39
	s_branch .LBB52_6
.LBB52_50:                              ;   in Loop: Header=BB52_7 Depth=1
	ds_load_b32 v45, v0
	v_add_co_u32 v43, vcc_lo, v39, v7
	v_add_co_ci_u32_e32 v44, vcc_lo, v40, v8, vcc_lo
	s_delay_alu instid0(VALU_DEP_2) | instskip(NEXT) | instid1(VALU_DEP_2)
	v_cndmask_b32_e64 v43, v43, v41, s2
	v_cndmask_b32_e64 v44, v44, v42, s2
	s_waitcnt lgkmcnt(0)
	global_store_b32 v[43:44], v45, off
	s_or_b32 exec_lo, exec_lo, s9
	s_and_saveexec_b32 s9, s27
	s_cbranch_execz .LBB52_18
.LBB52_51:                              ;   in Loop: Header=BB52_7 Depth=1
	ds_load_b32 v45, v0 offset:16
	v_add_co_u32 v43, vcc_lo, v41, 16
	v_add_co_ci_u32_e32 v44, vcc_lo, 0, v42, vcc_lo
	v_add_co_u32 v46, vcc_lo, v39, v9
	v_add_co_ci_u32_e32 v47, vcc_lo, v40, v10, vcc_lo
	s_delay_alu instid0(VALU_DEP_2) | instskip(NEXT) | instid1(VALU_DEP_2)
	v_cndmask_b32_e64 v43, v46, v43, s2
	v_cndmask_b32_e64 v44, v47, v44, s2
	s_waitcnt lgkmcnt(0)
	global_store_b32 v[43:44], v45, off
	s_or_b32 exec_lo, exec_lo, s9
	s_and_saveexec_b32 s9, s28
	s_cbranch_execz .LBB52_19
.LBB52_52:                              ;   in Loop: Header=BB52_7 Depth=1
	ds_load_b32 v45, v0 offset:32
	v_add_co_u32 v43, vcc_lo, v41, 32
	v_add_co_ci_u32_e32 v44, vcc_lo, 0, v42, vcc_lo
	v_add_co_u32 v46, vcc_lo, v39, v11
	v_add_co_ci_u32_e32 v47, vcc_lo, v40, v12, vcc_lo
	s_delay_alu instid0(VALU_DEP_2) | instskip(NEXT) | instid1(VALU_DEP_2)
	v_cndmask_b32_e64 v43, v46, v43, s2
	v_cndmask_b32_e64 v44, v47, v44, s2
	s_waitcnt lgkmcnt(0)
	global_store_b32 v[43:44], v45, off
	s_or_b32 exec_lo, exec_lo, s9
	s_and_saveexec_b32 s9, s29
	s_cbranch_execz .LBB52_20
.LBB52_53:                              ;   in Loop: Header=BB52_7 Depth=1
	ds_load_b32 v45, v0 offset:48
	v_add_co_u32 v43, vcc_lo, v41, 48
	v_add_co_ci_u32_e32 v44, vcc_lo, 0, v42, vcc_lo
	v_add_co_u32 v46, vcc_lo, v39, v13
	v_add_co_ci_u32_e32 v47, vcc_lo, v40, v14, vcc_lo
	s_delay_alu instid0(VALU_DEP_2) | instskip(NEXT) | instid1(VALU_DEP_2)
	v_cndmask_b32_e64 v43, v46, v43, s2
	v_cndmask_b32_e64 v44, v47, v44, s2
	s_waitcnt lgkmcnt(0)
	global_store_b32 v[43:44], v45, off
	s_or_b32 exec_lo, exec_lo, s9
	s_and_saveexec_b32 s9, s30
	s_cbranch_execz .LBB52_21
.LBB52_54:                              ;   in Loop: Header=BB52_7 Depth=1
	ds_load_b32 v45, v0 offset:64
	v_add_co_u32 v43, vcc_lo, v41, 64
	v_add_co_ci_u32_e32 v44, vcc_lo, 0, v42, vcc_lo
	v_add_co_u32 v46, vcc_lo, v39, v15
	v_add_co_ci_u32_e32 v47, vcc_lo, v40, v16, vcc_lo
	s_delay_alu instid0(VALU_DEP_2) | instskip(NEXT) | instid1(VALU_DEP_2)
	v_cndmask_b32_e64 v43, v46, v43, s2
	v_cndmask_b32_e64 v44, v47, v44, s2
	s_waitcnt lgkmcnt(0)
	global_store_b32 v[43:44], v45, off
	s_or_b32 exec_lo, exec_lo, s9
	s_and_saveexec_b32 s9, s31
	s_cbranch_execz .LBB52_22
.LBB52_55:                              ;   in Loop: Header=BB52_7 Depth=1
	ds_load_b32 v45, v0 offset:80
	v_add_co_u32 v43, vcc_lo, 0x50, v41
	v_add_co_ci_u32_e32 v44, vcc_lo, 0, v42, vcc_lo
	v_add_co_u32 v46, vcc_lo, v39, v17
	v_add_co_ci_u32_e32 v47, vcc_lo, v40, v18, vcc_lo
	s_delay_alu instid0(VALU_DEP_2) | instskip(NEXT) | instid1(VALU_DEP_2)
	v_cndmask_b32_e64 v43, v46, v43, s2
	v_cndmask_b32_e64 v44, v47, v44, s2
	s_waitcnt lgkmcnt(0)
	global_store_b32 v[43:44], v45, off
	s_or_b32 exec_lo, exec_lo, s9
	s_and_saveexec_b32 s9, s33
	s_cbranch_execz .LBB52_23
.LBB52_56:                              ;   in Loop: Header=BB52_7 Depth=1
	ds_load_b32 v45, v0 offset:96
	v_add_co_u32 v43, vcc_lo, 0x60, v41
	v_add_co_ci_u32_e32 v44, vcc_lo, 0, v42, vcc_lo
	v_add_co_u32 v46, vcc_lo, v39, v19
	v_add_co_ci_u32_e32 v47, vcc_lo, v40, v20, vcc_lo
	s_delay_alu instid0(VALU_DEP_2) | instskip(NEXT) | instid1(VALU_DEP_2)
	v_cndmask_b32_e64 v43, v46, v43, s2
	v_cndmask_b32_e64 v44, v47, v44, s2
	s_waitcnt lgkmcnt(0)
	global_store_b32 v[43:44], v45, off
	s_or_b32 exec_lo, exec_lo, s9
	s_and_saveexec_b32 s9, s34
	s_cbranch_execz .LBB52_24
.LBB52_57:                              ;   in Loop: Header=BB52_7 Depth=1
	ds_load_b32 v45, v0 offset:112
	v_add_co_u32 v43, vcc_lo, 0x70, v41
	v_add_co_ci_u32_e32 v44, vcc_lo, 0, v42, vcc_lo
	v_add_co_u32 v46, vcc_lo, v39, v21
	v_add_co_ci_u32_e32 v47, vcc_lo, v40, v22, vcc_lo
	s_delay_alu instid0(VALU_DEP_2) | instskip(NEXT) | instid1(VALU_DEP_2)
	v_cndmask_b32_e64 v43, v46, v43, s2
	v_cndmask_b32_e64 v44, v47, v44, s2
	s_waitcnt lgkmcnt(0)
	global_store_b32 v[43:44], v45, off
	s_or_b32 exec_lo, exec_lo, s9
	s_and_saveexec_b32 s9, s35
	s_cbranch_execz .LBB52_25
.LBB52_58:                              ;   in Loop: Header=BB52_7 Depth=1
	ds_load_b32 v45, v0 offset:128
	v_add_co_u32 v43, vcc_lo, 0x80, v41
	v_add_co_ci_u32_e32 v44, vcc_lo, 0, v42, vcc_lo
	v_add_co_u32 v46, vcc_lo, v39, v23
	v_add_co_ci_u32_e32 v47, vcc_lo, v40, v24, vcc_lo
	s_delay_alu instid0(VALU_DEP_2) | instskip(NEXT) | instid1(VALU_DEP_2)
	v_cndmask_b32_e64 v43, v46, v43, s2
	v_cndmask_b32_e64 v44, v47, v44, s2
	s_waitcnt lgkmcnt(0)
	global_store_b32 v[43:44], v45, off
	s_or_b32 exec_lo, exec_lo, s9
	s_and_saveexec_b32 s9, s37
	s_cbranch_execz .LBB52_26
.LBB52_59:                              ;   in Loop: Header=BB52_7 Depth=1
	ds_load_b32 v45, v0 offset:144
	v_add_co_u32 v43, vcc_lo, 0x90, v41
	v_add_co_ci_u32_e32 v44, vcc_lo, 0, v42, vcc_lo
	v_add_co_u32 v46, vcc_lo, v39, v25
	v_add_co_ci_u32_e32 v47, vcc_lo, v40, v26, vcc_lo
	s_delay_alu instid0(VALU_DEP_2) | instskip(NEXT) | instid1(VALU_DEP_2)
	v_cndmask_b32_e64 v43, v46, v43, s2
	v_cndmask_b32_e64 v44, v47, v44, s2
	s_waitcnt lgkmcnt(0)
	global_store_b32 v[43:44], v45, off
	s_or_b32 exec_lo, exec_lo, s9
	s_and_saveexec_b32 s9, s38
	s_cbranch_execz .LBB52_27
.LBB52_60:                              ;   in Loop: Header=BB52_7 Depth=1
	ds_load_b32 v45, v0 offset:160
	v_add_co_u32 v43, vcc_lo, 0xa0, v41
	v_add_co_ci_u32_e32 v44, vcc_lo, 0, v42, vcc_lo
	v_add_co_u32 v46, vcc_lo, v39, v27
	v_add_co_ci_u32_e32 v47, vcc_lo, v40, v28, vcc_lo
	s_delay_alu instid0(VALU_DEP_2) | instskip(NEXT) | instid1(VALU_DEP_2)
	v_cndmask_b32_e64 v43, v46, v43, s2
	v_cndmask_b32_e64 v44, v47, v44, s2
	s_waitcnt lgkmcnt(0)
	global_store_b32 v[43:44], v45, off
	s_or_b32 exec_lo, exec_lo, s9
	s_and_saveexec_b32 s9, s39
	s_cbranch_execz .LBB52_28
.LBB52_61:                              ;   in Loop: Header=BB52_7 Depth=1
	ds_load_b32 v45, v0 offset:176
	v_add_co_u32 v43, vcc_lo, 0xb0, v41
	v_add_co_ci_u32_e32 v44, vcc_lo, 0, v42, vcc_lo
	v_add_co_u32 v46, vcc_lo, v39, v29
	v_add_co_ci_u32_e32 v47, vcc_lo, v40, v30, vcc_lo
	s_delay_alu instid0(VALU_DEP_2) | instskip(NEXT) | instid1(VALU_DEP_2)
	v_cndmask_b32_e64 v43, v46, v43, s2
	v_cndmask_b32_e64 v44, v47, v44, s2
	s_waitcnt lgkmcnt(0)
	global_store_b32 v[43:44], v45, off
	s_or_b32 exec_lo, exec_lo, s9
	s_and_saveexec_b32 s9, s40
	s_cbranch_execz .LBB52_29
.LBB52_62:                              ;   in Loop: Header=BB52_7 Depth=1
	ds_load_b32 v45, v0 offset:192
	v_add_co_u32 v43, vcc_lo, 0xc0, v41
	v_add_co_ci_u32_e32 v44, vcc_lo, 0, v42, vcc_lo
	v_add_co_u32 v46, vcc_lo, v39, v31
	v_add_co_ci_u32_e32 v47, vcc_lo, v40, v32, vcc_lo
	s_delay_alu instid0(VALU_DEP_2) | instskip(NEXT) | instid1(VALU_DEP_2)
	v_cndmask_b32_e64 v43, v46, v43, s2
	v_cndmask_b32_e64 v44, v47, v44, s2
	s_waitcnt lgkmcnt(0)
	global_store_b32 v[43:44], v45, off
	s_or_b32 exec_lo, exec_lo, s9
	s_and_saveexec_b32 s9, s41
	s_cbranch_execz .LBB52_30
.LBB52_63:                              ;   in Loop: Header=BB52_7 Depth=1
	ds_load_b32 v45, v0 offset:208
	v_add_co_u32 v43, vcc_lo, 0xd0, v41
	v_add_co_ci_u32_e32 v44, vcc_lo, 0, v42, vcc_lo
	v_add_co_u32 v46, vcc_lo, v39, v33
	v_add_co_ci_u32_e32 v47, vcc_lo, v40, v34, vcc_lo
	s_delay_alu instid0(VALU_DEP_2) | instskip(NEXT) | instid1(VALU_DEP_2)
	v_cndmask_b32_e64 v43, v46, v43, s2
	v_cndmask_b32_e64 v44, v47, v44, s2
	s_waitcnt lgkmcnt(0)
	global_store_b32 v[43:44], v45, off
	s_or_b32 exec_lo, exec_lo, s9
	s_and_saveexec_b32 s9, s42
	s_cbranch_execz .LBB52_31
.LBB52_64:                              ;   in Loop: Header=BB52_7 Depth=1
	ds_load_b32 v45, v0 offset:224
	v_add_co_u32 v43, vcc_lo, 0xe0, v41
	v_add_co_ci_u32_e32 v44, vcc_lo, 0, v42, vcc_lo
	v_add_co_u32 v46, vcc_lo, v39, v35
	v_add_co_ci_u32_e32 v47, vcc_lo, v40, v36, vcc_lo
	s_delay_alu instid0(VALU_DEP_2) | instskip(NEXT) | instid1(VALU_DEP_2)
	v_cndmask_b32_e64 v43, v46, v43, s2
	v_cndmask_b32_e64 v44, v47, v44, s2
	s_waitcnt lgkmcnt(0)
	global_store_b32 v[43:44], v45, off
	s_or_b32 exec_lo, exec_lo, s9
	s_and_saveexec_b32 s9, s43
	s_cbranch_execnz .LBB52_32
	s_branch .LBB52_33
.LBB52_65:
	s_endpgm
	.section	.rodata,"a",@progbits
	.p2align	6, 0x0
	.amdhsa_kernel _ZN9rocsparseL38csr2bsr_block_per_row_multipass_kernelILj256ELj64EfliEEv20rocsparse_direction_T3_S2_S2_S2_S2_21rocsparse_index_base_PKT1_PKT2_PKS2_S3_PS4_PS7_PS2_
		.amdhsa_group_segment_fixed_size 16388
		.amdhsa_private_segment_fixed_size 0
		.amdhsa_kernarg_size 88
		.amdhsa_user_sgpr_count 15
		.amdhsa_user_sgpr_dispatch_ptr 0
		.amdhsa_user_sgpr_queue_ptr 0
		.amdhsa_user_sgpr_kernarg_segment_ptr 1
		.amdhsa_user_sgpr_dispatch_id 0
		.amdhsa_user_sgpr_private_segment_size 0
		.amdhsa_wavefront_size32 1
		.amdhsa_uses_dynamic_stack 0
		.amdhsa_enable_private_segment 0
		.amdhsa_system_sgpr_workgroup_id_x 1
		.amdhsa_system_sgpr_workgroup_id_y 0
		.amdhsa_system_sgpr_workgroup_id_z 0
		.amdhsa_system_sgpr_workgroup_info 0
		.amdhsa_system_vgpr_workitem_id 0
		.amdhsa_next_free_vgpr 64
		.amdhsa_next_free_sgpr 48
		.amdhsa_reserve_vcc 1
		.amdhsa_float_round_mode_32 0
		.amdhsa_float_round_mode_16_64 0
		.amdhsa_float_denorm_mode_32 3
		.amdhsa_float_denorm_mode_16_64 3
		.amdhsa_dx10_clamp 1
		.amdhsa_ieee_mode 1
		.amdhsa_fp16_overflow 0
		.amdhsa_workgroup_processor_mode 1
		.amdhsa_memory_ordered 1
		.amdhsa_forward_progress 0
		.amdhsa_shared_vgpr_count 0
		.amdhsa_exception_fp_ieee_invalid_op 0
		.amdhsa_exception_fp_denorm_src 0
		.amdhsa_exception_fp_ieee_div_zero 0
		.amdhsa_exception_fp_ieee_overflow 0
		.amdhsa_exception_fp_ieee_underflow 0
		.amdhsa_exception_fp_ieee_inexact 0
		.amdhsa_exception_int_div_zero 0
	.end_amdhsa_kernel
	.section	.text._ZN9rocsparseL38csr2bsr_block_per_row_multipass_kernelILj256ELj64EfliEEv20rocsparse_direction_T3_S2_S2_S2_S2_21rocsparse_index_base_PKT1_PKT2_PKS2_S3_PS4_PS7_PS2_,"axG",@progbits,_ZN9rocsparseL38csr2bsr_block_per_row_multipass_kernelILj256ELj64EfliEEv20rocsparse_direction_T3_S2_S2_S2_S2_21rocsparse_index_base_PKT1_PKT2_PKS2_S3_PS4_PS7_PS2_,comdat
.Lfunc_end52:
	.size	_ZN9rocsparseL38csr2bsr_block_per_row_multipass_kernelILj256ELj64EfliEEv20rocsparse_direction_T3_S2_S2_S2_S2_21rocsparse_index_base_PKT1_PKT2_PKS2_S3_PS4_PS7_PS2_, .Lfunc_end52-_ZN9rocsparseL38csr2bsr_block_per_row_multipass_kernelILj256ELj64EfliEEv20rocsparse_direction_T3_S2_S2_S2_S2_21rocsparse_index_base_PKT1_PKT2_PKS2_S3_PS4_PS7_PS2_
                                        ; -- End function
	.section	.AMDGPU.csdata,"",@progbits
; Kernel info:
; codeLenInByte = 3900
; NumSgprs: 50
; NumVgprs: 64
; ScratchSize: 0
; MemoryBound: 0
; FloatMode: 240
; IeeeMode: 1
; LDSByteSize: 16388 bytes/workgroup (compile time only)
; SGPRBlocks: 6
; VGPRBlocks: 7
; NumSGPRsForWavesPerEU: 50
; NumVGPRsForWavesPerEU: 64
; Occupancy: 14
; WaveLimiterHint : 0
; COMPUTE_PGM_RSRC2:SCRATCH_EN: 0
; COMPUTE_PGM_RSRC2:USER_SGPR: 15
; COMPUTE_PGM_RSRC2:TRAP_HANDLER: 0
; COMPUTE_PGM_RSRC2:TGID_X_EN: 1
; COMPUTE_PGM_RSRC2:TGID_Y_EN: 0
; COMPUTE_PGM_RSRC2:TGID_Z_EN: 0
; COMPUTE_PGM_RSRC2:TIDIG_COMP_CNT: 0
	.section	.text._ZN9rocsparseL21csr2bsr_65_inf_kernelILj32EfliEEv20rocsparse_direction_T2_S2_S2_S2_S2_S2_21rocsparse_index_base_PKT0_PKT1_PKS2_S3_PS4_PS7_PS2_SD_SE_SC_,"axG",@progbits,_ZN9rocsparseL21csr2bsr_65_inf_kernelILj32EfliEEv20rocsparse_direction_T2_S2_S2_S2_S2_S2_21rocsparse_index_base_PKT0_PKT1_PKS2_S3_PS4_PS7_PS2_SD_SE_SC_,comdat
	.globl	_ZN9rocsparseL21csr2bsr_65_inf_kernelILj32EfliEEv20rocsparse_direction_T2_S2_S2_S2_S2_S2_21rocsparse_index_base_PKT0_PKT1_PKS2_S3_PS4_PS7_PS2_SD_SE_SC_ ; -- Begin function _ZN9rocsparseL21csr2bsr_65_inf_kernelILj32EfliEEv20rocsparse_direction_T2_S2_S2_S2_S2_S2_21rocsparse_index_base_PKT0_PKT1_PKS2_S3_PS4_PS7_PS2_SD_SE_SC_
	.p2align	8
	.type	_ZN9rocsparseL21csr2bsr_65_inf_kernelILj32EfliEEv20rocsparse_direction_T2_S2_S2_S2_S2_S2_21rocsparse_index_base_PKT0_PKT1_PKS2_S3_PS4_PS7_PS2_SD_SE_SC_,@function
_ZN9rocsparseL21csr2bsr_65_inf_kernelILj32EfliEEv20rocsparse_direction_T2_S2_S2_S2_S2_S2_21rocsparse_index_base_PKT0_PKT1_PKS2_S3_PS4_PS7_PS2_SD_SE_SC_: ; @_ZN9rocsparseL21csr2bsr_65_inf_kernelILj32EfliEEv20rocsparse_direction_T2_S2_S2_S2_S2_S2_21rocsparse_index_base_PKT0_PKT1_PKS2_S3_PS4_PS7_PS2_SD_SE_SC_
; %bb.0:
	s_clause 0x2
	s_load_b128 s[4:7], s[0:1], 0x0
	s_load_b64 s[2:3], s[0:1], 0x58
	s_load_b32 s26, s[0:1], 0x38
	s_mov_b32 s22, s15
	s_mov_b32 s25, 0
	s_waitcnt lgkmcnt(0)
	s_cmp_ge_i32 s15, s7
	s_mov_b32 s7, 0
	s_cbranch_scc1 .LBB53_2
; %bb.1:
	s_load_b64 s[8:9], s[0:1], 0x48
	s_ashr_i32 s23, s22, 31
	s_delay_alu instid0(SALU_CYCLE_1)
	s_lshl_b64 s[10:11], s[22:23], 3
	s_waitcnt lgkmcnt(0)
	s_add_u32 s8, s8, s10
	s_addc_u32 s9, s9, s11
	s_load_b32 s7, s[8:9], 0x0
	s_waitcnt lgkmcnt(0)
	s_sub_i32 s7, s7, s26
.LBB53_2:
	s_load_b128 s[8:11], s[0:1], 0x14
	s_waitcnt lgkmcnt(0)
	v_mul_lo_u32 v3, v0, s9
	s_mul_i32 s11, s22, s9
	s_delay_alu instid0(SALU_CYCLE_1) | instskip(NEXT) | instid1(SALU_CYCLE_1)
	s_lshl_b32 s24, s11, 6
	s_lshl_b64 s[12:13], s[24:25], 3
	s_delay_alu instid0(SALU_CYCLE_1) | instskip(NEXT) | instid1(VALU_DEP_1)
	s_add_u32 s27, s2, s12
	v_ashrrev_i32_e32 v4, 31, v3
	s_addc_u32 s28, s3, s13
	s_lshl_b32 s24, s9, 5
	s_cmp_gt_i32 s9, 0
	s_cselect_b32 s11, -1, 0
	v_lshlrev_b64 v[7:8], 3, v[3:4]
	s_cmp_lt_i32 s9, 1
	s_delay_alu instid0(VALU_DEP_1) | instskip(NEXT) | instid1(VALU_DEP_2)
	v_add_co_u32 v1, vcc_lo, s27, v7
	v_add_co_ci_u32_e32 v2, vcc_lo, s28, v8, vcc_lo
	s_cbranch_scc1 .LBB53_7
; %bb.3:
	s_load_b64 s[12:13], s[0:1], 0x28
	s_mov_b32 s2, 0
	s_delay_alu instid0(VALU_DEP_1) | instskip(SKIP_1) | instid1(SALU_CYCLE_1)
	v_dual_mov_b32 v15, v0 :: v_dual_mov_b32 v10, v2
	s_mov_b32 s3, s2
	v_dual_mov_b32 v9, v1 :: v_dual_mov_b32 v6, s3
	v_mov_b32_e32 v5, s2
	s_mul_i32 s16, s22, s8
	s_lshl_b64 s[14:15], s[24:25], 3
	s_mov_b32 s17, s9
	s_set_inst_prefetch_distance 0x1
	s_branch .LBB53_5
	.p2align	6
.LBB53_4:                               ;   in Loop: Header=BB53_5 Depth=1
	s_or_b32 exec_lo, exec_lo, s2
	v_add_co_u32 v9, vcc_lo, v9, 8
	v_add_co_ci_u32_e32 v10, vcc_lo, 0, v10, vcc_lo
	v_add_nc_u32_e32 v15, 32, v15
	s_add_i32 s17, s17, -1
	s_delay_alu instid0(SALU_CYCLE_1)
	s_cmp_eq_u32 s17, 0
	s_cbranch_scc1 .LBB53_7
.LBB53_5:                               ; =>This Inner Loop Header: Depth=1
	s_delay_alu instid0(VALU_DEP_1) | instskip(SKIP_2) | instid1(VALU_DEP_1)
	v_add_nc_u32_e32 v13, s16, v15
	v_cmp_gt_u32_e32 vcc_lo, s8, v15
	v_add_co_u32 v11, s3, v9, s14
	v_add_co_ci_u32_e64 v12, s3, s15, v10, s3
	s_delay_alu instid0(VALU_DEP_4) | instskip(SKIP_4) | instid1(SALU_CYCLE_1)
	v_cmp_gt_i32_e64 s2, s5, v13
	s_clause 0x1
	global_store_b64 v[9:10], v[5:6], off
	global_store_b64 v[11:12], v[5:6], off
	s_and_b32 s3, vcc_lo, s2
	s_and_saveexec_b32 s2, s3
	s_cbranch_execz .LBB53_4
; %bb.6:                                ;   in Loop: Header=BB53_5 Depth=1
	v_ashrrev_i32_e32 v14, 31, v13
	s_delay_alu instid0(VALU_DEP_1) | instskip(SKIP_1) | instid1(VALU_DEP_1)
	v_lshlrev_b64 v[13:14], 3, v[13:14]
	s_waitcnt lgkmcnt(0)
	v_add_co_u32 v13, vcc_lo, s12, v13
	s_delay_alu instid0(VALU_DEP_2)
	v_add_co_ci_u32_e32 v14, vcc_lo, s13, v14, vcc_lo
	global_load_b128 v[16:19], v[13:14], off
	s_waitcnt vmcnt(0)
	v_sub_co_u32 v13, vcc_lo, v16, s10
	v_subrev_co_ci_u32_e32 v14, vcc_lo, 0, v17, vcc_lo
	v_sub_co_u32 v16, vcc_lo, v18, s10
	v_subrev_co_ci_u32_e32 v17, vcc_lo, 0, v19, vcc_lo
	s_clause 0x1
	global_store_b64 v[9:10], v[13:14], off
	global_store_b64 v[11:12], v[16:17], off
	s_branch .LBB53_4
.LBB53_7:
	s_set_inst_prefetch_distance 0x2
	s_cmp_lt_i32 s6, 1
	s_cbranch_scc1 .LBB53_37
; %bb.8:
	s_waitcnt lgkmcnt(0)
	s_clause 0x4
	s_load_b128 s[12:15], s[0:1], 0x60
	s_load_b64 s[2:3], s[0:1], 0x20
	s_load_b64 s[16:17], s[0:1], 0x50
	;; [unrolled: 1-line block ×4, first 2 shown]
	s_lshl_b64 s[30:31], s[24:25], 3
	s_mul_i32 s22, s24, s22
	s_mov_b32 s23, 0
	s_add_u32 s1, s27, s30
	s_addc_u32 s27, s28, s31
	s_lshl_b64 s[24:25], s[22:23], 2
	v_mbcnt_lo_u32_b32 v5, -1, 0
	v_add_co_u32 v27, vcc_lo, s1, v7
	v_add_co_ci_u32_e32 v28, vcc_lo, s27, v8, vcc_lo
	s_delay_alu instid0(VALU_DEP_3)
	v_xor_b32_e32 v7, 16, v5
	v_xor_b32_e32 v8, 8, v5
	;; [unrolled: 1-line block ×4, first 2 shown]
	s_waitcnt lgkmcnt(0)
	s_add_u32 s22, s12, s24
	s_addc_u32 s28, s13, s25
	s_add_u32 s14, s14, s24
	s_addc_u32 s15, s15, s25
	s_cmp_lg_u32 s4, 0
	v_cmp_gt_i32_e32 vcc_lo, 32, v7
	s_cselect_b32 s12, -1, 0
	s_abs_i32 s13, s8
	v_xor_b32_e32 v14, 1, v5
	v_cvt_f32_u32_e32 v11, s13
	v_cndmask_b32_e32 v7, v5, v7, vcc_lo
	v_cmp_gt_i32_e32 vcc_lo, 32, v8
	s_sub_i32 s1, 0, s13
	v_lshlrev_b64 v[9:10], 2, v[3:4]
	v_rcp_iflag_f32_e32 v11, v11
	v_mul_lo_u32 v26, v0, s8
	v_cmp_eq_u32_e64 s0, 31, v0
	v_dual_mov_b32 v25, 0x7c :: v_dual_mov_b32 v4, 0
	v_dual_mov_b32 v6, 0 :: v_dual_mov_b32 v3, 0
	s_mul_hi_i32 s5, s8, s8
	s_mul_i32 s4, s8, s8
	s_waitcnt_depctr 0xfff
	v_dual_cndmask_b32 v8, v5, v8 :: v_dual_mul_f32 v11, 0x4f7ffffe, v11
	v_cmp_gt_i32_e32 vcc_lo, 32, v12
	s_lshl_b32 s24, s8, 5
	s_mov_b32 s25, 0
	s_delay_alu instid0(VALU_DEP_2) | instskip(SKIP_4) | instid1(VALU_DEP_4)
	v_lshlrev_b32_e32 v30, 2, v8
	v_cvt_u32_f32_e32 v11, v11
	v_dual_cndmask_b32 v12, v5, v12 :: v_dual_lshlrev_b32 v29, 2, v7
	v_cmp_gt_i32_e32 vcc_lo, 32, v13
	v_mov_b32_e32 v36, 0
	v_mul_lo_u32 v15, s1, v11
	s_delay_alu instid0(VALU_DEP_4) | instskip(SKIP_3) | instid1(VALU_DEP_2)
	v_lshlrev_b32_e32 v31, 2, v12
	v_mov_b32_e32 v35, 0
	v_cndmask_b32_e32 v13, v5, v13, vcc_lo
	v_cmp_gt_i32_e32 vcc_lo, 32, v14
	v_dual_cndmask_b32 v5, v5, v14 :: v_dual_lshlrev_b32 v32, 2, v13
	v_add_co_u32 v7, vcc_lo, s22, v9
	v_add_co_ci_u32_e32 v8, vcc_lo, s28, v10, vcc_lo
	s_delay_alu instid0(VALU_DEP_3)
	v_lshlrev_b32_e32 v33, 2, v5
	v_mul_hi_u32 v5, v11, v15
	v_add_co_u32 v9, vcc_lo, s14, v9
	v_add_co_ci_u32_e32 v10, vcc_lo, s15, v10, vcc_lo
	s_add_i32 s14, s7, -1
	s_ashr_i32 s15, s8, 31
	s_delay_alu instid0(VALU_DEP_3)
	v_add_nc_u32_e32 v34, v11, v5
	s_branch .LBB53_10
.LBB53_9:                               ;   in Loop: Header=BB53_10 Depth=1
	s_waitcnt lgkmcnt(1)
	v_add_nc_u32_e32 v3, 1, v19
	s_delay_alu instid0(VALU_DEP_1) | instskip(SKIP_1) | instid1(SALU_CYCLE_1)
	v_cmp_le_i32_e32 vcc_lo, s6, v3
	s_or_b32 s25, vcc_lo, s25
	s_and_not1_b32 exec_lo, exec_lo, s25
	s_cbranch_execz .LBB53_37
.LBB53_10:                              ; =>This Loop Header: Depth=1
                                        ;     Child Loop BB53_14 Depth 2
                                        ;       Child Loop BB53_17 Depth 3
                                        ;     Child Loop BB53_31 Depth 2
	v_mov_b32_e32 v5, s6
	s_and_not1_b32 vcc_lo, exec_lo, s11
	s_cbranch_vccnz .LBB53_23
; %bb.11:                               ;   in Loop: Header=BB53_10 Depth=1
	v_mov_b32_e32 v5, s6
	s_mov_b32 s22, 0
	s_branch .LBB53_14
.LBB53_12:                              ;   in Loop: Header=BB53_14 Depth=2
	s_or_b32 exec_lo, exec_lo, s1
.LBB53_13:                              ;   in Loop: Header=BB53_14 Depth=2
	s_delay_alu instid0(SALU_CYCLE_1) | instskip(SKIP_1) | instid1(SALU_CYCLE_1)
	s_or_b32 exec_lo, exec_lo, s27
	s_add_i32 s22, s22, 1
	s_cmp_eq_u32 s22, s9
	s_cbranch_scc1 .LBB53_23
.LBB53_14:                              ;   Parent Loop BB53_10 Depth=1
                                        ; =>  This Loop Header: Depth=2
                                        ;       Child Loop BB53_17 Depth 3
	s_lshl_b64 s[28:29], s[22:23], 3
	v_mov_b32_e32 v17, s6
	v_add_co_u32 v11, vcc_lo, v1, s28
	v_add_co_ci_u32_e32 v12, vcc_lo, s29, v2, vcc_lo
	v_add_co_u32 v13, vcc_lo, v27, s28
	v_add_co_ci_u32_e32 v14, vcc_lo, s29, v28, vcc_lo
	s_lshl_b64 s[28:29], s[22:23], 2
	s_clause 0x1
	global_load_b64 v[21:22], v[11:12], off
	global_load_b64 v[19:20], v[13:14], off
	v_add_co_u32 v13, vcc_lo, v9, s28
	v_add_co_ci_u32_e32 v14, vcc_lo, s29, v10, vcc_lo
	v_add_co_u32 v15, vcc_lo, v7, s28
	v_add_co_ci_u32_e32 v16, vcc_lo, s29, v8, vcc_lo
	s_mov_b32 s27, exec_lo
	global_store_b32 v[13:14], v6, off
	global_store_b32 v[15:16], v17, off
	s_waitcnt vmcnt(0)
	v_cmpx_lt_i64_e64 v[21:22], v[19:20]
	s_cbranch_execz .LBB53_13
; %bb.15:                               ;   in Loop: Header=BB53_14 Depth=2
	v_lshlrev_b64 v[17:18], 2, v[21:22]
	s_mov_b32 s28, 0
                                        ; implicit-def: $sgpr29
                                        ; implicit-def: $sgpr31
                                        ; implicit-def: $sgpr30
	s_delay_alu instid0(VALU_DEP_1) | instskip(NEXT) | instid1(VALU_DEP_2)
	v_add_co_u32 v23, vcc_lo, s20, v17
	v_add_co_ci_u32_e32 v24, vcc_lo, s21, v18, vcc_lo
	s_set_inst_prefetch_distance 0x1
	s_branch .LBB53_17
	.p2align	6
.LBB53_16:                              ;   in Loop: Header=BB53_17 Depth=3
	s_or_b32 exec_lo, exec_lo, s33
	s_delay_alu instid0(SALU_CYCLE_1) | instskip(NEXT) | instid1(SALU_CYCLE_1)
	s_and_b32 s1, exec_lo, s31
	s_or_b32 s28, s1, s28
	s_and_not1_b32 s1, s29, exec_lo
	s_and_b32 s29, s30, exec_lo
	s_delay_alu instid0(SALU_CYCLE_1)
	s_or_b32 s29, s1, s29
	s_and_not1_b32 exec_lo, exec_lo, s28
	s_cbranch_execz .LBB53_19
.LBB53_17:                              ;   Parent Loop BB53_10 Depth=1
                                        ;     Parent Loop BB53_14 Depth=2
                                        ; =>    This Inner Loop Header: Depth=3
	global_load_b32 v17, v[23:24], off
	s_or_b32 s30, s30, exec_lo
	s_or_b32 s31, s31, exec_lo
	s_mov_b32 s33, exec_lo
	s_waitcnt vmcnt(0)
	v_subrev_nc_u32_e32 v37, s10, v17
	v_dual_mov_b32 v17, v21 :: v_dual_mov_b32 v18, v22
                                        ; implicit-def: $vgpr21_vgpr22
	s_delay_alu instid0(VALU_DEP_2)
	v_cmpx_lt_i32_e64 v37, v3
	s_cbranch_execz .LBB53_16
; %bb.18:                               ;   in Loop: Header=BB53_17 Depth=3
	s_delay_alu instid0(VALU_DEP_2) | instskip(NEXT) | instid1(VALU_DEP_3)
	v_add_co_u32 v21, vcc_lo, v17, 1
	v_add_co_ci_u32_e32 v22, vcc_lo, 0, v18, vcc_lo
	v_add_co_u32 v23, s1, v23, 4
	s_delay_alu instid0(VALU_DEP_1) | instskip(NEXT) | instid1(VALU_DEP_3)
	v_add_co_ci_u32_e64 v24, s1, 0, v24, s1
	v_cmp_ge_i64_e32 vcc_lo, v[21:22], v[19:20]
	s_and_not1_b32 s1, s31, exec_lo
	s_and_not1_b32 s30, s30, exec_lo
	s_and_b32 s31, vcc_lo, exec_lo
	s_delay_alu instid0(SALU_CYCLE_1)
	s_or_b32 s31, s1, s31
	s_branch .LBB53_16
.LBB53_19:                              ;   in Loop: Header=BB53_14 Depth=2
	s_set_inst_prefetch_distance 0x2
	s_or_b32 exec_lo, exec_lo, s28
	v_lshlrev_b64 v[19:20], 2, v[17:18]
	s_xor_b32 s1, s29, -1
	s_delay_alu instid0(SALU_CYCLE_1) | instskip(NEXT) | instid1(SALU_CYCLE_1)
	s_and_saveexec_b32 s28, s1
	s_xor_b32 s1, exec_lo, s28
	s_cbranch_execz .LBB53_21
; %bb.20:                               ;   in Loop: Header=BB53_14 Depth=2
	s_delay_alu instid0(VALU_DEP_1)
	v_add_co_u32 v11, vcc_lo, s2, v19
	v_add_co_ci_u32_e32 v12, vcc_lo, s3, v20, vcc_lo
                                        ; implicit-def: $vgpr19_vgpr20
	global_load_b32 v11, v[11:12], off
	s_waitcnt vmcnt(0)
	global_store_b32 v[13:14], v11, off
	global_store_b32 v[15:16], v37, off
                                        ; implicit-def: $vgpr13_vgpr14
                                        ; implicit-def: $vgpr15_vgpr16
                                        ; implicit-def: $vgpr11_vgpr12
.LBB53_21:                              ;   in Loop: Header=BB53_14 Depth=2
	s_and_not1_saveexec_b32 s1, s1
	s_cbranch_execz .LBB53_12
; %bb.22:                               ;   in Loop: Header=BB53_14 Depth=2
	v_add_co_u32 v19, vcc_lo, s2, v19
	v_add_co_ci_u32_e32 v20, vcc_lo, s3, v20, vcc_lo
	v_min_i32_e32 v5, v37, v5
	global_load_b32 v19, v[19:20], off
	global_store_b32 v[15:16], v37, off
	s_waitcnt vmcnt(0)
	global_store_b32 v[13:14], v19, off
	global_store_b64 v[11:12], v[17:18], off
	s_branch .LBB53_12
.LBB53_23:                              ;   in Loop: Header=BB53_10 Depth=1
	ds_bpermute_b32 v3, v29, v5
	s_waitcnt lgkmcnt(0)
	v_min_i32_e32 v3, v3, v5
	ds_bpermute_b32 v5, v30, v3
	s_waitcnt lgkmcnt(0)
	v_min_i32_e32 v3, v5, v3
	;; [unrolled: 3-line block ×5, first 2 shown]
	s_delay_alu instid0(VALU_DEP_1) | instskip(SKIP_1) | instid1(SALU_CYCLE_1)
	v_cmp_gt_i32_e32 vcc_lo, s6, v3
	s_and_b32 s22, s0, vcc_lo
	s_and_saveexec_b32 s1, s22
	s_cbranch_execz .LBB53_27
; %bb.24:                               ;   in Loop: Header=BB53_10 Depth=1
	v_sub_nc_u32_e32 v5, 0, v3
	s_mov_b32 s22, exec_lo
	s_delay_alu instid0(VALU_DEP_1) | instskip(NEXT) | instid1(VALU_DEP_1)
	v_max_i32_e32 v5, v3, v5
	v_mul_hi_u32 v11, v5, v34
	s_delay_alu instid0(VALU_DEP_1) | instskip(NEXT) | instid1(VALU_DEP_1)
	v_mul_lo_u32 v12, v11, s13
	v_sub_nc_u32_e32 v5, v5, v12
	s_delay_alu instid0(VALU_DEP_1) | instskip(SKIP_1) | instid1(VALU_DEP_2)
	v_subrev_nc_u32_e32 v13, s13, v5
	v_cmp_le_u32_e32 vcc_lo, s13, v5
	v_dual_cndmask_b32 v5, v5, v13 :: v_dual_add_nc_u32 v12, 1, v11
	s_delay_alu instid0(VALU_DEP_1) | instskip(SKIP_1) | instid1(VALU_DEP_3)
	v_cndmask_b32_e32 v11, v11, v12, vcc_lo
	v_ashrrev_i32_e32 v12, 31, v3
	v_cmp_le_u32_e32 vcc_lo, s13, v5
	s_delay_alu instid0(VALU_DEP_3) | instskip(NEXT) | instid1(VALU_DEP_3)
	v_add_nc_u32_e32 v13, 1, v11
	v_xor_b32_e32 v12, s15, v12
	s_delay_alu instid0(VALU_DEP_2) | instskip(NEXT) | instid1(VALU_DEP_1)
	v_cndmask_b32_e32 v5, v11, v13, vcc_lo
	v_xor_b32_e32 v5, v5, v12
	s_delay_alu instid0(VALU_DEP_1) | instskip(NEXT) | instid1(VALU_DEP_1)
	v_sub_nc_u32_e32 v5, v5, v12
	v_cmpx_ge_i32_e64 v5, v35
	s_cbranch_execz .LBB53_26
; %bb.25:                               ;   in Loop: Header=BB53_10 Depth=1
	v_add_nc_u32_e32 v11, s7, v36
	v_add_nc_u32_e32 v35, 1, v5
	;; [unrolled: 1-line block ×4, first 2 shown]
	s_delay_alu instid0(VALU_DEP_4) | instskip(NEXT) | instid1(VALU_DEP_1)
	v_ashrrev_i32_e32 v12, 31, v11
	v_lshlrev_b64 v[11:12], 2, v[11:12]
	s_delay_alu instid0(VALU_DEP_1) | instskip(NEXT) | instid1(VALU_DEP_2)
	v_add_co_u32 v11, vcc_lo, s16, v11
	v_add_co_ci_u32_e32 v12, vcc_lo, s17, v12, vcc_lo
	global_store_b32 v[11:12], v5, off
.LBB53_26:                              ;   in Loop: Header=BB53_10 Depth=1
	s_or_b32 exec_lo, exec_lo, s22
.LBB53_27:                              ;   in Loop: Header=BB53_10 Depth=1
	s_delay_alu instid0(SALU_CYCLE_1)
	s_or_b32 exec_lo, exec_lo, s1
	ds_bpermute_b32 v19, v25, v3
	ds_bpermute_b32 v36, v25, v36
	s_and_not1_b32 vcc_lo, exec_lo, s11
	s_cbranch_vccnz .LBB53_9
; %bb.28:                               ;   in Loop: Header=BB53_10 Depth=1
	s_waitcnt lgkmcnt(1)
	v_sub_nc_u32_e32 v3, 0, v19
	s_waitcnt lgkmcnt(0)
	v_add_nc_u32_e32 v13, s14, v36
	s_mov_b32 s1, s9
	s_delay_alu instid0(VALU_DEP_2) | instskip(NEXT) | instid1(VALU_DEP_2)
	v_max_i32_e32 v3, v19, v3
	v_ashrrev_i32_e32 v14, 31, v13
	v_mul_lo_u32 v15, s5, v13
	s_delay_alu instid0(VALU_DEP_3) | instskip(NEXT) | instid1(VALU_DEP_1)
	v_mul_hi_u32 v5, v3, v34
	v_mul_lo_u32 v11, v5, s13
	s_delay_alu instid0(VALU_DEP_1) | instskip(SKIP_2) | instid1(VALU_DEP_3)
	v_sub_nc_u32_e32 v3, v3, v11
	v_mad_u64_u32 v[11:12], null, s4, v13, 0
	v_mul_lo_u32 v13, s4, v14
	v_subrev_nc_u32_e32 v14, s13, v3
	v_cmp_le_u32_e32 vcc_lo, s13, v3
	s_delay_alu instid0(VALU_DEP_2) | instskip(NEXT) | instid1(VALU_DEP_1)
	v_dual_cndmask_b32 v3, v3, v14 :: v_dual_add_nc_u32 v16, 1, v5
	v_cndmask_b32_e32 v5, v5, v16, vcc_lo
	v_ashrrev_i32_e32 v16, 31, v19
	v_add3_u32 v12, v12, v13, v15
	s_delay_alu instid0(VALU_DEP_4) | instskip(NEXT) | instid1(VALU_DEP_4)
	v_cmp_le_u32_e32 vcc_lo, s13, v3
	v_add_nc_u32_e32 v14, 1, v5
	s_delay_alu instid0(VALU_DEP_4) | instskip(NEXT) | instid1(VALU_DEP_4)
	v_xor_b32_e32 v17, s15, v16
	v_lshlrev_b64 v[15:16], 2, v[11:12]
	v_dual_mov_b32 v12, v10 :: v_dual_mov_b32 v11, v9
	s_delay_alu instid0(VALU_DEP_4) | instskip(SKIP_1) | instid1(VALU_DEP_4)
	v_dual_cndmask_b32 v5, v5, v14 :: v_dual_mov_b32 v14, v8
	v_mov_b32_e32 v13, v7
	v_add_co_u32 v20, vcc_lo, s18, v15
	s_delay_alu instid0(VALU_DEP_3) | instskip(SKIP_2) | instid1(VALU_DEP_3)
	v_xor_b32_e32 v5, v5, v17
	v_mov_b32_e32 v3, v0
	v_add_co_ci_u32_e32 v21, vcc_lo, s19, v16, vcc_lo
	v_sub_nc_u32_e32 v22, v5, v17
	v_mov_b32_e32 v5, v26
	s_branch .LBB53_31
.LBB53_29:                              ;   in Loop: Header=BB53_31 Depth=2
	s_delay_alu instid0(VALU_DEP_1) | instskip(NEXT) | instid1(VALU_DEP_2)
	v_lshlrev_b64 v[17:18], 2, v[17:18]
	v_lshlrev_b64 v[15:16], 2, v[15:16]
	s_delay_alu instid0(VALU_DEP_2) | instskip(NEXT) | instid1(VALU_DEP_3)
	v_add_co_u32 v17, vcc_lo, v20, v17
	v_add_co_ci_u32_e32 v18, vcc_lo, v21, v18, vcc_lo
	s_delay_alu instid0(VALU_DEP_2) | instskip(NEXT) | instid1(VALU_DEP_2)
	v_add_co_u32 v15, vcc_lo, v17, v15
	v_add_co_ci_u32_e32 v16, vcc_lo, v18, v16, vcc_lo
	s_waitcnt vmcnt(0)
	global_store_b32 v[15:16], v23, off
.LBB53_30:                              ;   in Loop: Header=BB53_31 Depth=2
	s_or_b32 exec_lo, exec_lo, s22
	v_add_co_u32 v13, vcc_lo, v13, 4
	v_add_co_ci_u32_e32 v14, vcc_lo, 0, v14, vcc_lo
	v_add_co_u32 v11, vcc_lo, v11, 4
	v_add_nc_u32_e32 v5, s24, v5
	v_add_nc_u32_e32 v3, 32, v3
	v_add_co_ci_u32_e32 v12, vcc_lo, 0, v12, vcc_lo
	s_add_i32 s1, s1, -1
	s_delay_alu instid0(SALU_CYCLE_1)
	s_cmp_eq_u32 s1, 0
	s_cbranch_scc1 .LBB53_9
.LBB53_31:                              ;   Parent Loop BB53_10 Depth=1
                                        ; =>  This Inner Loop Header: Depth=2
	global_load_b32 v15, v[13:14], off
	s_mov_b32 s22, exec_lo
	s_waitcnt vmcnt(0)
	v_cmpx_gt_i32_e64 s6, v15
	s_cbranch_execz .LBB53_30
; %bb.32:                               ;   in Loop: Header=BB53_31 Depth=2
	v_sub_nc_u32_e32 v16, 0, v15
	v_ashrrev_i32_e32 v37, 31, v15
	s_delay_alu instid0(VALU_DEP_2) | instskip(NEXT) | instid1(VALU_DEP_2)
	v_max_i32_e32 v16, v15, v16
	v_xor_b32_e32 v23, s15, v37
	s_delay_alu instid0(VALU_DEP_2) | instskip(NEXT) | instid1(VALU_DEP_1)
	v_mul_hi_u32 v17, v16, v34
	v_mul_lo_u32 v18, v17, s13
	s_delay_alu instid0(VALU_DEP_1) | instskip(NEXT) | instid1(VALU_DEP_1)
	v_sub_nc_u32_e32 v24, v16, v18
	v_subrev_nc_u32_e32 v38, s13, v24
	v_cmp_le_u32_e32 vcc_lo, s13, v24
	v_add_nc_u32_e32 v16, 1, v17
	s_delay_alu instid0(VALU_DEP_1) | instskip(NEXT) | instid1(VALU_DEP_1)
	v_dual_cndmask_b32 v16, v17, v16 :: v_dual_cndmask_b32 v17, v24, v38
	v_add_nc_u32_e32 v18, 1, v16
	s_delay_alu instid0(VALU_DEP_2) | instskip(NEXT) | instid1(VALU_DEP_2)
	v_cmp_le_u32_e32 vcc_lo, s13, v17
	v_cndmask_b32_e32 v16, v16, v18, vcc_lo
	s_delay_alu instid0(VALU_DEP_1) | instskip(NEXT) | instid1(VALU_DEP_1)
	v_xor_b32_e32 v16, v16, v23
	v_sub_nc_u32_e32 v16, v16, v23
	s_delay_alu instid0(VALU_DEP_1)
	v_cmp_eq_u32_e32 vcc_lo, v16, v22
	s_and_b32 exec_lo, exec_lo, vcc_lo
	s_cbranch_execz .LBB53_30
; %bb.33:                               ;   in Loop: Header=BB53_31 Depth=2
	global_load_b32 v23, v[11:12], off
	s_and_b32 vcc_lo, exec_lo, s12
	s_cbranch_vccz .LBB53_35
; %bb.34:                               ;   in Loop: Header=BB53_31 Depth=2
	v_mul_lo_u32 v16, v22, s8
	s_delay_alu instid0(VALU_DEP_1) | instskip(NEXT) | instid1(VALU_DEP_1)
	v_sub_nc_u32_e32 v15, v15, v16
	v_mul_lo_u32 v17, v15, s8
	v_dual_mov_b32 v16, v4 :: v_dual_mov_b32 v15, v3
	s_delay_alu instid0(VALU_DEP_2)
	v_ashrrev_i32_e32 v18, 31, v17
	s_cbranch_execnz .LBB53_29
	s_branch .LBB53_36
.LBB53_35:                              ;   in Loop: Header=BB53_31 Depth=2
                                        ; implicit-def: $vgpr15_vgpr16
                                        ; implicit-def: $vgpr17_vgpr18
.LBB53_36:                              ;   in Loop: Header=BB53_31 Depth=2
	v_cmp_le_u32_e32 vcc_lo, s13, v24
	v_dual_mov_b32 v18, v6 :: v_dual_mov_b32 v17, v5
	v_cndmask_b32_e32 v15, v24, v38, vcc_lo
	s_delay_alu instid0(VALU_DEP_1) | instskip(SKIP_1) | instid1(VALU_DEP_2)
	v_subrev_nc_u32_e32 v16, s13, v15
	v_cmp_le_u32_e32 vcc_lo, s13, v15
	v_cndmask_b32_e32 v15, v15, v16, vcc_lo
	s_delay_alu instid0(VALU_DEP_1) | instskip(NEXT) | instid1(VALU_DEP_1)
	v_xor_b32_e32 v15, v15, v37
	v_sub_nc_u32_e32 v15, v15, v37
	s_delay_alu instid0(VALU_DEP_1)
	v_ashrrev_i32_e32 v16, 31, v15
	s_branch .LBB53_29
.LBB53_37:
	s_nop 0
	s_sendmsg sendmsg(MSG_DEALLOC_VGPRS)
	s_endpgm
	.section	.rodata,"a",@progbits
	.p2align	6, 0x0
	.amdhsa_kernel _ZN9rocsparseL21csr2bsr_65_inf_kernelILj32EfliEEv20rocsparse_direction_T2_S2_S2_S2_S2_S2_21rocsparse_index_base_PKT0_PKT1_PKS2_S3_PS4_PS7_PS2_SD_SE_SC_
		.amdhsa_group_segment_fixed_size 0
		.amdhsa_private_segment_fixed_size 0
		.amdhsa_kernarg_size 112
		.amdhsa_user_sgpr_count 15
		.amdhsa_user_sgpr_dispatch_ptr 0
		.amdhsa_user_sgpr_queue_ptr 0
		.amdhsa_user_sgpr_kernarg_segment_ptr 1
		.amdhsa_user_sgpr_dispatch_id 0
		.amdhsa_user_sgpr_private_segment_size 0
		.amdhsa_wavefront_size32 1
		.amdhsa_uses_dynamic_stack 0
		.amdhsa_enable_private_segment 0
		.amdhsa_system_sgpr_workgroup_id_x 1
		.amdhsa_system_sgpr_workgroup_id_y 0
		.amdhsa_system_sgpr_workgroup_id_z 0
		.amdhsa_system_sgpr_workgroup_info 0
		.amdhsa_system_vgpr_workitem_id 0
		.amdhsa_next_free_vgpr 39
		.amdhsa_next_free_sgpr 34
		.amdhsa_reserve_vcc 1
		.amdhsa_float_round_mode_32 0
		.amdhsa_float_round_mode_16_64 0
		.amdhsa_float_denorm_mode_32 3
		.amdhsa_float_denorm_mode_16_64 3
		.amdhsa_dx10_clamp 1
		.amdhsa_ieee_mode 1
		.amdhsa_fp16_overflow 0
		.amdhsa_workgroup_processor_mode 1
		.amdhsa_memory_ordered 1
		.amdhsa_forward_progress 0
		.amdhsa_shared_vgpr_count 0
		.amdhsa_exception_fp_ieee_invalid_op 0
		.amdhsa_exception_fp_denorm_src 0
		.amdhsa_exception_fp_ieee_div_zero 0
		.amdhsa_exception_fp_ieee_overflow 0
		.amdhsa_exception_fp_ieee_underflow 0
		.amdhsa_exception_fp_ieee_inexact 0
		.amdhsa_exception_int_div_zero 0
	.end_amdhsa_kernel
	.section	.text._ZN9rocsparseL21csr2bsr_65_inf_kernelILj32EfliEEv20rocsparse_direction_T2_S2_S2_S2_S2_S2_21rocsparse_index_base_PKT0_PKT1_PKS2_S3_PS4_PS7_PS2_SD_SE_SC_,"axG",@progbits,_ZN9rocsparseL21csr2bsr_65_inf_kernelILj32EfliEEv20rocsparse_direction_T2_S2_S2_S2_S2_S2_21rocsparse_index_base_PKT0_PKT1_PKS2_S3_PS4_PS7_PS2_SD_SE_SC_,comdat
.Lfunc_end53:
	.size	_ZN9rocsparseL21csr2bsr_65_inf_kernelILj32EfliEEv20rocsparse_direction_T2_S2_S2_S2_S2_S2_21rocsparse_index_base_PKT0_PKT1_PKS2_S3_PS4_PS7_PS2_SD_SE_SC_, .Lfunc_end53-_ZN9rocsparseL21csr2bsr_65_inf_kernelILj32EfliEEv20rocsparse_direction_T2_S2_S2_S2_S2_S2_21rocsparse_index_base_PKT0_PKT1_PKS2_S3_PS4_PS7_PS2_SD_SE_SC_
                                        ; -- End function
	.section	.AMDGPU.csdata,"",@progbits
; Kernel info:
; codeLenInByte = 2288
; NumSgprs: 36
; NumVgprs: 39
; ScratchSize: 0
; MemoryBound: 0
; FloatMode: 240
; IeeeMode: 1
; LDSByteSize: 0 bytes/workgroup (compile time only)
; SGPRBlocks: 4
; VGPRBlocks: 4
; NumSGPRsForWavesPerEU: 36
; NumVGPRsForWavesPerEU: 39
; Occupancy: 16
; WaveLimiterHint : 0
; COMPUTE_PGM_RSRC2:SCRATCH_EN: 0
; COMPUTE_PGM_RSRC2:USER_SGPR: 15
; COMPUTE_PGM_RSRC2:TRAP_HANDLER: 0
; COMPUTE_PGM_RSRC2:TGID_X_EN: 1
; COMPUTE_PGM_RSRC2:TGID_Y_EN: 0
; COMPUTE_PGM_RSRC2:TGID_Z_EN: 0
; COMPUTE_PGM_RSRC2:TIDIG_COMP_CNT: 0
	.section	.text._ZN9rocsparseL35csr2bsr_block_dim_equals_one_kernelILj256EfilEEvT2_S1_S1_S1_21rocsparse_index_base_PKT0_PKT1_PKS1_S2_PS3_PS6_PS1_,"axG",@progbits,_ZN9rocsparseL35csr2bsr_block_dim_equals_one_kernelILj256EfilEEvT2_S1_S1_S1_21rocsparse_index_base_PKT0_PKT1_PKS1_S2_PS3_PS6_PS1_,comdat
	.globl	_ZN9rocsparseL35csr2bsr_block_dim_equals_one_kernelILj256EfilEEvT2_S1_S1_S1_21rocsparse_index_base_PKT0_PKT1_PKS1_S2_PS3_PS6_PS1_ ; -- Begin function _ZN9rocsparseL35csr2bsr_block_dim_equals_one_kernelILj256EfilEEvT2_S1_S1_S1_21rocsparse_index_base_PKT0_PKT1_PKS1_S2_PS3_PS6_PS1_
	.p2align	8
	.type	_ZN9rocsparseL35csr2bsr_block_dim_equals_one_kernelILj256EfilEEvT2_S1_S1_S1_21rocsparse_index_base_PKT0_PKT1_PKS1_S2_PS3_PS6_PS1_,@function
_ZN9rocsparseL35csr2bsr_block_dim_equals_one_kernelILj256EfilEEvT2_S1_S1_S1_21rocsparse_index_base_PKT0_PKT1_PKS1_S2_PS3_PS6_PS1_: ; @_ZN9rocsparseL35csr2bsr_block_dim_equals_one_kernelILj256EfilEEvT2_S1_S1_S1_21rocsparse_index_base_PKT0_PKT1_PKS1_S2_PS3_PS6_PS1_
; %bb.0:
	s_clause 0x1
	s_load_b64 s[2:3], s[0:1], 0x0
	s_load_b128 s[4:7], s[0:1], 0x28
	v_lshl_or_b32 v0, s15, 8, v0
	s_waitcnt lgkmcnt(0)
	s_lshl_b64 s[2:3], s[2:3], 2
	s_delay_alu instid0(SALU_CYCLE_1)
	s_add_u32 s2, s6, s2
	s_addc_u32 s3, s7, s3
	s_clause 0x1
	s_load_b32 s2, s[2:3], 0x0
	s_load_b32 s3, s[6:7], 0x0
	s_waitcnt lgkmcnt(0)
	s_sub_i32 s10, s2, s3
	s_mov_b32 s2, exec_lo
	v_cmpx_gt_i32_e64 s10, v0
	s_cbranch_execz .LBB54_3
; %bb.1:
	s_clause 0x5
	s_load_b32 s11, s[0:1], 0x40
	s_load_b64 s[2:3], s[0:1], 0x48
	s_load_b32 s12, s[0:1], 0x20
	s_load_b32 s13, s[0:1], 0x60
	s_load_b64 s[6:7], s[0:1], 0x38
	s_load_b64 s[8:9], s[0:1], 0x58
	s_mov_b32 s1, 0
	s_waitcnt lgkmcnt(0)
	s_sub_u32 s11, s11, s12
	s_subb_u32 s12, 0, 0
	s_lshl_b32 s13, s13, 8
	s_set_inst_prefetch_distance 0x1
	.p2align	6
.LBB54_2:                               ; =>This Inner Loop Header: Depth=1
	v_ashrrev_i32_e32 v1, 31, v0
	s_delay_alu instid0(VALU_DEP_1) | instskip(SKIP_2) | instid1(VALU_DEP_3)
	v_lshlrev_b64 v[2:3], 3, v[0:1]
	v_lshlrev_b64 v[6:7], 2, v[0:1]
	v_add_nc_u32_e32 v0, s13, v0
	v_add_co_u32 v4, vcc_lo, s6, v2
	s_delay_alu instid0(VALU_DEP_4) | instskip(NEXT) | instid1(VALU_DEP_4)
	v_add_co_ci_u32_e32 v5, vcc_lo, s7, v3, vcc_lo
	v_add_co_u32 v8, vcc_lo, s4, v6
	v_add_co_ci_u32_e32 v9, vcc_lo, s5, v7, vcc_lo
	global_load_b64 v[4:5], v[4:5], off
	v_add_co_u32 v1, s0, s8, v2
	global_load_b32 v8, v[8:9], off
	v_add_co_ci_u32_e64 v2, s0, s9, v3, s0
	v_cmp_le_i32_e32 vcc_lo, s10, v0
	s_or_b32 s1, vcc_lo, s1
	s_waitcnt vmcnt(1)
	v_add_co_u32 v3, s0, s11, v4
	s_delay_alu instid0(VALU_DEP_1) | instskip(SKIP_1) | instid1(VALU_DEP_1)
	v_add_co_ci_u32_e64 v4, s0, s12, v5, s0
	v_add_co_u32 v5, s0, s2, v6
	v_add_co_ci_u32_e64 v6, s0, s3, v7, s0
	global_store_b64 v[1:2], v[3:4], off
	s_waitcnt vmcnt(0)
	global_store_b32 v[5:6], v8, off
	s_and_not1_b32 exec_lo, exec_lo, s1
	s_cbranch_execnz .LBB54_2
.LBB54_3:
	s_set_inst_prefetch_distance 0x2
	s_nop 0
	s_sendmsg sendmsg(MSG_DEALLOC_VGPRS)
	s_endpgm
	.section	.rodata,"a",@progbits
	.p2align	6, 0x0
	.amdhsa_kernel _ZN9rocsparseL35csr2bsr_block_dim_equals_one_kernelILj256EfilEEvT2_S1_S1_S1_21rocsparse_index_base_PKT0_PKT1_PKS1_S2_PS3_PS6_PS1_
		.amdhsa_group_segment_fixed_size 0
		.amdhsa_private_segment_fixed_size 0
		.amdhsa_kernarg_size 352
		.amdhsa_user_sgpr_count 15
		.amdhsa_user_sgpr_dispatch_ptr 0
		.amdhsa_user_sgpr_queue_ptr 0
		.amdhsa_user_sgpr_kernarg_segment_ptr 1
		.amdhsa_user_sgpr_dispatch_id 0
		.amdhsa_user_sgpr_private_segment_size 0
		.amdhsa_wavefront_size32 1
		.amdhsa_uses_dynamic_stack 0
		.amdhsa_enable_private_segment 0
		.amdhsa_system_sgpr_workgroup_id_x 1
		.amdhsa_system_sgpr_workgroup_id_y 0
		.amdhsa_system_sgpr_workgroup_id_z 0
		.amdhsa_system_sgpr_workgroup_info 0
		.amdhsa_system_vgpr_workitem_id 0
		.amdhsa_next_free_vgpr 10
		.amdhsa_next_free_sgpr 16
		.amdhsa_reserve_vcc 1
		.amdhsa_float_round_mode_32 0
		.amdhsa_float_round_mode_16_64 0
		.amdhsa_float_denorm_mode_32 3
		.amdhsa_float_denorm_mode_16_64 3
		.amdhsa_dx10_clamp 1
		.amdhsa_ieee_mode 1
		.amdhsa_fp16_overflow 0
		.amdhsa_workgroup_processor_mode 1
		.amdhsa_memory_ordered 1
		.amdhsa_forward_progress 0
		.amdhsa_shared_vgpr_count 0
		.amdhsa_exception_fp_ieee_invalid_op 0
		.amdhsa_exception_fp_denorm_src 0
		.amdhsa_exception_fp_ieee_div_zero 0
		.amdhsa_exception_fp_ieee_overflow 0
		.amdhsa_exception_fp_ieee_underflow 0
		.amdhsa_exception_fp_ieee_inexact 0
		.amdhsa_exception_int_div_zero 0
	.end_amdhsa_kernel
	.section	.text._ZN9rocsparseL35csr2bsr_block_dim_equals_one_kernelILj256EfilEEvT2_S1_S1_S1_21rocsparse_index_base_PKT0_PKT1_PKS1_S2_PS3_PS6_PS1_,"axG",@progbits,_ZN9rocsparseL35csr2bsr_block_dim_equals_one_kernelILj256EfilEEvT2_S1_S1_S1_21rocsparse_index_base_PKT0_PKT1_PKS1_S2_PS3_PS6_PS1_,comdat
.Lfunc_end54:
	.size	_ZN9rocsparseL35csr2bsr_block_dim_equals_one_kernelILj256EfilEEvT2_S1_S1_S1_21rocsparse_index_base_PKT0_PKT1_PKS1_S2_PS3_PS6_PS1_, .Lfunc_end54-_ZN9rocsparseL35csr2bsr_block_dim_equals_one_kernelILj256EfilEEvT2_S1_S1_S1_21rocsparse_index_base_PKT0_PKT1_PKS1_S2_PS3_PS6_PS1_
                                        ; -- End function
	.section	.AMDGPU.csdata,"",@progbits
; Kernel info:
; codeLenInByte = 348
; NumSgprs: 18
; NumVgprs: 10
; ScratchSize: 0
; MemoryBound: 0
; FloatMode: 240
; IeeeMode: 1
; LDSByteSize: 0 bytes/workgroup (compile time only)
; SGPRBlocks: 2
; VGPRBlocks: 1
; NumSGPRsForWavesPerEU: 18
; NumVGPRsForWavesPerEU: 10
; Occupancy: 16
; WaveLimiterHint : 0
; COMPUTE_PGM_RSRC2:SCRATCH_EN: 0
; COMPUTE_PGM_RSRC2:USER_SGPR: 15
; COMPUTE_PGM_RSRC2:TRAP_HANDLER: 0
; COMPUTE_PGM_RSRC2:TGID_X_EN: 1
; COMPUTE_PGM_RSRC2:TGID_Y_EN: 0
; COMPUTE_PGM_RSRC2:TGID_Z_EN: 0
; COMPUTE_PGM_RSRC2:TIDIG_COMP_CNT: 0
	.section	.text._ZN9rocsparseL42csr2bsr_wavefront_per_row_multipass_kernelILj256ELj16ELj4EfilEEv20rocsparse_direction_T4_S2_S2_S2_S2_21rocsparse_index_base_PKT2_PKT3_PKS2_S3_PS4_PS7_PS2_,"axG",@progbits,_ZN9rocsparseL42csr2bsr_wavefront_per_row_multipass_kernelILj256ELj16ELj4EfilEEv20rocsparse_direction_T4_S2_S2_S2_S2_21rocsparse_index_base_PKT2_PKT3_PKS2_S3_PS4_PS7_PS2_,comdat
	.globl	_ZN9rocsparseL42csr2bsr_wavefront_per_row_multipass_kernelILj256ELj16ELj4EfilEEv20rocsparse_direction_T4_S2_S2_S2_S2_21rocsparse_index_base_PKT2_PKT3_PKS2_S3_PS4_PS7_PS2_ ; -- Begin function _ZN9rocsparseL42csr2bsr_wavefront_per_row_multipass_kernelILj256ELj16ELj4EfilEEv20rocsparse_direction_T4_S2_S2_S2_S2_21rocsparse_index_base_PKT2_PKT3_PKS2_S3_PS4_PS7_PS2_
	.p2align	8
	.type	_ZN9rocsparseL42csr2bsr_wavefront_per_row_multipass_kernelILj256ELj16ELj4EfilEEv20rocsparse_direction_T4_S2_S2_S2_S2_21rocsparse_index_base_PKT2_PKT3_PKS2_S3_PS4_PS7_PS2_,@function
_ZN9rocsparseL42csr2bsr_wavefront_per_row_multipass_kernelILj256ELj16ELj4EfilEEv20rocsparse_direction_T4_S2_S2_S2_S2_21rocsparse_index_base_PKT2_PKT3_PKS2_S3_PS4_PS7_PS2_: ; @_ZN9rocsparseL42csr2bsr_wavefront_per_row_multipass_kernelILj256ELj16ELj4EfilEEv20rocsparse_direction_T4_S2_S2_S2_S2_21rocsparse_index_base_PKT2_PKT3_PKS2_S3_PS4_PS7_PS2_
; %bb.0:
	s_load_b64 s[8:9], s[0:1], 0x28
	v_lshrrev_b32_e32 v15, 4, v0
	s_mov_b32 s10, s15
	s_ashr_i32 s11, s15, 31
	s_clause 0x1
	s_load_b64 s[14:15], s[0:1], 0x8
	s_load_b128 s[4:7], s[0:1], 0x18
	s_lshl_b64 s[2:3], s[10:11], 4
	v_mov_b32_e32 v2, 0
	v_or_b32_e32 v5, s2, v15
	v_bfe_u32 v1, v0, 2, 2
	s_clause 0x1
	s_load_b32 s16, s[0:1], 0x30
	s_load_b64 s[12:13], s[0:1], 0x40
	v_mov_b32_e32 v10, v2
	s_waitcnt lgkmcnt(0)
	v_mul_lo_u32 v6, v5, s9
	v_mad_u64_u32 v[3:4], null, v5, s8, v[1:2]
	s_mul_i32 s2, s3, s8
	s_delay_alu instid0(VALU_DEP_1) | instid1(SALU_CYCLE_1)
	v_add3_u32 v4, s2, v4, v6
	v_cmp_gt_i64_e64 s2, s[8:9], v[1:2]
	s_delay_alu instid0(VALU_DEP_2) | instskip(NEXT) | instid1(VALU_DEP_2)
	v_cmp_gt_i64_e32 vcc_lo, s[14:15], v[3:4]
	s_and_b32 s3, s2, vcc_lo
	s_delay_alu instid0(SALU_CYCLE_1)
	s_and_saveexec_b32 s11, s3
	s_cbranch_execz .LBB55_2
; %bb.1:
	v_lshlrev_b64 v[5:6], 2, v[3:4]
	s_delay_alu instid0(VALU_DEP_1) | instskip(NEXT) | instid1(VALU_DEP_2)
	v_add_co_u32 v5, vcc_lo, s12, v5
	v_add_co_ci_u32_e32 v6, vcc_lo, s13, v6, vcc_lo
	global_load_b32 v5, v[5:6], off
	s_waitcnt vmcnt(0)
	v_subrev_nc_u32_e32 v10, s16, v5
.LBB55_2:
	s_or_b32 exec_lo, exec_lo, s11
	s_and_saveexec_b32 s11, s3
	s_cbranch_execz .LBB55_4
; %bb.3:
	v_lshlrev_b64 v[2:3], 2, v[3:4]
	s_delay_alu instid0(VALU_DEP_1) | instskip(NEXT) | instid1(VALU_DEP_2)
	v_add_co_u32 v2, vcc_lo, s12, v2
	v_add_co_ci_u32_e32 v3, vcc_lo, s13, v3, vcc_lo
	global_load_b32 v2, v[2:3], off offset:4
	s_waitcnt vmcnt(0)
	v_subrev_nc_u32_e32 v2, s16, v2
.LBB55_4:
	s_or_b32 exec_lo, exec_lo, s11
	s_load_b32 s17, s[0:1], 0x50
	v_mov_b32_e32 v5, 0
	v_lshl_or_b32 v4, s10, 4, v15
	s_mov_b32 s3, exec_lo
	s_delay_alu instid0(VALU_DEP_2) | instskip(NEXT) | instid1(VALU_DEP_2)
	v_mov_b32_e32 v3, v5
	v_cmpx_gt_i64_e64 s[4:5], v[4:5]
	s_cbranch_execz .LBB55_6
; %bb.5:
	s_load_b64 s[4:5], s[0:1], 0x60
	v_lshlrev_b64 v[3:4], 2, v[4:5]
	s_waitcnt lgkmcnt(0)
	s_delay_alu instid0(VALU_DEP_1) | instskip(NEXT) | instid1(VALU_DEP_2)
	v_add_co_u32 v3, vcc_lo, s4, v3
	v_add_co_ci_u32_e32 v4, vcc_lo, s5, v4, vcc_lo
	global_load_b32 v3, v[3:4], off
	s_waitcnt vmcnt(0)
	v_subrev_nc_u32_e32 v3, s17, v3
.LBB55_6:
	s_or_b32 exec_lo, exec_lo, s3
	v_cmp_lt_i64_e64 s3, s[6:7], 1
	s_delay_alu instid0(VALU_DEP_1)
	s_and_b32 vcc_lo, exec_lo, s3
	s_cbranch_vccnz .LBB55_25
; %bb.7:
	v_lshlrev_b32_e32 v14, 2, v1
	v_mbcnt_lo_u32_b32 v21, -1, 0
	v_and_b32_e32 v5, 3, v0
	v_mad_u64_u32 v[11:12], null, v1, s8, 0
	s_delay_alu instid0(VALU_DEP_4) | instskip(NEXT) | instid1(VALU_DEP_4)
	v_and_or_b32 v16, 0x3f0, v0, v14
	v_xor_b32_e32 v0, 2, v21
	s_delay_alu instid0(VALU_DEP_4)
	v_mad_u64_u32 v[7:8], null, v5, s8, 0
	s_clause 0x4
	s_load_b64 s[4:5], s[0:1], 0x68
	s_load_b64 s[14:15], s[0:1], 0x58
	;; [unrolled: 1-line block ×4, first 2 shown]
	s_load_b32 s0, s[0:1], 0x0
	v_cmp_gt_i32_e32 vcc_lo, 32, v0
	s_mul_i32 s3, s8, s9
	v_mov_b32_e32 v26, 1
	s_mov_b32 s1, 0
	s_mul_i32 s19, s8, s8
	v_cndmask_b32_e32 v6, v21, v0, vcc_lo
	v_mov_b32_e32 v0, v8
	v_or_b32_e32 v4, v16, v5
	v_mov_b32_e32 v27, 0
	s_delay_alu instid0(VALU_DEP_3) | instskip(SKIP_1) | instid1(VALU_DEP_4)
	v_mad_u64_u32 v[8:9], null, v5, s9, v[0:1]
	v_lshlrev_b32_e32 v9, 2, v21
	v_lshlrev_b32_e32 v17, 2, v4
	v_xor_b32_e32 v4, 1, v21
	v_lshlrev_b32_e32 v18, 2, v6
	s_delay_alu instid0(VALU_DEP_4) | instskip(SKIP_1) | instid1(VALU_DEP_4)
	v_or_b32_e32 v20, 12, v9
	v_lshlrev_b64 v[7:8], 2, v[7:8]
	v_cmp_gt_i32_e32 vcc_lo, 32, v4
	s_waitcnt lgkmcnt(0)
	s_cmp_eq_u32 s0, 0
	s_mul_hi_u32 s0, s8, s8
	v_or_b32_e32 v23, 60, v9
	v_cndmask_b32_e32 v6, v21, v4, vcc_lo
	v_mov_b32_e32 v4, v12
	s_delay_alu instid0(VALU_DEP_1) | instskip(SKIP_2) | instid1(VALU_DEP_2)
	v_mad_u64_u32 v[12:13], null, v1, s9, v[4:5]
	v_add_co_u32 v1, vcc_lo, s14, v7
	v_add_co_ci_u32_e32 v4, vcc_lo, s15, v8, vcc_lo
	v_add_co_u32 v1, vcc_lo, v1, v14
	s_delay_alu instid0(VALU_DEP_4) | instskip(SKIP_1) | instid1(VALU_DEP_4)
	v_lshlrev_b64 v[7:8], 2, v[11:12]
	v_lshlrev_b32_e32 v11, 2, v5
	v_add_co_ci_u32_e32 v4, vcc_lo, 0, v4, vcc_lo
	v_xor_b32_e32 v12, 8, v21
	v_dual_mov_b32 v0, 0 :: v_dual_lshlrev_b32 v19, 2, v6
	v_add_co_u32 v7, vcc_lo, s14, v7
	v_add_co_ci_u32_e32 v8, vcc_lo, s15, v8, vcc_lo
	s_delay_alu instid0(VALU_DEP_2) | instskip(NEXT) | instid1(VALU_DEP_2)
	v_add_co_u32 v7, vcc_lo, v7, v11
	v_add_co_ci_u32_e32 v8, vcc_lo, 0, v8, vcc_lo
	v_xor_b32_e32 v11, 4, v21
	s_cselect_b32 vcc_lo, -1, 0
	s_add_i32 s14, s0, s3
	v_cmp_gt_i32_e64 s0, 32, v12
	v_cndmask_b32_e32 v24, v4, v8, vcc_lo
	v_dual_mov_b32 v8, 0 :: v_dual_cndmask_b32 v25, v1, v7
	v_mov_b32_e32 v9, 0
	s_delay_alu instid0(VALU_DEP_4) | instskip(SKIP_4) | instid1(VALU_DEP_2)
	v_cndmask_b32_e64 v12, v21, v12, s0
	v_cmp_gt_i32_e64 s0, 32, v11
	v_mov_b32_e32 v6, v0
	s_add_i32 s18, s14, s3
	s_sub_i32 s21, 0, s8
	v_cndmask_b32_e64 v11, v21, v11, s0
	v_lshlrev_b32_e32 v21, 2, v12
	v_cmp_gt_u64_e64 s0, s[8:9], v[5:6]
	s_delay_alu instid0(VALU_DEP_3) | instskip(NEXT) | instid1(VALU_DEP_2)
	v_lshlrev_b32_e32 v22, 2, v11
	s_and_b32 s20, s2, s0
	s_ashr_i32 s2, s9, 31
	s_branch .LBB55_10
.LBB55_8:                               ;   in Loop: Header=BB55_10 Depth=1
	s_or_b32 exec_lo, exec_lo, s3
	v_mov_b32_e32 v1, 1
.LBB55_9:                               ;   in Loop: Header=BB55_10 Depth=1
	s_or_b32 exec_lo, exec_lo, s0
	ds_bpermute_b32 v8, v21, v6
	ds_bpermute_b32 v9, v21, v7
	s_waitcnt lgkmcnt(0)
	s_waitcnt_vscnt null, 0x0
	buffer_gl0_inv
	buffer_gl0_inv
	v_add_nc_u32_e32 v3, v1, v3
	v_cmp_lt_i64_e32 vcc_lo, v[8:9], v[6:7]
	v_dual_cndmask_b32 v7, v7, v9 :: v_dual_cndmask_b32 v6, v6, v8
	ds_bpermute_b32 v9, v22, v7
	ds_bpermute_b32 v8, v22, v6
	s_waitcnt lgkmcnt(0)
	v_cmp_lt_i64_e32 vcc_lo, v[8:9], v[6:7]
	v_dual_cndmask_b32 v7, v7, v9 :: v_dual_cndmask_b32 v6, v6, v8
	ds_bpermute_b32 v9, v18, v7
	ds_bpermute_b32 v8, v18, v6
	s_waitcnt lgkmcnt(0)
	;; [unrolled: 5-line block ×3, first 2 shown]
	v_cmp_lt_i64_e32 vcc_lo, v[8:9], v[6:7]
	v_cndmask_b32_e32 v4, v6, v8, vcc_lo
	ds_bpermute_b32 v8, v23, v4
	s_waitcnt lgkmcnt(0)
	v_ashrrev_i32_e32 v9, 31, v8
	v_mov_b32_e32 v27, v8
	s_delay_alu instid0(VALU_DEP_2) | instskip(SKIP_1) | instid1(SALU_CYCLE_1)
	v_cmp_le_i64_e32 vcc_lo, s[6:7], v[8:9]
	s_or_b32 s1, vcc_lo, s1
	s_and_not1_b32 exec_lo, exec_lo, s1
	s_cbranch_execz .LBB55_25
.LBB55_10:                              ; =>This Loop Header: Depth=1
                                        ;     Child Loop BB55_13 Depth 2
	v_dual_mov_b32 v6, s6 :: v_dual_mov_b32 v1, v2
	v_dual_mov_b32 v7, s7 :: v_dual_add_nc_u32 v10, v10, v5
	s_mov_b32 s22, exec_lo
	ds_store_b8 v15, v0 offset:1024
	ds_store_b32 v17, v0
	s_waitcnt lgkmcnt(0)
	buffer_gl0_inv
	v_cmpx_lt_i32_e64 v10, v2
	s_cbranch_execz .LBB55_22
; %bb.11:                               ;   in Loop: Header=BB55_10 Depth=1
	v_mad_u64_u32 v[12:13], null, v8, s8, 0
	v_dual_mov_b32 v6, s6 :: v_dual_mov_b32 v7, s7
	v_mov_b32_e32 v4, v2
	s_mov_b32 s23, 0
	s_branch .LBB55_13
.LBB55_12:                              ;   in Loop: Header=BB55_13 Depth=2
	s_or_b32 exec_lo, exec_lo, s3
	v_add_nc_u32_e32 v10, 4, v10
	s_xor_b32 s3, vcc_lo, -1
	v_mov_b32_e32 v4, v1
	s_delay_alu instid0(VALU_DEP_2) | instskip(NEXT) | instid1(VALU_DEP_1)
	v_cmp_ge_i32_e64 s0, v10, v2
	s_or_b32 s0, s3, s0
	s_delay_alu instid0(SALU_CYCLE_1) | instskip(NEXT) | instid1(SALU_CYCLE_1)
	s_and_b32 s0, exec_lo, s0
	s_or_b32 s23, s0, s23
	s_delay_alu instid0(SALU_CYCLE_1)
	s_and_not1_b32 exec_lo, exec_lo, s23
	s_cbranch_execz .LBB55_21
.LBB55_13:                              ;   Parent Loop BB55_10 Depth=1
                                        ; =>  This Inner Loop Header: Depth=2
	v_ashrrev_i32_e32 v11, 31, v10
	s_mov_b32 s0, exec_lo
	s_delay_alu instid0(VALU_DEP_1) | instskip(NEXT) | instid1(VALU_DEP_1)
	v_lshlrev_b64 v[13:14], 3, v[10:11]
	v_add_co_u32 v13, vcc_lo, s10, v13
	s_delay_alu instid0(VALU_DEP_2) | instskip(SKIP_4) | instid1(VALU_DEP_1)
	v_add_co_ci_u32_e32 v14, vcc_lo, s11, v14, vcc_lo
	global_load_b64 v[13:14], v[13:14], off
	s_waitcnt vmcnt(0)
	v_sub_co_u32 v28, vcc_lo, v13, s16
	v_subrev_co_ci_u32_e32 v29, vcc_lo, 0, v14, vcc_lo
                                        ; implicit-def: $vgpr13_vgpr14
	v_or_b32_e32 v1, s9, v29
	s_delay_alu instid0(VALU_DEP_1)
	v_cmpx_ne_u64_e32 0, v[0:1]
	s_xor_b32 s24, exec_lo, s0
	s_cbranch_execz .LBB55_15
; %bb.14:                               ;   in Loop: Header=BB55_13 Depth=2
	s_add_u32 s14, s8, s2
	s_mov_b32 s3, s2
	s_addc_u32 s15, s9, s2
	s_delay_alu instid0(SALU_CYCLE_1) | instskip(NEXT) | instid1(SALU_CYCLE_1)
	s_xor_b64 s[14:15], s[14:15], s[2:3]
	v_cvt_f32_u32_e32 v1, s14
	v_cvt_f32_u32_e32 v13, s15
	s_sub_u32 s0, 0, s14
	s_subb_u32 s3, 0, s15
	s_delay_alu instid0(VALU_DEP_1) | instskip(NEXT) | instid1(VALU_DEP_1)
	v_fmac_f32_e32 v1, 0x4f800000, v13
	v_rcp_f32_e32 v1, v1
	s_waitcnt_depctr 0xfff
	v_mul_f32_e32 v1, 0x5f7ffffc, v1
	s_delay_alu instid0(VALU_DEP_1) | instskip(NEXT) | instid1(VALU_DEP_1)
	v_mul_f32_e32 v13, 0x2f800000, v1
	v_trunc_f32_e32 v13, v13
	s_delay_alu instid0(VALU_DEP_1) | instskip(SKIP_1) | instid1(VALU_DEP_2)
	v_fmac_f32_e32 v1, 0xcf800000, v13
	v_cvt_u32_f32_e32 v13, v13
	v_cvt_u32_f32_e32 v1, v1
	s_delay_alu instid0(VALU_DEP_2) | instskip(NEXT) | instid1(VALU_DEP_2)
	v_mul_lo_u32 v14, s0, v13
	v_mul_hi_u32 v30, s0, v1
	v_mul_lo_u32 v31, s3, v1
	s_delay_alu instid0(VALU_DEP_2) | instskip(SKIP_1) | instid1(VALU_DEP_2)
	v_add_nc_u32_e32 v14, v30, v14
	v_mul_lo_u32 v30, s0, v1
	v_add_nc_u32_e32 v14, v14, v31
	s_delay_alu instid0(VALU_DEP_2) | instskip(NEXT) | instid1(VALU_DEP_2)
	v_mul_hi_u32 v31, v1, v30
	v_mul_lo_u32 v32, v1, v14
	v_mul_hi_u32 v33, v1, v14
	v_mul_hi_u32 v34, v13, v30
	v_mul_lo_u32 v30, v13, v30
	v_mul_hi_u32 v35, v13, v14
	v_mul_lo_u32 v14, v13, v14
	v_add_co_u32 v31, vcc_lo, v31, v32
	v_add_co_ci_u32_e32 v32, vcc_lo, 0, v33, vcc_lo
	s_delay_alu instid0(VALU_DEP_2) | instskip(NEXT) | instid1(VALU_DEP_2)
	v_add_co_u32 v30, vcc_lo, v31, v30
	v_add_co_ci_u32_e32 v30, vcc_lo, v32, v34, vcc_lo
	v_add_co_ci_u32_e32 v31, vcc_lo, 0, v35, vcc_lo
	v_ashrrev_i32_e32 v34, 31, v29
	s_delay_alu instid0(VALU_DEP_3) | instskip(NEXT) | instid1(VALU_DEP_3)
	v_add_co_u32 v14, vcc_lo, v30, v14
	v_add_co_ci_u32_e32 v30, vcc_lo, 0, v31, vcc_lo
	s_delay_alu instid0(VALU_DEP_2) | instskip(NEXT) | instid1(VALU_DEP_2)
	v_add_co_u32 v1, vcc_lo, v1, v14
	v_add_co_ci_u32_e32 v13, vcc_lo, v13, v30, vcc_lo
	s_delay_alu instid0(VALU_DEP_2) | instskip(SKIP_1) | instid1(VALU_DEP_3)
	v_mul_hi_u32 v14, s0, v1
	v_mul_lo_u32 v31, s3, v1
	v_mul_lo_u32 v30, s0, v13
	s_delay_alu instid0(VALU_DEP_1) | instskip(SKIP_1) | instid1(VALU_DEP_2)
	v_add_nc_u32_e32 v14, v14, v30
	v_mul_lo_u32 v30, s0, v1
	v_add_nc_u32_e32 v14, v14, v31
	s_delay_alu instid0(VALU_DEP_2) | instskip(NEXT) | instid1(VALU_DEP_2)
	v_mul_hi_u32 v31, v1, v30
	v_mul_lo_u32 v32, v1, v14
	v_mul_hi_u32 v33, v1, v14
	v_mul_hi_u32 v35, v13, v30
	v_mul_lo_u32 v30, v13, v30
	v_mul_hi_u32 v36, v13, v14
	v_mul_lo_u32 v14, v13, v14
	v_add_co_u32 v31, vcc_lo, v31, v32
	v_add_co_ci_u32_e32 v32, vcc_lo, 0, v33, vcc_lo
	s_delay_alu instid0(VALU_DEP_2) | instskip(NEXT) | instid1(VALU_DEP_2)
	v_add_co_u32 v30, vcc_lo, v31, v30
	v_add_co_ci_u32_e32 v30, vcc_lo, v32, v35, vcc_lo
	v_add_co_ci_u32_e32 v31, vcc_lo, 0, v36, vcc_lo
	v_add_co_u32 v32, vcc_lo, v28, v34
	v_add_co_ci_u32_e32 v29, vcc_lo, v29, v34, vcc_lo
	s_delay_alu instid0(VALU_DEP_4) | instskip(NEXT) | instid1(VALU_DEP_4)
	v_add_co_u32 v14, vcc_lo, v30, v14
	v_add_co_ci_u32_e32 v30, vcc_lo, 0, v31, vcc_lo
	s_delay_alu instid0(VALU_DEP_4) | instskip(NEXT) | instid1(VALU_DEP_3)
	v_xor_b32_e32 v33, v32, v34
	v_add_co_u32 v1, vcc_lo, v1, v14
	s_delay_alu instid0(VALU_DEP_3) | instskip(SKIP_1) | instid1(VALU_DEP_3)
	v_add_co_ci_u32_e32 v35, vcc_lo, v13, v30, vcc_lo
	v_xor_b32_e32 v36, v29, v34
	v_mul_hi_u32 v37, v33, v1
	s_delay_alu instid0(VALU_DEP_3) | instskip(NEXT) | instid1(VALU_DEP_3)
	v_mad_u64_u32 v[13:14], null, v33, v35, 0
	v_mad_u64_u32 v[29:30], null, v36, v1, 0
	;; [unrolled: 1-line block ×3, first 2 shown]
	s_delay_alu instid0(VALU_DEP_3) | instskip(NEXT) | instid1(VALU_DEP_4)
	v_add_co_u32 v1, vcc_lo, v37, v13
	v_add_co_ci_u32_e32 v13, vcc_lo, 0, v14, vcc_lo
	s_delay_alu instid0(VALU_DEP_2) | instskip(NEXT) | instid1(VALU_DEP_2)
	v_add_co_u32 v1, vcc_lo, v1, v29
	v_add_co_ci_u32_e32 v1, vcc_lo, v13, v30, vcc_lo
	v_add_co_ci_u32_e32 v13, vcc_lo, 0, v32, vcc_lo
	s_delay_alu instid0(VALU_DEP_2) | instskip(NEXT) | instid1(VALU_DEP_2)
	v_add_co_u32 v1, vcc_lo, v1, v31
	v_add_co_ci_u32_e32 v29, vcc_lo, 0, v13, vcc_lo
	s_delay_alu instid0(VALU_DEP_2) | instskip(SKIP_1) | instid1(VALU_DEP_3)
	v_mul_lo_u32 v30, s15, v1
	v_mad_u64_u32 v[13:14], null, s14, v1, 0
	v_mul_lo_u32 v31, s14, v29
	s_delay_alu instid0(VALU_DEP_2) | instskip(NEXT) | instid1(VALU_DEP_2)
	v_sub_co_u32 v13, vcc_lo, v33, v13
	v_add3_u32 v14, v14, v31, v30
	s_delay_alu instid0(VALU_DEP_1) | instskip(NEXT) | instid1(VALU_DEP_1)
	v_sub_nc_u32_e32 v30, v36, v14
	v_subrev_co_ci_u32_e64 v30, s0, s15, v30, vcc_lo
	v_add_co_u32 v31, s0, v1, 2
	s_delay_alu instid0(VALU_DEP_1) | instskip(SKIP_3) | instid1(VALU_DEP_3)
	v_add_co_ci_u32_e64 v32, s0, 0, v29, s0
	v_sub_co_u32 v33, s0, v13, s14
	v_sub_co_ci_u32_e32 v14, vcc_lo, v36, v14, vcc_lo
	v_subrev_co_ci_u32_e64 v30, s0, 0, v30, s0
	v_cmp_le_u32_e32 vcc_lo, s14, v33
	s_delay_alu instid0(VALU_DEP_3) | instskip(SKIP_1) | instid1(VALU_DEP_4)
	v_cmp_eq_u32_e64 s0, s15, v14
	v_cndmask_b32_e64 v33, 0, -1, vcc_lo
	v_cmp_le_u32_e32 vcc_lo, s15, v30
	v_cndmask_b32_e64 v35, 0, -1, vcc_lo
	v_cmp_le_u32_e32 vcc_lo, s14, v13
	;; [unrolled: 2-line block ×3, first 2 shown]
	v_cndmask_b32_e64 v36, 0, -1, vcc_lo
	v_cmp_eq_u32_e32 vcc_lo, s15, v30
	s_delay_alu instid0(VALU_DEP_2) | instskip(SKIP_3) | instid1(VALU_DEP_3)
	v_cndmask_b32_e64 v13, v36, v13, s0
	v_cndmask_b32_e32 v30, v35, v33, vcc_lo
	v_add_co_u32 v33, vcc_lo, v1, 1
	v_add_co_ci_u32_e32 v35, vcc_lo, 0, v29, vcc_lo
	v_cmp_ne_u32_e32 vcc_lo, 0, v30
	s_delay_alu instid0(VALU_DEP_3) | instskip(NEXT) | instid1(VALU_DEP_3)
	v_cndmask_b32_e32 v30, v33, v31, vcc_lo
	v_cndmask_b32_e32 v14, v35, v32, vcc_lo
	v_cmp_ne_u32_e32 vcc_lo, 0, v13
	v_xor_b32_e32 v31, s2, v34
	s_delay_alu instid0(VALU_DEP_4) | instskip(NEXT) | instid1(VALU_DEP_4)
	v_cndmask_b32_e32 v1, v1, v30, vcc_lo
	v_cndmask_b32_e32 v13, v29, v14, vcc_lo
	s_delay_alu instid0(VALU_DEP_2) | instskip(NEXT) | instid1(VALU_DEP_2)
	v_xor_b32_e32 v1, v1, v31
	v_xor_b32_e32 v14, v13, v31
	s_delay_alu instid0(VALU_DEP_2) | instskip(NEXT) | instid1(VALU_DEP_2)
	v_sub_co_u32 v13, vcc_lo, v1, v31
	v_sub_co_ci_u32_e32 v14, vcc_lo, v14, v31, vcc_lo
.LBB55_15:                              ;   in Loop: Header=BB55_13 Depth=2
	s_and_not1_saveexec_b32 s0, s24
	s_cbranch_execz .LBB55_17
; %bb.16:                               ;   in Loop: Header=BB55_13 Depth=2
	v_cvt_f32_u32_e32 v1, s8
	s_delay_alu instid0(VALU_DEP_1) | instskip(SKIP_2) | instid1(VALU_DEP_1)
	v_rcp_iflag_f32_e32 v1, v1
	s_waitcnt_depctr 0xfff
	v_mul_f32_e32 v1, 0x4f7ffffe, v1
	v_cvt_u32_f32_e32 v1, v1
	s_delay_alu instid0(VALU_DEP_1) | instskip(NEXT) | instid1(VALU_DEP_1)
	v_mul_lo_u32 v13, s21, v1
	v_mul_hi_u32 v13, v1, v13
	s_delay_alu instid0(VALU_DEP_1) | instskip(NEXT) | instid1(VALU_DEP_1)
	v_add_nc_u32_e32 v1, v1, v13
	v_mul_hi_u32 v1, v28, v1
	s_delay_alu instid0(VALU_DEP_1) | instskip(SKIP_1) | instid1(VALU_DEP_2)
	v_mul_lo_u32 v13, v1, s8
	v_add_nc_u32_e32 v14, 1, v1
	v_sub_nc_u32_e32 v13, v28, v13
	s_delay_alu instid0(VALU_DEP_1) | instskip(SKIP_1) | instid1(VALU_DEP_2)
	v_subrev_nc_u32_e32 v29, s8, v13
	v_cmp_le_u32_e32 vcc_lo, s8, v13
	v_cndmask_b32_e32 v13, v13, v29, vcc_lo
	v_cndmask_b32_e32 v1, v1, v14, vcc_lo
	s_delay_alu instid0(VALU_DEP_2) | instskip(NEXT) | instid1(VALU_DEP_2)
	v_cmp_le_u32_e32 vcc_lo, s8, v13
	v_add_nc_u32_e32 v14, 1, v1
	s_delay_alu instid0(VALU_DEP_1)
	v_dual_cndmask_b32 v13, v1, v14 :: v_dual_mov_b32 v14, v0
.LBB55_17:                              ;   in Loop: Header=BB55_13 Depth=2
	s_or_b32 exec_lo, exec_lo, s0
	s_delay_alu instid0(VALU_DEP_1)
	v_cmp_eq_u64_e32 vcc_lo, v[13:14], v[8:9]
	s_mov_b32 s3, exec_lo
	v_cmpx_ne_u64_e64 v[13:14], v[8:9]
	s_xor_b32 s3, exec_lo, s3
; %bb.18:                               ;   in Loop: Header=BB55_13 Depth=2
	v_cmp_lt_i64_e64 s0, v[13:14], v[6:7]
                                        ; implicit-def: $vgpr28
                                        ; implicit-def: $vgpr4
	s_delay_alu instid0(VALU_DEP_1)
	v_cndmask_b32_e64 v7, v7, v14, s0
	v_cndmask_b32_e64 v6, v6, v13, s0
; %bb.19:                               ;   in Loop: Header=BB55_13 Depth=2
	s_or_saveexec_b32 s3, s3
	v_mov_b32_e32 v1, v10
	s_xor_b32 exec_lo, exec_lo, s3
	s_cbranch_execz .LBB55_12
; %bb.20:                               ;   in Loop: Header=BB55_13 Depth=2
	v_lshlrev_b64 v[13:14], 2, v[10:11]
	v_sub_nc_u32_e32 v1, v28, v12
	s_delay_alu instid0(VALU_DEP_2) | instskip(NEXT) | instid1(VALU_DEP_1)
	v_add_co_u32 v13, s0, s12, v13
	v_add_co_ci_u32_e64 v14, s0, s13, v14, s0
	global_load_b32 v11, v[13:14], off
	v_add_lshl_u32 v13, v16, v1, 2
	v_mov_b32_e32 v1, v4
	ds_store_b8 v15, v26 offset:1024
	s_waitcnt vmcnt(0)
	ds_store_b32 v13, v11
	s_branch .LBB55_12
.LBB55_21:                              ;   in Loop: Header=BB55_10 Depth=1
	s_or_b32 exec_lo, exec_lo, s23
.LBB55_22:                              ;   in Loop: Header=BB55_10 Depth=1
	s_delay_alu instid0(SALU_CYCLE_1)
	s_or_b32 exec_lo, exec_lo, s22
	ds_bpermute_b32 v4, v18, v1
	s_waitcnt lgkmcnt(0)
	buffer_gl0_inv
	ds_load_u8 v8, v15 offset:1024
	v_min_i32_e32 v1, v4, v1
	ds_bpermute_b32 v4, v19, v1
	s_waitcnt lgkmcnt(0)
	v_min_i32_e32 v1, v4, v1
	ds_bpermute_b32 v10, v20, v1
	v_and_b32_e32 v1, 1, v8
	s_delay_alu instid0(VALU_DEP_1)
	v_cmp_eq_u32_e32 vcc_lo, 1, v1
	v_mov_b32_e32 v1, 0
	s_and_saveexec_b32 s0, vcc_lo
	s_cbranch_execz .LBB55_9
; %bb.23:                               ;   in Loop: Header=BB55_10 Depth=1
	v_ashrrev_i32_e32 v4, 31, v3
	v_add_nc_u32_e32 v8, s17, v27
	s_delay_alu instid0(VALU_DEP_2) | instskip(NEXT) | instid1(VALU_DEP_2)
	v_lshlrev_b64 v[11:12], 3, v[3:4]
	v_ashrrev_i32_e32 v9, 31, v8
	s_delay_alu instid0(VALU_DEP_2) | instskip(NEXT) | instid1(VALU_DEP_3)
	v_add_co_u32 v11, vcc_lo, s4, v11
	v_add_co_ci_u32_e32 v12, vcc_lo, s5, v12, vcc_lo
	global_store_b64 v[11:12], v[8:9], off
	s_and_saveexec_b32 s3, s20
	s_cbranch_execz .LBB55_8
; %bb.24:                               ;   in Loop: Header=BB55_10 Depth=1
	v_mul_lo_u32 v1, s18, v3
	v_mul_lo_u32 v4, s19, v4
	v_mad_u64_u32 v[8:9], null, s19, v3, 0
	ds_load_b32 v11, v17
	v_add3_u32 v9, v9, v4, v1
	s_delay_alu instid0(VALU_DEP_1) | instskip(NEXT) | instid1(VALU_DEP_1)
	v_lshlrev_b64 v[8:9], 2, v[8:9]
	v_add_co_u32 v8, vcc_lo, v25, v8
	s_delay_alu instid0(VALU_DEP_2)
	v_add_co_ci_u32_e32 v9, vcc_lo, v24, v9, vcc_lo
	s_waitcnt lgkmcnt(0)
	global_store_b32 v[8:9], v11, off
	s_branch .LBB55_8
.LBB55_25:
	s_endpgm
	.section	.rodata,"a",@progbits
	.p2align	6, 0x0
	.amdhsa_kernel _ZN9rocsparseL42csr2bsr_wavefront_per_row_multipass_kernelILj256ELj16ELj4EfilEEv20rocsparse_direction_T4_S2_S2_S2_S2_21rocsparse_index_base_PKT2_PKT3_PKS2_S3_PS4_PS7_PS2_
		.amdhsa_group_segment_fixed_size 1040
		.amdhsa_private_segment_fixed_size 0
		.amdhsa_kernarg_size 112
		.amdhsa_user_sgpr_count 15
		.amdhsa_user_sgpr_dispatch_ptr 0
		.amdhsa_user_sgpr_queue_ptr 0
		.amdhsa_user_sgpr_kernarg_segment_ptr 1
		.amdhsa_user_sgpr_dispatch_id 0
		.amdhsa_user_sgpr_private_segment_size 0
		.amdhsa_wavefront_size32 1
		.amdhsa_uses_dynamic_stack 0
		.amdhsa_enable_private_segment 0
		.amdhsa_system_sgpr_workgroup_id_x 1
		.amdhsa_system_sgpr_workgroup_id_y 0
		.amdhsa_system_sgpr_workgroup_id_z 0
		.amdhsa_system_sgpr_workgroup_info 0
		.amdhsa_system_vgpr_workitem_id 0
		.amdhsa_next_free_vgpr 38
		.amdhsa_next_free_sgpr 25
		.amdhsa_reserve_vcc 1
		.amdhsa_float_round_mode_32 0
		.amdhsa_float_round_mode_16_64 0
		.amdhsa_float_denorm_mode_32 3
		.amdhsa_float_denorm_mode_16_64 3
		.amdhsa_dx10_clamp 1
		.amdhsa_ieee_mode 1
		.amdhsa_fp16_overflow 0
		.amdhsa_workgroup_processor_mode 1
		.amdhsa_memory_ordered 1
		.amdhsa_forward_progress 0
		.amdhsa_shared_vgpr_count 0
		.amdhsa_exception_fp_ieee_invalid_op 0
		.amdhsa_exception_fp_denorm_src 0
		.amdhsa_exception_fp_ieee_div_zero 0
		.amdhsa_exception_fp_ieee_overflow 0
		.amdhsa_exception_fp_ieee_underflow 0
		.amdhsa_exception_fp_ieee_inexact 0
		.amdhsa_exception_int_div_zero 0
	.end_amdhsa_kernel
	.section	.text._ZN9rocsparseL42csr2bsr_wavefront_per_row_multipass_kernelILj256ELj16ELj4EfilEEv20rocsparse_direction_T4_S2_S2_S2_S2_21rocsparse_index_base_PKT2_PKT3_PKS2_S3_PS4_PS7_PS2_,"axG",@progbits,_ZN9rocsparseL42csr2bsr_wavefront_per_row_multipass_kernelILj256ELj16ELj4EfilEEv20rocsparse_direction_T4_S2_S2_S2_S2_21rocsparse_index_base_PKT2_PKT3_PKS2_S3_PS4_PS7_PS2_,comdat
.Lfunc_end55:
	.size	_ZN9rocsparseL42csr2bsr_wavefront_per_row_multipass_kernelILj256ELj16ELj4EfilEEv20rocsparse_direction_T4_S2_S2_S2_S2_21rocsparse_index_base_PKT2_PKT3_PKS2_S3_PS4_PS7_PS2_, .Lfunc_end55-_ZN9rocsparseL42csr2bsr_wavefront_per_row_multipass_kernelILj256ELj16ELj4EfilEEv20rocsparse_direction_T4_S2_S2_S2_S2_21rocsparse_index_base_PKT2_PKT3_PKS2_S3_PS4_PS7_PS2_
                                        ; -- End function
	.section	.AMDGPU.csdata,"",@progbits
; Kernel info:
; codeLenInByte = 2540
; NumSgprs: 27
; NumVgprs: 38
; ScratchSize: 0
; MemoryBound: 0
; FloatMode: 240
; IeeeMode: 1
; LDSByteSize: 1040 bytes/workgroup (compile time only)
; SGPRBlocks: 3
; VGPRBlocks: 4
; NumSGPRsForWavesPerEU: 27
; NumVGPRsForWavesPerEU: 38
; Occupancy: 16
; WaveLimiterHint : 0
; COMPUTE_PGM_RSRC2:SCRATCH_EN: 0
; COMPUTE_PGM_RSRC2:USER_SGPR: 15
; COMPUTE_PGM_RSRC2:TRAP_HANDLER: 0
; COMPUTE_PGM_RSRC2:TGID_X_EN: 1
; COMPUTE_PGM_RSRC2:TGID_Y_EN: 0
; COMPUTE_PGM_RSRC2:TGID_Z_EN: 0
; COMPUTE_PGM_RSRC2:TIDIG_COMP_CNT: 0
	.section	.text._ZN9rocsparseL42csr2bsr_wavefront_per_row_multipass_kernelILj256ELj64ELj8EfilEEv20rocsparse_direction_T4_S2_S2_S2_S2_21rocsparse_index_base_PKT2_PKT3_PKS2_S3_PS4_PS7_PS2_,"axG",@progbits,_ZN9rocsparseL42csr2bsr_wavefront_per_row_multipass_kernelILj256ELj64ELj8EfilEEv20rocsparse_direction_T4_S2_S2_S2_S2_21rocsparse_index_base_PKT2_PKT3_PKS2_S3_PS4_PS7_PS2_,comdat
	.globl	_ZN9rocsparseL42csr2bsr_wavefront_per_row_multipass_kernelILj256ELj64ELj8EfilEEv20rocsparse_direction_T4_S2_S2_S2_S2_21rocsparse_index_base_PKT2_PKT3_PKS2_S3_PS4_PS7_PS2_ ; -- Begin function _ZN9rocsparseL42csr2bsr_wavefront_per_row_multipass_kernelILj256ELj64ELj8EfilEEv20rocsparse_direction_T4_S2_S2_S2_S2_21rocsparse_index_base_PKT2_PKT3_PKS2_S3_PS4_PS7_PS2_
	.p2align	8
	.type	_ZN9rocsparseL42csr2bsr_wavefront_per_row_multipass_kernelILj256ELj64ELj8EfilEEv20rocsparse_direction_T4_S2_S2_S2_S2_21rocsparse_index_base_PKT2_PKT3_PKS2_S3_PS4_PS7_PS2_,@function
_ZN9rocsparseL42csr2bsr_wavefront_per_row_multipass_kernelILj256ELj64ELj8EfilEEv20rocsparse_direction_T4_S2_S2_S2_S2_21rocsparse_index_base_PKT2_PKT3_PKS2_S3_PS4_PS7_PS2_: ; @_ZN9rocsparseL42csr2bsr_wavefront_per_row_multipass_kernelILj256ELj64ELj8EfilEEv20rocsparse_direction_T4_S2_S2_S2_S2_21rocsparse_index_base_PKT2_PKT3_PKS2_S3_PS4_PS7_PS2_
; %bb.0:
	s_load_b64 s[8:9], s[0:1], 0x28
	v_lshrrev_b32_e32 v15, 6, v0
	s_mov_b32 s10, s15
	s_ashr_i32 s11, s15, 31
	s_clause 0x1
	s_load_b64 s[14:15], s[0:1], 0x8
	s_load_b128 s[4:7], s[0:1], 0x18
	s_lshl_b64 s[2:3], s[10:11], 2
	v_mov_b32_e32 v2, 0
	v_or_b32_e32 v5, s2, v15
	v_bfe_u32 v1, v0, 3, 3
	s_clause 0x1
	s_load_b32 s16, s[0:1], 0x30
	s_load_b64 s[12:13], s[0:1], 0x40
	v_mov_b32_e32 v10, v2
	s_waitcnt lgkmcnt(0)
	v_mul_lo_u32 v6, v5, s9
	v_mad_u64_u32 v[3:4], null, v5, s8, v[1:2]
	s_mul_i32 s2, s3, s8
	s_delay_alu instid0(VALU_DEP_1) | instid1(SALU_CYCLE_1)
	v_add3_u32 v4, s2, v4, v6
	v_cmp_gt_i64_e64 s2, s[8:9], v[1:2]
	s_delay_alu instid0(VALU_DEP_2) | instskip(NEXT) | instid1(VALU_DEP_2)
	v_cmp_gt_i64_e32 vcc_lo, s[14:15], v[3:4]
	s_and_b32 s3, s2, vcc_lo
	s_delay_alu instid0(SALU_CYCLE_1)
	s_and_saveexec_b32 s11, s3
	s_cbranch_execz .LBB56_2
; %bb.1:
	v_lshlrev_b64 v[5:6], 2, v[3:4]
	s_delay_alu instid0(VALU_DEP_1) | instskip(NEXT) | instid1(VALU_DEP_2)
	v_add_co_u32 v5, vcc_lo, s12, v5
	v_add_co_ci_u32_e32 v6, vcc_lo, s13, v6, vcc_lo
	global_load_b32 v5, v[5:6], off
	s_waitcnt vmcnt(0)
	v_subrev_nc_u32_e32 v10, s16, v5
.LBB56_2:
	s_or_b32 exec_lo, exec_lo, s11
	s_and_saveexec_b32 s11, s3
	s_cbranch_execz .LBB56_4
; %bb.3:
	v_lshlrev_b64 v[2:3], 2, v[3:4]
	s_delay_alu instid0(VALU_DEP_1) | instskip(NEXT) | instid1(VALU_DEP_2)
	v_add_co_u32 v2, vcc_lo, s12, v2
	v_add_co_ci_u32_e32 v3, vcc_lo, s13, v3, vcc_lo
	global_load_b32 v2, v[2:3], off offset:4
	s_waitcnt vmcnt(0)
	v_subrev_nc_u32_e32 v2, s16, v2
.LBB56_4:
	s_or_b32 exec_lo, exec_lo, s11
	s_load_b32 s17, s[0:1], 0x50
	v_mov_b32_e32 v5, 0
	v_lshl_or_b32 v4, s10, 2, v15
	s_mov_b32 s3, exec_lo
	s_delay_alu instid0(VALU_DEP_2) | instskip(NEXT) | instid1(VALU_DEP_2)
	v_mov_b32_e32 v3, v5
	v_cmpx_gt_i64_e64 s[4:5], v[4:5]
	s_cbranch_execz .LBB56_6
; %bb.5:
	s_load_b64 s[4:5], s[0:1], 0x60
	v_lshlrev_b64 v[3:4], 2, v[4:5]
	s_waitcnt lgkmcnt(0)
	s_delay_alu instid0(VALU_DEP_1) | instskip(NEXT) | instid1(VALU_DEP_2)
	v_add_co_u32 v3, vcc_lo, s4, v3
	v_add_co_ci_u32_e32 v4, vcc_lo, s5, v4, vcc_lo
	global_load_b32 v3, v[3:4], off
	s_waitcnt vmcnt(0)
	v_subrev_nc_u32_e32 v3, s17, v3
.LBB56_6:
	s_or_b32 exec_lo, exec_lo, s3
	v_cmp_lt_i64_e64 s3, s[6:7], 1
	s_delay_alu instid0(VALU_DEP_1)
	s_and_b32 vcc_lo, exec_lo, s3
	s_cbranch_vccnz .LBB56_25
; %bb.7:
	v_mbcnt_lo_u32_b32 v14, -1, 0
	v_and_b32_e32 v5, 7, v0
	v_mad_u64_u32 v[11:12], null, v1, s8, 0
	s_load_b64 s[4:5], s[0:1], 0x68
	s_delay_alu instid0(VALU_DEP_3)
	v_xor_b32_e32 v13, 2, v14
	v_and_b32_e32 v4, 0x3c0, v0
	v_mad_u64_u32 v[7:8], null, v5, s8, 0
	s_clause 0x3
	s_load_b64 s[14:15], s[0:1], 0x58
	s_load_b64 s[10:11], s[0:1], 0x48
	;; [unrolled: 1-line block ×3, first 2 shown]
	s_load_b32 s0, s[0:1], 0x0
	v_xor_b32_e32 v18, 1, v14
	v_lshl_or_b32 v16, v1, 3, v4
	v_xor_b32_e32 v4, 4, v14
	s_mul_i32 s3, s8, s9
	s_mul_hi_u32 s1, s8, s8
	v_lshl_or_b32 v21, v14, 2, 28
	v_or_b32_e32 v0, v16, v5
	v_cmp_gt_i32_e32 vcc_lo, 32, v4
	v_bfrev_b32_e32 v25, 0.5
	v_mov_b32_e32 v28, 1
	s_mov_b32 s18, 0
	v_dual_mov_b32 v0, v8 :: v_dual_lshlrev_b32 v17, 2, v0
	v_cndmask_b32_e32 v6, v14, v4, vcc_lo
	v_mov_b32_e32 v4, v12
	v_cmp_gt_i32_e32 vcc_lo, 32, v13
	s_mul_i32 s19, s8, s8
	v_mad_u64_u32 v[8:9], null, v5, s9, v[0:1]
	v_dual_mov_b32 v0, 0 :: v_dual_cndmask_b32 v9, v14, v13
	v_mad_u64_u32 v[12:13], null, v1, s9, v[4:5]
	v_lshlrev_b32_e32 v1, 2, v1
	v_cmp_gt_i32_e32 vcc_lo, 32, v18
	v_lshlrev_b64 v[7:8], 2, v[7:8]
	v_lshlrev_b32_e32 v19, 2, v9
	s_waitcnt lgkmcnt(0)
	s_cmp_eq_u32 s0, 0
	v_dual_cndmask_b32 v4, v14, v18 :: v_dual_lshlrev_b32 v9, 2, v5
	v_lshlrev_b32_e32 v18, 2, v6
	v_mov_b32_e32 v6, v0
	v_lshlrev_b64 v[11:12], 2, v[11:12]
	s_delay_alu instid0(VALU_DEP_4) | instskip(SKIP_1) | instid1(VALU_DEP_4)
	v_dual_mov_b32 v29, 0 :: v_dual_lshlrev_b32 v20, 2, v4
	v_add_co_u32 v4, s0, s14, v7
	v_cmp_gt_u64_e32 vcc_lo, s[8:9], v[5:6]
	v_add_co_ci_u32_e64 v6, s0, s15, v8, s0
	v_add_co_u32 v7, s0, s14, v11
	s_delay_alu instid0(VALU_DEP_1) | instskip(SKIP_1) | instid1(VALU_DEP_1)
	v_add_co_ci_u32_e64 v8, s0, s15, v12, s0
	v_add_co_u32 v1, s0, v4, v1
	v_add_co_ci_u32_e64 v4, s0, 0, v6, s0
	s_delay_alu instid0(VALU_DEP_4) | instskip(NEXT) | instid1(VALU_DEP_1)
	v_add_co_u32 v6, s0, v7, v9
	v_add_co_ci_u32_e64 v7, s0, 0, v8, s0
	v_or_b32_e32 v8, 32, v14
	s_cselect_b32 s0, -1, 0
	v_xor_b32_e32 v9, 16, v14
	s_add_i32 s14, s1, s3
	v_xor_b32_e32 v11, 8, v14
	v_cmp_gt_i32_e64 s1, 32, v8
	v_cndmask_b32_e64 v26, v4, v7, s0
	v_cndmask_b32_e64 v27, v1, v6, s0
	s_and_b32 s20, s2, vcc_lo
	s_ashr_i32 s2, s9, 31
	v_cndmask_b32_e64 v8, v14, v8, s1
	v_cmp_gt_i32_e64 s1, 32, v9
	s_sub_i32 s21, 0, s8
	s_delay_alu instid0(VALU_DEP_2) | instskip(NEXT) | instid1(VALU_DEP_2)
	v_lshlrev_b32_e32 v22, 2, v8
	v_cndmask_b32_e64 v9, v14, v9, s1
	v_cmp_gt_i32_e64 s1, 32, v11
	s_delay_alu instid0(VALU_DEP_2) | instskip(NEXT) | instid1(VALU_DEP_2)
	v_lshlrev_b32_e32 v23, 2, v9
	v_cndmask_b32_e64 v11, v14, v11, s1
	v_mov_b32_e32 v8, 0
	v_mov_b32_e32 v9, 0
	s_add_i32 s1, s14, s3
	s_delay_alu instid0(VALU_DEP_3)
	v_lshlrev_b32_e32 v24, 2, v11
	s_branch .LBB56_10
.LBB56_8:                               ;   in Loop: Header=BB56_10 Depth=1
	s_or_b32 exec_lo, exec_lo, s3
	v_mov_b32_e32 v1, 1
.LBB56_9:                               ;   in Loop: Header=BB56_10 Depth=1
	s_or_b32 exec_lo, exec_lo, s0
	ds_bpermute_b32 v8, v22, v6
	ds_bpermute_b32 v9, v22, v7
	s_waitcnt lgkmcnt(0)
	s_waitcnt_vscnt null, 0x0
	buffer_gl0_inv
	buffer_gl0_inv
	v_add_nc_u32_e32 v3, v1, v3
	v_cmp_lt_i64_e32 vcc_lo, v[8:9], v[6:7]
	v_dual_cndmask_b32 v7, v7, v9 :: v_dual_cndmask_b32 v6, v6, v8
	ds_bpermute_b32 v9, v23, v7
	ds_bpermute_b32 v8, v23, v6
	s_waitcnt lgkmcnt(0)
	v_cmp_lt_i64_e32 vcc_lo, v[8:9], v[6:7]
	v_dual_cndmask_b32 v7, v7, v9 :: v_dual_cndmask_b32 v6, v6, v8
	ds_bpermute_b32 v9, v24, v7
	ds_bpermute_b32 v8, v24, v6
	s_waitcnt lgkmcnt(0)
	;; [unrolled: 5-line block ×5, first 2 shown]
	v_cmp_lt_i64_e32 vcc_lo, v[8:9], v[6:7]
	v_cndmask_b32_e32 v4, v6, v8, vcc_lo
	ds_bpermute_b32 v8, v25, v4
	s_waitcnt lgkmcnt(0)
	v_ashrrev_i32_e32 v9, 31, v8
	v_mov_b32_e32 v29, v8
	s_delay_alu instid0(VALU_DEP_2) | instskip(SKIP_1) | instid1(SALU_CYCLE_1)
	v_cmp_le_i64_e32 vcc_lo, s[6:7], v[8:9]
	s_or_b32 s18, vcc_lo, s18
	s_and_not1_b32 exec_lo, exec_lo, s18
	s_cbranch_execz .LBB56_25
.LBB56_10:                              ; =>This Loop Header: Depth=1
                                        ;     Child Loop BB56_13 Depth 2
	v_dual_mov_b32 v6, s6 :: v_dual_mov_b32 v1, v2
	v_dual_mov_b32 v7, s7 :: v_dual_add_nc_u32 v10, v10, v5
	s_mov_b32 s22, exec_lo
	ds_store_b8 v15, v0 offset:1024
	ds_store_b32 v17, v0
	s_waitcnt lgkmcnt(0)
	buffer_gl0_inv
	v_cmpx_lt_i32_e64 v10, v2
	s_cbranch_execz .LBB56_22
; %bb.11:                               ;   in Loop: Header=BB56_10 Depth=1
	v_mad_u64_u32 v[12:13], null, v8, s8, 0
	v_dual_mov_b32 v6, s6 :: v_dual_mov_b32 v7, s7
	v_mov_b32_e32 v4, v2
	s_mov_b32 s23, 0
	s_branch .LBB56_13
.LBB56_12:                              ;   in Loop: Header=BB56_13 Depth=2
	s_or_b32 exec_lo, exec_lo, s3
	v_add_nc_u32_e32 v10, 8, v10
	s_xor_b32 s3, vcc_lo, -1
	v_mov_b32_e32 v4, v1
	s_delay_alu instid0(VALU_DEP_2) | instskip(NEXT) | instid1(VALU_DEP_1)
	v_cmp_ge_i32_e64 s0, v10, v2
	s_or_b32 s0, s3, s0
	s_delay_alu instid0(SALU_CYCLE_1) | instskip(NEXT) | instid1(SALU_CYCLE_1)
	s_and_b32 s0, exec_lo, s0
	s_or_b32 s23, s0, s23
	s_delay_alu instid0(SALU_CYCLE_1)
	s_and_not1_b32 exec_lo, exec_lo, s23
	s_cbranch_execz .LBB56_21
.LBB56_13:                              ;   Parent Loop BB56_10 Depth=1
                                        ; =>  This Inner Loop Header: Depth=2
	v_ashrrev_i32_e32 v11, 31, v10
	s_mov_b32 s0, exec_lo
	s_delay_alu instid0(VALU_DEP_1) | instskip(NEXT) | instid1(VALU_DEP_1)
	v_lshlrev_b64 v[13:14], 3, v[10:11]
	v_add_co_u32 v13, vcc_lo, s10, v13
	s_delay_alu instid0(VALU_DEP_2) | instskip(SKIP_4) | instid1(VALU_DEP_1)
	v_add_co_ci_u32_e32 v14, vcc_lo, s11, v14, vcc_lo
	global_load_b64 v[13:14], v[13:14], off
	s_waitcnt vmcnt(0)
	v_sub_co_u32 v30, vcc_lo, v13, s16
	v_subrev_co_ci_u32_e32 v31, vcc_lo, 0, v14, vcc_lo
                                        ; implicit-def: $vgpr13_vgpr14
	v_or_b32_e32 v1, s9, v31
	s_delay_alu instid0(VALU_DEP_1)
	v_cmpx_ne_u64_e32 0, v[0:1]
	s_xor_b32 s24, exec_lo, s0
	s_cbranch_execz .LBB56_15
; %bb.14:                               ;   in Loop: Header=BB56_13 Depth=2
	s_add_u32 s14, s8, s2
	s_mov_b32 s3, s2
	s_addc_u32 s15, s9, s2
	s_delay_alu instid0(SALU_CYCLE_1) | instskip(NEXT) | instid1(SALU_CYCLE_1)
	s_xor_b64 s[14:15], s[14:15], s[2:3]
	v_cvt_f32_u32_e32 v1, s14
	v_cvt_f32_u32_e32 v13, s15
	s_sub_u32 s0, 0, s14
	s_subb_u32 s3, 0, s15
	s_delay_alu instid0(VALU_DEP_1) | instskip(NEXT) | instid1(VALU_DEP_1)
	v_fmac_f32_e32 v1, 0x4f800000, v13
	v_rcp_f32_e32 v1, v1
	s_waitcnt_depctr 0xfff
	v_mul_f32_e32 v1, 0x5f7ffffc, v1
	s_delay_alu instid0(VALU_DEP_1) | instskip(NEXT) | instid1(VALU_DEP_1)
	v_mul_f32_e32 v13, 0x2f800000, v1
	v_trunc_f32_e32 v13, v13
	s_delay_alu instid0(VALU_DEP_1) | instskip(SKIP_1) | instid1(VALU_DEP_2)
	v_fmac_f32_e32 v1, 0xcf800000, v13
	v_cvt_u32_f32_e32 v13, v13
	v_cvt_u32_f32_e32 v1, v1
	s_delay_alu instid0(VALU_DEP_2) | instskip(NEXT) | instid1(VALU_DEP_2)
	v_mul_lo_u32 v14, s0, v13
	v_mul_hi_u32 v32, s0, v1
	v_mul_lo_u32 v33, s3, v1
	s_delay_alu instid0(VALU_DEP_2) | instskip(SKIP_1) | instid1(VALU_DEP_2)
	v_add_nc_u32_e32 v14, v32, v14
	v_mul_lo_u32 v32, s0, v1
	v_add_nc_u32_e32 v14, v14, v33
	s_delay_alu instid0(VALU_DEP_2) | instskip(NEXT) | instid1(VALU_DEP_2)
	v_mul_hi_u32 v33, v1, v32
	v_mul_lo_u32 v34, v1, v14
	v_mul_hi_u32 v35, v1, v14
	v_mul_hi_u32 v36, v13, v32
	v_mul_lo_u32 v32, v13, v32
	v_mul_hi_u32 v37, v13, v14
	v_mul_lo_u32 v14, v13, v14
	v_add_co_u32 v33, vcc_lo, v33, v34
	v_add_co_ci_u32_e32 v34, vcc_lo, 0, v35, vcc_lo
	s_delay_alu instid0(VALU_DEP_2) | instskip(NEXT) | instid1(VALU_DEP_2)
	v_add_co_u32 v32, vcc_lo, v33, v32
	v_add_co_ci_u32_e32 v32, vcc_lo, v34, v36, vcc_lo
	v_add_co_ci_u32_e32 v33, vcc_lo, 0, v37, vcc_lo
	v_ashrrev_i32_e32 v36, 31, v31
	s_delay_alu instid0(VALU_DEP_3) | instskip(NEXT) | instid1(VALU_DEP_3)
	v_add_co_u32 v14, vcc_lo, v32, v14
	v_add_co_ci_u32_e32 v32, vcc_lo, 0, v33, vcc_lo
	s_delay_alu instid0(VALU_DEP_2) | instskip(NEXT) | instid1(VALU_DEP_2)
	v_add_co_u32 v1, vcc_lo, v1, v14
	v_add_co_ci_u32_e32 v13, vcc_lo, v13, v32, vcc_lo
	s_delay_alu instid0(VALU_DEP_2) | instskip(SKIP_1) | instid1(VALU_DEP_3)
	v_mul_hi_u32 v14, s0, v1
	v_mul_lo_u32 v33, s3, v1
	v_mul_lo_u32 v32, s0, v13
	s_delay_alu instid0(VALU_DEP_1) | instskip(SKIP_1) | instid1(VALU_DEP_2)
	v_add_nc_u32_e32 v14, v14, v32
	v_mul_lo_u32 v32, s0, v1
	v_add_nc_u32_e32 v14, v14, v33
	s_delay_alu instid0(VALU_DEP_2) | instskip(NEXT) | instid1(VALU_DEP_2)
	v_mul_hi_u32 v33, v1, v32
	v_mul_lo_u32 v34, v1, v14
	v_mul_hi_u32 v35, v1, v14
	v_mul_hi_u32 v37, v13, v32
	v_mul_lo_u32 v32, v13, v32
	v_mul_hi_u32 v38, v13, v14
	v_mul_lo_u32 v14, v13, v14
	v_add_co_u32 v33, vcc_lo, v33, v34
	v_add_co_ci_u32_e32 v34, vcc_lo, 0, v35, vcc_lo
	s_delay_alu instid0(VALU_DEP_2) | instskip(NEXT) | instid1(VALU_DEP_2)
	v_add_co_u32 v32, vcc_lo, v33, v32
	v_add_co_ci_u32_e32 v32, vcc_lo, v34, v37, vcc_lo
	v_add_co_ci_u32_e32 v33, vcc_lo, 0, v38, vcc_lo
	v_add_co_u32 v34, vcc_lo, v30, v36
	v_add_co_ci_u32_e32 v31, vcc_lo, v31, v36, vcc_lo
	s_delay_alu instid0(VALU_DEP_4) | instskip(NEXT) | instid1(VALU_DEP_4)
	v_add_co_u32 v14, vcc_lo, v32, v14
	v_add_co_ci_u32_e32 v32, vcc_lo, 0, v33, vcc_lo
	s_delay_alu instid0(VALU_DEP_4) | instskip(NEXT) | instid1(VALU_DEP_3)
	v_xor_b32_e32 v35, v34, v36
	v_add_co_u32 v1, vcc_lo, v1, v14
	s_delay_alu instid0(VALU_DEP_3) | instskip(SKIP_1) | instid1(VALU_DEP_3)
	v_add_co_ci_u32_e32 v37, vcc_lo, v13, v32, vcc_lo
	v_xor_b32_e32 v38, v31, v36
	v_mul_hi_u32 v39, v35, v1
	s_delay_alu instid0(VALU_DEP_3) | instskip(NEXT) | instid1(VALU_DEP_3)
	v_mad_u64_u32 v[13:14], null, v35, v37, 0
	v_mad_u64_u32 v[31:32], null, v38, v1, 0
	;; [unrolled: 1-line block ×3, first 2 shown]
	s_delay_alu instid0(VALU_DEP_3) | instskip(NEXT) | instid1(VALU_DEP_4)
	v_add_co_u32 v1, vcc_lo, v39, v13
	v_add_co_ci_u32_e32 v13, vcc_lo, 0, v14, vcc_lo
	s_delay_alu instid0(VALU_DEP_2) | instskip(NEXT) | instid1(VALU_DEP_2)
	v_add_co_u32 v1, vcc_lo, v1, v31
	v_add_co_ci_u32_e32 v1, vcc_lo, v13, v32, vcc_lo
	v_add_co_ci_u32_e32 v13, vcc_lo, 0, v34, vcc_lo
	s_delay_alu instid0(VALU_DEP_2) | instskip(NEXT) | instid1(VALU_DEP_2)
	v_add_co_u32 v1, vcc_lo, v1, v33
	v_add_co_ci_u32_e32 v31, vcc_lo, 0, v13, vcc_lo
	s_delay_alu instid0(VALU_DEP_2) | instskip(SKIP_1) | instid1(VALU_DEP_3)
	v_mul_lo_u32 v32, s15, v1
	v_mad_u64_u32 v[13:14], null, s14, v1, 0
	v_mul_lo_u32 v33, s14, v31
	s_delay_alu instid0(VALU_DEP_2) | instskip(NEXT) | instid1(VALU_DEP_2)
	v_sub_co_u32 v13, vcc_lo, v35, v13
	v_add3_u32 v14, v14, v33, v32
	s_delay_alu instid0(VALU_DEP_1) | instskip(NEXT) | instid1(VALU_DEP_1)
	v_sub_nc_u32_e32 v32, v38, v14
	v_subrev_co_ci_u32_e64 v32, s0, s15, v32, vcc_lo
	v_add_co_u32 v33, s0, v1, 2
	s_delay_alu instid0(VALU_DEP_1) | instskip(SKIP_3) | instid1(VALU_DEP_3)
	v_add_co_ci_u32_e64 v34, s0, 0, v31, s0
	v_sub_co_u32 v35, s0, v13, s14
	v_sub_co_ci_u32_e32 v14, vcc_lo, v38, v14, vcc_lo
	v_subrev_co_ci_u32_e64 v32, s0, 0, v32, s0
	v_cmp_le_u32_e32 vcc_lo, s14, v35
	s_delay_alu instid0(VALU_DEP_3) | instskip(SKIP_1) | instid1(VALU_DEP_4)
	v_cmp_eq_u32_e64 s0, s15, v14
	v_cndmask_b32_e64 v35, 0, -1, vcc_lo
	v_cmp_le_u32_e32 vcc_lo, s15, v32
	v_cndmask_b32_e64 v37, 0, -1, vcc_lo
	v_cmp_le_u32_e32 vcc_lo, s14, v13
	;; [unrolled: 2-line block ×3, first 2 shown]
	v_cndmask_b32_e64 v38, 0, -1, vcc_lo
	v_cmp_eq_u32_e32 vcc_lo, s15, v32
	s_delay_alu instid0(VALU_DEP_2) | instskip(SKIP_3) | instid1(VALU_DEP_3)
	v_cndmask_b32_e64 v13, v38, v13, s0
	v_cndmask_b32_e32 v32, v37, v35, vcc_lo
	v_add_co_u32 v35, vcc_lo, v1, 1
	v_add_co_ci_u32_e32 v37, vcc_lo, 0, v31, vcc_lo
	v_cmp_ne_u32_e32 vcc_lo, 0, v32
	s_delay_alu instid0(VALU_DEP_2) | instskip(NEXT) | instid1(VALU_DEP_4)
	v_cndmask_b32_e32 v14, v37, v34, vcc_lo
	v_cndmask_b32_e32 v32, v35, v33, vcc_lo
	v_cmp_ne_u32_e32 vcc_lo, 0, v13
	v_xor_b32_e32 v33, s2, v36
	s_delay_alu instid0(VALU_DEP_3) | instskip(SKIP_1) | instid1(VALU_DEP_2)
	v_cndmask_b32_e32 v1, v1, v32, vcc_lo
	v_cndmask_b32_e32 v13, v31, v14, vcc_lo
	v_xor_b32_e32 v1, v1, v33
	s_delay_alu instid0(VALU_DEP_2) | instskip(NEXT) | instid1(VALU_DEP_2)
	v_xor_b32_e32 v14, v13, v33
	v_sub_co_u32 v13, vcc_lo, v1, v33
	s_delay_alu instid0(VALU_DEP_2)
	v_sub_co_ci_u32_e32 v14, vcc_lo, v14, v33, vcc_lo
.LBB56_15:                              ;   in Loop: Header=BB56_13 Depth=2
	s_and_not1_saveexec_b32 s0, s24
	s_cbranch_execz .LBB56_17
; %bb.16:                               ;   in Loop: Header=BB56_13 Depth=2
	v_cvt_f32_u32_e32 v1, s8
	s_delay_alu instid0(VALU_DEP_1) | instskip(SKIP_2) | instid1(VALU_DEP_1)
	v_rcp_iflag_f32_e32 v1, v1
	s_waitcnt_depctr 0xfff
	v_mul_f32_e32 v1, 0x4f7ffffe, v1
	v_cvt_u32_f32_e32 v1, v1
	s_delay_alu instid0(VALU_DEP_1) | instskip(NEXT) | instid1(VALU_DEP_1)
	v_mul_lo_u32 v13, s21, v1
	v_mul_hi_u32 v13, v1, v13
	s_delay_alu instid0(VALU_DEP_1) | instskip(NEXT) | instid1(VALU_DEP_1)
	v_add_nc_u32_e32 v1, v1, v13
	v_mul_hi_u32 v1, v30, v1
	s_delay_alu instid0(VALU_DEP_1) | instskip(NEXT) | instid1(VALU_DEP_1)
	v_mul_lo_u32 v13, v1, s8
	v_sub_nc_u32_e32 v13, v30, v13
	s_delay_alu instid0(VALU_DEP_1) | instskip(SKIP_1) | instid1(VALU_DEP_2)
	v_subrev_nc_u32_e32 v31, s8, v13
	v_cmp_le_u32_e32 vcc_lo, s8, v13
	v_dual_cndmask_b32 v13, v13, v31 :: v_dual_add_nc_u32 v14, 1, v1
	s_delay_alu instid0(VALU_DEP_1) | instskip(NEXT) | instid1(VALU_DEP_2)
	v_cndmask_b32_e32 v1, v1, v14, vcc_lo
	v_cmp_le_u32_e32 vcc_lo, s8, v13
	s_delay_alu instid0(VALU_DEP_2) | instskip(NEXT) | instid1(VALU_DEP_1)
	v_add_nc_u32_e32 v14, 1, v1
	v_dual_cndmask_b32 v13, v1, v14 :: v_dual_mov_b32 v14, v0
.LBB56_17:                              ;   in Loop: Header=BB56_13 Depth=2
	s_or_b32 exec_lo, exec_lo, s0
	s_delay_alu instid0(VALU_DEP_1)
	v_cmp_eq_u64_e32 vcc_lo, v[13:14], v[8:9]
	s_mov_b32 s3, exec_lo
	v_cmpx_ne_u64_e64 v[13:14], v[8:9]
	s_xor_b32 s3, exec_lo, s3
; %bb.18:                               ;   in Loop: Header=BB56_13 Depth=2
	v_cmp_lt_i64_e64 s0, v[13:14], v[6:7]
                                        ; implicit-def: $vgpr30
                                        ; implicit-def: $vgpr4
	s_delay_alu instid0(VALU_DEP_1)
	v_cndmask_b32_e64 v7, v7, v14, s0
	v_cndmask_b32_e64 v6, v6, v13, s0
; %bb.19:                               ;   in Loop: Header=BB56_13 Depth=2
	s_or_saveexec_b32 s3, s3
	v_mov_b32_e32 v1, v10
	s_xor_b32 exec_lo, exec_lo, s3
	s_cbranch_execz .LBB56_12
; %bb.20:                               ;   in Loop: Header=BB56_13 Depth=2
	v_lshlrev_b64 v[13:14], 2, v[10:11]
	v_sub_nc_u32_e32 v1, v30, v12
	s_delay_alu instid0(VALU_DEP_2) | instskip(NEXT) | instid1(VALU_DEP_1)
	v_add_co_u32 v13, s0, s12, v13
	v_add_co_ci_u32_e64 v14, s0, s13, v14, s0
	global_load_b32 v11, v[13:14], off
	v_add_lshl_u32 v13, v16, v1, 2
	v_mov_b32_e32 v1, v4
	ds_store_b8 v15, v28 offset:1024
	s_waitcnt vmcnt(0)
	ds_store_b32 v13, v11
	s_branch .LBB56_12
.LBB56_21:                              ;   in Loop: Header=BB56_10 Depth=1
	s_or_b32 exec_lo, exec_lo, s23
.LBB56_22:                              ;   in Loop: Header=BB56_10 Depth=1
	s_delay_alu instid0(SALU_CYCLE_1)
	s_or_b32 exec_lo, exec_lo, s22
	ds_bpermute_b32 v4, v18, v1
	s_waitcnt lgkmcnt(0)
	buffer_gl0_inv
	ds_load_u8 v8, v15 offset:1024
	v_min_i32_e32 v1, v4, v1
	ds_bpermute_b32 v4, v19, v1
	s_waitcnt lgkmcnt(0)
	v_min_i32_e32 v1, v4, v1
	ds_bpermute_b32 v4, v20, v1
	s_waitcnt lgkmcnt(0)
	v_min_i32_e32 v1, v4, v1
	ds_bpermute_b32 v10, v21, v1
	v_and_b32_e32 v1, 1, v8
	s_delay_alu instid0(VALU_DEP_1)
	v_cmp_eq_u32_e32 vcc_lo, 1, v1
	v_mov_b32_e32 v1, 0
	s_and_saveexec_b32 s0, vcc_lo
	s_cbranch_execz .LBB56_9
; %bb.23:                               ;   in Loop: Header=BB56_10 Depth=1
	v_ashrrev_i32_e32 v4, 31, v3
	v_add_nc_u32_e32 v8, s17, v29
	s_delay_alu instid0(VALU_DEP_2) | instskip(NEXT) | instid1(VALU_DEP_2)
	v_lshlrev_b64 v[11:12], 3, v[3:4]
	v_ashrrev_i32_e32 v9, 31, v8
	s_delay_alu instid0(VALU_DEP_2) | instskip(NEXT) | instid1(VALU_DEP_3)
	v_add_co_u32 v11, vcc_lo, s4, v11
	v_add_co_ci_u32_e32 v12, vcc_lo, s5, v12, vcc_lo
	global_store_b64 v[11:12], v[8:9], off
	s_and_saveexec_b32 s3, s20
	s_cbranch_execz .LBB56_8
; %bb.24:                               ;   in Loop: Header=BB56_10 Depth=1
	v_mul_lo_u32 v1, s1, v3
	v_mul_lo_u32 v4, s19, v4
	v_mad_u64_u32 v[8:9], null, s19, v3, 0
	ds_load_b32 v11, v17
	v_add3_u32 v9, v9, v4, v1
	s_delay_alu instid0(VALU_DEP_1) | instskip(NEXT) | instid1(VALU_DEP_1)
	v_lshlrev_b64 v[8:9], 2, v[8:9]
	v_add_co_u32 v8, vcc_lo, v27, v8
	s_delay_alu instid0(VALU_DEP_2)
	v_add_co_ci_u32_e32 v9, vcc_lo, v26, v9, vcc_lo
	s_waitcnt lgkmcnt(0)
	global_store_b32 v[8:9], v11, off
	s_branch .LBB56_8
.LBB56_25:
	s_endpgm
	.section	.rodata,"a",@progbits
	.p2align	6, 0x0
	.amdhsa_kernel _ZN9rocsparseL42csr2bsr_wavefront_per_row_multipass_kernelILj256ELj64ELj8EfilEEv20rocsparse_direction_T4_S2_S2_S2_S2_21rocsparse_index_base_PKT2_PKT3_PKS2_S3_PS4_PS7_PS2_
		.amdhsa_group_segment_fixed_size 1028
		.amdhsa_private_segment_fixed_size 0
		.amdhsa_kernarg_size 112
		.amdhsa_user_sgpr_count 15
		.amdhsa_user_sgpr_dispatch_ptr 0
		.amdhsa_user_sgpr_queue_ptr 0
		.amdhsa_user_sgpr_kernarg_segment_ptr 1
		.amdhsa_user_sgpr_dispatch_id 0
		.amdhsa_user_sgpr_private_segment_size 0
		.amdhsa_wavefront_size32 1
		.amdhsa_uses_dynamic_stack 0
		.amdhsa_enable_private_segment 0
		.amdhsa_system_sgpr_workgroup_id_x 1
		.amdhsa_system_sgpr_workgroup_id_y 0
		.amdhsa_system_sgpr_workgroup_id_z 0
		.amdhsa_system_sgpr_workgroup_info 0
		.amdhsa_system_vgpr_workitem_id 0
		.amdhsa_next_free_vgpr 40
		.amdhsa_next_free_sgpr 25
		.amdhsa_reserve_vcc 1
		.amdhsa_float_round_mode_32 0
		.amdhsa_float_round_mode_16_64 0
		.amdhsa_float_denorm_mode_32 3
		.amdhsa_float_denorm_mode_16_64 3
		.amdhsa_dx10_clamp 1
		.amdhsa_ieee_mode 1
		.amdhsa_fp16_overflow 0
		.amdhsa_workgroup_processor_mode 1
		.amdhsa_memory_ordered 1
		.amdhsa_forward_progress 0
		.amdhsa_shared_vgpr_count 0
		.amdhsa_exception_fp_ieee_invalid_op 0
		.amdhsa_exception_fp_denorm_src 0
		.amdhsa_exception_fp_ieee_div_zero 0
		.amdhsa_exception_fp_ieee_overflow 0
		.amdhsa_exception_fp_ieee_underflow 0
		.amdhsa_exception_fp_ieee_inexact 0
		.amdhsa_exception_int_div_zero 0
	.end_amdhsa_kernel
	.section	.text._ZN9rocsparseL42csr2bsr_wavefront_per_row_multipass_kernelILj256ELj64ELj8EfilEEv20rocsparse_direction_T4_S2_S2_S2_S2_21rocsparse_index_base_PKT2_PKT3_PKS2_S3_PS4_PS7_PS2_,"axG",@progbits,_ZN9rocsparseL42csr2bsr_wavefront_per_row_multipass_kernelILj256ELj64ELj8EfilEEv20rocsparse_direction_T4_S2_S2_S2_S2_21rocsparse_index_base_PKT2_PKT3_PKS2_S3_PS4_PS7_PS2_,comdat
.Lfunc_end56:
	.size	_ZN9rocsparseL42csr2bsr_wavefront_per_row_multipass_kernelILj256ELj64ELj8EfilEEv20rocsparse_direction_T4_S2_S2_S2_S2_21rocsparse_index_base_PKT2_PKT3_PKS2_S3_PS4_PS7_PS2_, .Lfunc_end56-_ZN9rocsparseL42csr2bsr_wavefront_per_row_multipass_kernelILj256ELj64ELj8EfilEEv20rocsparse_direction_T4_S2_S2_S2_S2_21rocsparse_index_base_PKT2_PKT3_PKS2_S3_PS4_PS7_PS2_
                                        ; -- End function
	.section	.AMDGPU.csdata,"",@progbits
; Kernel info:
; codeLenInByte = 2676
; NumSgprs: 27
; NumVgprs: 40
; ScratchSize: 0
; MemoryBound: 0
; FloatMode: 240
; IeeeMode: 1
; LDSByteSize: 1028 bytes/workgroup (compile time only)
; SGPRBlocks: 3
; VGPRBlocks: 4
; NumSGPRsForWavesPerEU: 27
; NumVGPRsForWavesPerEU: 40
; Occupancy: 16
; WaveLimiterHint : 0
; COMPUTE_PGM_RSRC2:SCRATCH_EN: 0
; COMPUTE_PGM_RSRC2:USER_SGPR: 15
; COMPUTE_PGM_RSRC2:TRAP_HANDLER: 0
; COMPUTE_PGM_RSRC2:TGID_X_EN: 1
; COMPUTE_PGM_RSRC2:TGID_Y_EN: 0
; COMPUTE_PGM_RSRC2:TGID_Z_EN: 0
; COMPUTE_PGM_RSRC2:TIDIG_COMP_CNT: 0
	.section	.text._ZN9rocsparseL42csr2bsr_wavefront_per_row_multipass_kernelILj256ELj32ELj8EfilEEv20rocsparse_direction_T4_S2_S2_S2_S2_21rocsparse_index_base_PKT2_PKT3_PKS2_S3_PS4_PS7_PS2_,"axG",@progbits,_ZN9rocsparseL42csr2bsr_wavefront_per_row_multipass_kernelILj256ELj32ELj8EfilEEv20rocsparse_direction_T4_S2_S2_S2_S2_21rocsparse_index_base_PKT2_PKT3_PKS2_S3_PS4_PS7_PS2_,comdat
	.globl	_ZN9rocsparseL42csr2bsr_wavefront_per_row_multipass_kernelILj256ELj32ELj8EfilEEv20rocsparse_direction_T4_S2_S2_S2_S2_21rocsparse_index_base_PKT2_PKT3_PKS2_S3_PS4_PS7_PS2_ ; -- Begin function _ZN9rocsparseL42csr2bsr_wavefront_per_row_multipass_kernelILj256ELj32ELj8EfilEEv20rocsparse_direction_T4_S2_S2_S2_S2_21rocsparse_index_base_PKT2_PKT3_PKS2_S3_PS4_PS7_PS2_
	.p2align	8
	.type	_ZN9rocsparseL42csr2bsr_wavefront_per_row_multipass_kernelILj256ELj32ELj8EfilEEv20rocsparse_direction_T4_S2_S2_S2_S2_21rocsparse_index_base_PKT2_PKT3_PKS2_S3_PS4_PS7_PS2_,@function
_ZN9rocsparseL42csr2bsr_wavefront_per_row_multipass_kernelILj256ELj32ELj8EfilEEv20rocsparse_direction_T4_S2_S2_S2_S2_21rocsparse_index_base_PKT2_PKT3_PKS2_S3_PS4_PS7_PS2_: ; @_ZN9rocsparseL42csr2bsr_wavefront_per_row_multipass_kernelILj256ELj32ELj8EfilEEv20rocsparse_direction_T4_S2_S2_S2_S2_21rocsparse_index_base_PKT2_PKT3_PKS2_S3_PS4_PS7_PS2_
; %bb.0:
	s_load_b64 s[8:9], s[0:1], 0x28
	v_lshrrev_b32_e32 v20, 5, v0
	s_mov_b32 s10, s15
	s_ashr_i32 s11, s15, 31
	s_clause 0x1
	s_load_b64 s[14:15], s[0:1], 0x8
	s_load_b128 s[4:7], s[0:1], 0x18
	s_lshl_b64 s[2:3], s[10:11], 3
	v_mov_b32_e32 v2, 0
	v_or_b32_e32 v5, s2, v20
	v_bfe_u32 v1, v0, 2, 3
	s_clause 0x1
	s_load_b32 s16, s[0:1], 0x30
	s_load_b64 s[12:13], s[0:1], 0x40
	s_waitcnt lgkmcnt(0)
	v_mul_lo_u32 v6, v5, s9
	v_mad_u64_u32 v[3:4], null, v5, s8, v[1:2]
	s_mul_i32 s2, s3, s8
	s_delay_alu instid0(VALU_DEP_1) | instid1(SALU_CYCLE_1)
	v_add3_u32 v4, s2, v4, v6
	v_cmp_gt_i64_e64 s2, s[8:9], v[1:2]
	v_mov_b32_e32 v6, v2
	s_delay_alu instid0(VALU_DEP_3) | instskip(NEXT) | instid1(VALU_DEP_3)
	v_cmp_gt_i64_e32 vcc_lo, s[14:15], v[3:4]
	s_and_b32 s3, s2, vcc_lo
	s_delay_alu instid0(SALU_CYCLE_1)
	s_and_saveexec_b32 s11, s3
	s_cbranch_execz .LBB57_2
; %bb.1:
	v_lshlrev_b64 v[5:6], 2, v[3:4]
	s_delay_alu instid0(VALU_DEP_1) | instskip(NEXT) | instid1(VALU_DEP_2)
	v_add_co_u32 v5, vcc_lo, s12, v5
	v_add_co_ci_u32_e32 v6, vcc_lo, s13, v6, vcc_lo
	global_load_b32 v5, v[5:6], off
	s_waitcnt vmcnt(0)
	v_subrev_nc_u32_e32 v6, s16, v5
.LBB57_2:
	s_or_b32 exec_lo, exec_lo, s11
	s_and_saveexec_b32 s11, s3
	s_cbranch_execz .LBB57_4
; %bb.3:
	v_lshlrev_b64 v[2:3], 2, v[3:4]
	s_delay_alu instid0(VALU_DEP_1) | instskip(NEXT) | instid1(VALU_DEP_2)
	v_add_co_u32 v2, vcc_lo, s12, v2
	v_add_co_ci_u32_e32 v3, vcc_lo, s13, v3, vcc_lo
	global_load_b32 v2, v[2:3], off offset:4
	s_waitcnt vmcnt(0)
	v_subrev_nc_u32_e32 v2, s16, v2
.LBB57_4:
	s_or_b32 exec_lo, exec_lo, s11
	s_load_b32 s17, s[0:1], 0x50
	v_mov_b32_e32 v5, 0
	v_lshl_or_b32 v4, s10, 3, v20
	s_mov_b32 s3, exec_lo
	s_delay_alu instid0(VALU_DEP_2) | instskip(NEXT) | instid1(VALU_DEP_2)
	v_mov_b32_e32 v3, v5
	v_cmpx_gt_i64_e64 s[4:5], v[4:5]
	s_cbranch_execz .LBB57_6
; %bb.5:
	s_load_b64 s[4:5], s[0:1], 0x60
	v_lshlrev_b64 v[3:4], 2, v[4:5]
	s_waitcnt lgkmcnt(0)
	s_delay_alu instid0(VALU_DEP_1) | instskip(NEXT) | instid1(VALU_DEP_2)
	v_add_co_u32 v3, vcc_lo, s4, v3
	v_add_co_ci_u32_e32 v4, vcc_lo, s5, v4, vcc_lo
	global_load_b32 v3, v[3:4], off
	s_waitcnt vmcnt(0)
	v_subrev_nc_u32_e32 v3, s17, v3
.LBB57_6:
	s_or_b32 exec_lo, exec_lo, s3
	v_cmp_lt_i64_e64 s3, s[6:7], 1
	s_delay_alu instid0(VALU_DEP_1)
	s_and_b32 vcc_lo, exec_lo, s3
	s_cbranch_vccnz .LBB57_34
; %bb.7:
	v_mbcnt_lo_u32_b32 v13, -1, 0
	v_mad_u64_u32 v[7:8], null, v1, s8, 0
	s_mul_i32 s3, s8, s9
	s_mul_hi_u32 s4, s8, s8
	s_delay_alu instid0(VALU_DEP_2)
	v_xor_b32_e32 v9, 2, v13
	v_xor_b32_e32 v11, 1, v13
	s_add_i32 s10, s4, s3
	s_clause 0x1
	s_load_b64 s[4:5], s[0:1], 0x68
	s_load_b64 s[14:15], s[0:1], 0x58
	v_cmp_gt_i32_e32 vcc_lo, 32, v9
	v_dual_mov_b32 v5, 0 :: v_dual_lshlrev_b32 v10, 2, v1
	s_add_i32 s18, s10, s3
	s_clause 0x2
	s_load_b64 s[10:11], s[0:1], 0x48
	s_load_b64 s[12:13], s[0:1], 0x38
	s_load_b32 s0, s[0:1], 0x0
	v_cndmask_b32_e32 v14, v13, v9, vcc_lo
	v_cmp_gt_i32_e32 vcc_lo, 32, v11
	v_lshlrev_b32_e32 v12, 6, v20
	v_lshl_or_b32 v26, v13, 2, 12
	v_mov_b32_e32 v34, 0
	s_mul_i32 s19, s8, s8
	v_dual_cndmask_b32 v11, v13, v11 :: v_dual_mov_b32 v4, v8
	v_lshl_or_b32 v23, v1, 3, v12
	s_mov_b32 s20, 0
	v_mov_b32_e32 v33, 1
	s_delay_alu instid0(VALU_DEP_3)
	v_lshlrev_b32_e32 v25, 2, v11
	v_mad_u64_u32 v[8:9], null, v1, s9, v[4:5]
	v_xor_b32_e32 v1, 16, v13
	v_xor_b32_e32 v4, 8, v13
	s_waitcnt lgkmcnt(0)
	v_add_co_u32 v21, s1, s14, v10
	v_xor_b32_e32 v10, 4, v13
	v_cmp_gt_i32_e32 vcc_lo, 32, v1
	v_and_b32_e32 v0, 3, v0
	v_lshlrev_b64 v[7:8], 2, v[7:8]
	s_cmp_lg_u32 s0, 0
	v_add_co_ci_u32_e64 v22, null, s15, 0, s1
	v_cndmask_b32_e32 v1, v13, v1, vcc_lo
	v_cmp_gt_i32_e32 vcc_lo, 32, v4
	v_or_b32_e32 v9, 4, v0
	v_mad_u64_u32 v[11:12], null, v0, s8, 0
	s_delay_alu instid0(VALU_DEP_4) | instskip(SKIP_1) | instid1(VALU_DEP_4)
	v_dual_cndmask_b32 v4, v13, v4 :: v_dual_lshlrev_b32 v29, 2, v1
	v_add_co_u32 v27, vcc_lo, s14, v7
	v_mad_u64_u32 v[15:16], null, v9, s8, 0
	v_add_co_ci_u32_e32 v28, vcc_lo, s15, v8, vcc_lo
	v_cmp_gt_i32_e32 vcc_lo, 32, v10
	v_dual_mov_b32 v1, v5 :: v_dual_lshlrev_b32 v30, 2, v4
	s_cselect_b32 s1, -1, 0
	s_delay_alu instid0(VALU_DEP_4)
	v_dual_mov_b32 v7, v16 :: v_dual_cndmask_b32 v8, v13, v10
	v_mov_b32_e32 v4, v12
	v_lshlrev_b32_e32 v24, 2, v14
	v_mov_b32_e32 v10, v5
	v_cmp_gt_u64_e32 vcc_lo, s[8:9], v[0:1]
	v_lshlrev_b32_e32 v31, 2, v8
	v_mad_u64_u32 v[12:13], null, v0, s9, v[4:5]
	v_mad_u64_u32 v[13:14], null, v9, s9, v[7:8]
	v_or_b32_e32 v4, v23, v0
	v_cmp_gt_u64_e64 s0, s[8:9], v[9:10]
	v_mov_b32_e32 v1, 0x7c
	s_and_b32 s21, s2, vcc_lo
	v_lshlrev_b64 v[7:8], 2, v[11:12]
	v_lshlrev_b32_e32 v32, 2, v4
	v_dual_mov_b32 v16, v13 :: v_dual_mov_b32 v13, 0
	v_mov_b32_e32 v14, 0
	s_and_b32 s22, s2, s0
	s_ashr_i32 s2, s9, 31
	s_delay_alu instid0(VALU_DEP_2)
	v_lshlrev_b64 v[9:10], 2, v[15:16]
	s_sub_i32 s23, 0, s8
	s_branch .LBB57_11
.LBB57_8:                               ;   in Loop: Header=BB57_11 Depth=1
	v_mov_b32_e32 v15, s14
.LBB57_9:                               ;   in Loop: Header=BB57_11 Depth=1
	s_or_b32 exec_lo, exec_lo, s3
.LBB57_10:                              ;   in Loop: Header=BB57_11 Depth=1
	s_delay_alu instid0(SALU_CYCLE_1)
	s_or_b32 exec_lo, exec_lo, s0
	ds_bpermute_b32 v13, v29, v11
	ds_bpermute_b32 v14, v29, v12
	s_waitcnt lgkmcnt(0)
	s_waitcnt_vscnt null, 0x0
	buffer_gl0_inv
	buffer_gl0_inv
	v_cmp_lt_i64_e32 vcc_lo, v[13:14], v[11:12]
	v_dual_cndmask_b32 v12, v12, v14 :: v_dual_cndmask_b32 v11, v11, v13
	ds_bpermute_b32 v14, v30, v12
	ds_bpermute_b32 v13, v30, v11
	s_waitcnt lgkmcnt(0)
	v_cmp_lt_i64_e32 vcc_lo, v[13:14], v[11:12]
	v_dual_cndmask_b32 v12, v12, v14 :: v_dual_cndmask_b32 v11, v11, v13
	ds_bpermute_b32 v14, v31, v12
	ds_bpermute_b32 v13, v31, v11
	s_waitcnt lgkmcnt(0)
	v_cmp_lt_i64_e32 vcc_lo, v[13:14], v[11:12]
	v_dual_cndmask_b32 v12, v12, v14 :: v_dual_cndmask_b32 v11, v11, v13
	ds_bpermute_b32 v14, v24, v12
	ds_bpermute_b32 v13, v24, v11
	s_waitcnt lgkmcnt(0)
	v_cmp_lt_i64_e32 vcc_lo, v[13:14], v[11:12]
	v_dual_cndmask_b32 v12, v12, v14 :: v_dual_cndmask_b32 v11, v11, v13
	ds_bpermute_b32 v14, v25, v12
	ds_bpermute_b32 v13, v25, v11
	s_waitcnt lgkmcnt(0)
	v_cmp_lt_i64_e32 vcc_lo, v[13:14], v[11:12]
	v_cndmask_b32_e32 v4, v11, v13, vcc_lo
	ds_bpermute_b32 v13, v1, v4
	s_waitcnt lgkmcnt(0)
	v_dual_mov_b32 v34, v13 :: v_dual_add_nc_u32 v3, v15, v3
	v_ashrrev_i32_e32 v14, 31, v13
	s_delay_alu instid0(VALU_DEP_1) | instskip(SKIP_1) | instid1(SALU_CYCLE_1)
	v_cmp_le_i64_e32 vcc_lo, s[6:7], v[13:14]
	s_or_b32 s20, vcc_lo, s20
	s_and_not1_b32 exec_lo, exec_lo, s20
	s_cbranch_execz .LBB57_34
.LBB57_11:                              ; =>This Loop Header: Depth=1
                                        ;     Child Loop BB57_14 Depth 2
	v_dual_mov_b32 v12, s7 :: v_dual_add_nc_u32 v15, v6, v0
	v_dual_mov_b32 v11, s6 :: v_dual_mov_b32 v6, v2
	s_mov_b32 s24, exec_lo
	ds_store_b8 v20, v5 offset:2048
	ds_store_2addr_b32 v32, v5, v5 offset1:4
	s_waitcnt lgkmcnt(0)
	buffer_gl0_inv
	v_cmpx_lt_i32_e64 v15, v2
	s_cbranch_execz .LBB57_23
; %bb.12:                               ;   in Loop: Header=BB57_11 Depth=1
	v_mad_u64_u32 v[17:18], null, v13, s8, 0
	v_dual_mov_b32 v12, s7 :: v_dual_mov_b32 v11, s6
	v_mov_b32_e32 v4, v2
	s_mov_b32 s25, 0
	s_branch .LBB57_14
.LBB57_13:                              ;   in Loop: Header=BB57_14 Depth=2
	s_or_b32 exec_lo, exec_lo, s3
	s_delay_alu instid0(VALU_DEP_1) | instskip(SKIP_1) | instid1(VALU_DEP_1)
	v_dual_mov_b32 v4, v6 :: v_dual_add_nc_u32 v15, 4, v15
	s_xor_b32 s3, vcc_lo, -1
	v_cmp_ge_i32_e64 s0, v15, v2
	s_delay_alu instid0(VALU_DEP_1) | instskip(NEXT) | instid1(SALU_CYCLE_1)
	s_or_b32 s0, s3, s0
	s_and_b32 s0, exec_lo, s0
	s_delay_alu instid0(SALU_CYCLE_1) | instskip(NEXT) | instid1(SALU_CYCLE_1)
	s_or_b32 s25, s0, s25
	s_and_not1_b32 exec_lo, exec_lo, s25
	s_cbranch_execz .LBB57_22
.LBB57_14:                              ;   Parent Loop BB57_11 Depth=1
                                        ; =>  This Inner Loop Header: Depth=2
	v_ashrrev_i32_e32 v16, 31, v15
	s_mov_b32 s0, exec_lo
	s_delay_alu instid0(VALU_DEP_1) | instskip(NEXT) | instid1(VALU_DEP_1)
	v_lshlrev_b64 v[18:19], 3, v[15:16]
	v_add_co_u32 v18, vcc_lo, s10, v18
	s_delay_alu instid0(VALU_DEP_2) | instskip(SKIP_4) | instid1(VALU_DEP_1)
	v_add_co_ci_u32_e32 v19, vcc_lo, s11, v19, vcc_lo
	global_load_b64 v[18:19], v[18:19], off
	s_waitcnt vmcnt(0)
	v_sub_co_u32 v35, vcc_lo, v18, s16
	v_subrev_co_ci_u32_e32 v36, vcc_lo, 0, v19, vcc_lo
                                        ; implicit-def: $vgpr18_vgpr19
	v_or_b32_e32 v6, s9, v36
	s_delay_alu instid0(VALU_DEP_1)
	v_cmpx_ne_u64_e32 0, v[5:6]
	s_xor_b32 s26, exec_lo, s0
	s_cbranch_execz .LBB57_16
; %bb.15:                               ;   in Loop: Header=BB57_14 Depth=2
	s_add_u32 s14, s8, s2
	s_mov_b32 s3, s2
	s_addc_u32 s15, s9, s2
	s_delay_alu instid0(SALU_CYCLE_1) | instskip(NEXT) | instid1(SALU_CYCLE_1)
	s_xor_b64 s[14:15], s[14:15], s[2:3]
	v_cvt_f32_u32_e32 v6, s14
	v_cvt_f32_u32_e32 v18, s15
	s_sub_u32 s0, 0, s14
	s_subb_u32 s3, 0, s15
	s_delay_alu instid0(VALU_DEP_1) | instskip(NEXT) | instid1(VALU_DEP_1)
	v_fmac_f32_e32 v6, 0x4f800000, v18
	v_rcp_f32_e32 v6, v6
	s_waitcnt_depctr 0xfff
	v_mul_f32_e32 v6, 0x5f7ffffc, v6
	s_delay_alu instid0(VALU_DEP_1) | instskip(NEXT) | instid1(VALU_DEP_1)
	v_mul_f32_e32 v18, 0x2f800000, v6
	v_trunc_f32_e32 v18, v18
	s_delay_alu instid0(VALU_DEP_1) | instskip(SKIP_1) | instid1(VALU_DEP_2)
	v_fmac_f32_e32 v6, 0xcf800000, v18
	v_cvt_u32_f32_e32 v18, v18
	v_cvt_u32_f32_e32 v6, v6
	s_delay_alu instid0(VALU_DEP_2) | instskip(NEXT) | instid1(VALU_DEP_2)
	v_mul_lo_u32 v19, s0, v18
	v_mul_hi_u32 v37, s0, v6
	v_mul_lo_u32 v38, s3, v6
	s_delay_alu instid0(VALU_DEP_2) | instskip(SKIP_1) | instid1(VALU_DEP_2)
	v_add_nc_u32_e32 v19, v37, v19
	v_mul_lo_u32 v37, s0, v6
	v_add_nc_u32_e32 v19, v19, v38
	s_delay_alu instid0(VALU_DEP_2) | instskip(NEXT) | instid1(VALU_DEP_2)
	v_mul_hi_u32 v38, v6, v37
	v_mul_lo_u32 v39, v6, v19
	v_mul_hi_u32 v40, v6, v19
	v_mul_hi_u32 v41, v18, v37
	v_mul_lo_u32 v37, v18, v37
	v_mul_hi_u32 v42, v18, v19
	v_mul_lo_u32 v19, v18, v19
	v_add_co_u32 v38, vcc_lo, v38, v39
	v_add_co_ci_u32_e32 v39, vcc_lo, 0, v40, vcc_lo
	s_delay_alu instid0(VALU_DEP_2) | instskip(NEXT) | instid1(VALU_DEP_2)
	v_add_co_u32 v37, vcc_lo, v38, v37
	v_add_co_ci_u32_e32 v37, vcc_lo, v39, v41, vcc_lo
	v_add_co_ci_u32_e32 v38, vcc_lo, 0, v42, vcc_lo
	v_ashrrev_i32_e32 v41, 31, v36
	s_delay_alu instid0(VALU_DEP_3) | instskip(NEXT) | instid1(VALU_DEP_3)
	v_add_co_u32 v19, vcc_lo, v37, v19
	v_add_co_ci_u32_e32 v37, vcc_lo, 0, v38, vcc_lo
	s_delay_alu instid0(VALU_DEP_2) | instskip(NEXT) | instid1(VALU_DEP_2)
	v_add_co_u32 v6, vcc_lo, v6, v19
	v_add_co_ci_u32_e32 v18, vcc_lo, v18, v37, vcc_lo
	s_delay_alu instid0(VALU_DEP_2) | instskip(SKIP_1) | instid1(VALU_DEP_3)
	v_mul_hi_u32 v19, s0, v6
	v_mul_lo_u32 v38, s3, v6
	v_mul_lo_u32 v37, s0, v18
	s_delay_alu instid0(VALU_DEP_1) | instskip(SKIP_1) | instid1(VALU_DEP_2)
	v_add_nc_u32_e32 v19, v19, v37
	v_mul_lo_u32 v37, s0, v6
	v_add_nc_u32_e32 v19, v19, v38
	s_delay_alu instid0(VALU_DEP_2) | instskip(NEXT) | instid1(VALU_DEP_2)
	v_mul_hi_u32 v38, v6, v37
	v_mul_lo_u32 v39, v6, v19
	v_mul_hi_u32 v40, v6, v19
	v_mul_hi_u32 v42, v18, v37
	v_mul_lo_u32 v37, v18, v37
	v_mul_hi_u32 v43, v18, v19
	v_mul_lo_u32 v19, v18, v19
	v_add_co_u32 v38, vcc_lo, v38, v39
	v_add_co_ci_u32_e32 v39, vcc_lo, 0, v40, vcc_lo
	s_delay_alu instid0(VALU_DEP_2) | instskip(NEXT) | instid1(VALU_DEP_2)
	v_add_co_u32 v37, vcc_lo, v38, v37
	v_add_co_ci_u32_e32 v37, vcc_lo, v39, v42, vcc_lo
	v_add_co_ci_u32_e32 v38, vcc_lo, 0, v43, vcc_lo
	v_add_co_u32 v39, vcc_lo, v35, v41
	v_add_co_ci_u32_e32 v36, vcc_lo, v36, v41, vcc_lo
	s_delay_alu instid0(VALU_DEP_4) | instskip(NEXT) | instid1(VALU_DEP_4)
	v_add_co_u32 v19, vcc_lo, v37, v19
	v_add_co_ci_u32_e32 v37, vcc_lo, 0, v38, vcc_lo
	s_delay_alu instid0(VALU_DEP_4) | instskip(NEXT) | instid1(VALU_DEP_3)
	v_xor_b32_e32 v40, v39, v41
	v_add_co_u32 v6, vcc_lo, v6, v19
	s_delay_alu instid0(VALU_DEP_3) | instskip(SKIP_1) | instid1(VALU_DEP_3)
	v_add_co_ci_u32_e32 v42, vcc_lo, v18, v37, vcc_lo
	v_xor_b32_e32 v43, v36, v41
	v_mul_hi_u32 v44, v40, v6
	s_delay_alu instid0(VALU_DEP_3) | instskip(NEXT) | instid1(VALU_DEP_3)
	v_mad_u64_u32 v[18:19], null, v40, v42, 0
	v_mad_u64_u32 v[36:37], null, v43, v6, 0
	;; [unrolled: 1-line block ×3, first 2 shown]
	s_delay_alu instid0(VALU_DEP_3) | instskip(NEXT) | instid1(VALU_DEP_4)
	v_add_co_u32 v6, vcc_lo, v44, v18
	v_add_co_ci_u32_e32 v18, vcc_lo, 0, v19, vcc_lo
	s_delay_alu instid0(VALU_DEP_2) | instskip(NEXT) | instid1(VALU_DEP_2)
	v_add_co_u32 v6, vcc_lo, v6, v36
	v_add_co_ci_u32_e32 v6, vcc_lo, v18, v37, vcc_lo
	v_add_co_ci_u32_e32 v18, vcc_lo, 0, v39, vcc_lo
	s_delay_alu instid0(VALU_DEP_2) | instskip(NEXT) | instid1(VALU_DEP_2)
	v_add_co_u32 v6, vcc_lo, v6, v38
	v_add_co_ci_u32_e32 v36, vcc_lo, 0, v18, vcc_lo
	s_delay_alu instid0(VALU_DEP_2) | instskip(SKIP_1) | instid1(VALU_DEP_3)
	v_mul_lo_u32 v37, s15, v6
	v_mad_u64_u32 v[18:19], null, s14, v6, 0
	v_mul_lo_u32 v38, s14, v36
	s_delay_alu instid0(VALU_DEP_2) | instskip(NEXT) | instid1(VALU_DEP_2)
	v_sub_co_u32 v18, vcc_lo, v40, v18
	v_add3_u32 v19, v19, v38, v37
	s_delay_alu instid0(VALU_DEP_1) | instskip(NEXT) | instid1(VALU_DEP_1)
	v_sub_nc_u32_e32 v37, v43, v19
	v_subrev_co_ci_u32_e64 v37, s0, s15, v37, vcc_lo
	v_add_co_u32 v38, s0, v6, 2
	s_delay_alu instid0(VALU_DEP_1) | instskip(SKIP_3) | instid1(VALU_DEP_3)
	v_add_co_ci_u32_e64 v39, s0, 0, v36, s0
	v_sub_co_u32 v40, s0, v18, s14
	v_sub_co_ci_u32_e32 v19, vcc_lo, v43, v19, vcc_lo
	v_subrev_co_ci_u32_e64 v37, s0, 0, v37, s0
	v_cmp_le_u32_e32 vcc_lo, s14, v40
	s_delay_alu instid0(VALU_DEP_3) | instskip(SKIP_1) | instid1(VALU_DEP_4)
	v_cmp_eq_u32_e64 s0, s15, v19
	v_cndmask_b32_e64 v40, 0, -1, vcc_lo
	v_cmp_le_u32_e32 vcc_lo, s15, v37
	v_cndmask_b32_e64 v42, 0, -1, vcc_lo
	v_cmp_le_u32_e32 vcc_lo, s14, v18
	v_cndmask_b32_e64 v18, 0, -1, vcc_lo
	v_cmp_le_u32_e32 vcc_lo, s15, v19
	v_cndmask_b32_e64 v43, 0, -1, vcc_lo
	v_cmp_eq_u32_e32 vcc_lo, s15, v37
	s_delay_alu instid0(VALU_DEP_2) | instskip(SKIP_3) | instid1(VALU_DEP_3)
	v_cndmask_b32_e64 v18, v43, v18, s0
	v_cndmask_b32_e32 v37, v42, v40, vcc_lo
	v_add_co_u32 v40, vcc_lo, v6, 1
	v_add_co_ci_u32_e32 v42, vcc_lo, 0, v36, vcc_lo
	v_cmp_ne_u32_e32 vcc_lo, 0, v37
	s_delay_alu instid0(VALU_DEP_2) | instskip(NEXT) | instid1(VALU_DEP_4)
	v_cndmask_b32_e32 v19, v42, v39, vcc_lo
	v_cndmask_b32_e32 v37, v40, v38, vcc_lo
	v_cmp_ne_u32_e32 vcc_lo, 0, v18
	v_xor_b32_e32 v38, s2, v41
	s_delay_alu instid0(VALU_DEP_3) | instskip(SKIP_1) | instid1(VALU_DEP_2)
	v_cndmask_b32_e32 v6, v6, v37, vcc_lo
	v_cndmask_b32_e32 v18, v36, v19, vcc_lo
	v_xor_b32_e32 v6, v6, v38
	s_delay_alu instid0(VALU_DEP_2) | instskip(NEXT) | instid1(VALU_DEP_2)
	v_xor_b32_e32 v19, v18, v38
	v_sub_co_u32 v18, vcc_lo, v6, v38
	s_delay_alu instid0(VALU_DEP_2)
	v_sub_co_ci_u32_e32 v19, vcc_lo, v19, v38, vcc_lo
.LBB57_16:                              ;   in Loop: Header=BB57_14 Depth=2
	s_and_not1_saveexec_b32 s0, s26
	s_cbranch_execz .LBB57_18
; %bb.17:                               ;   in Loop: Header=BB57_14 Depth=2
	v_cvt_f32_u32_e32 v6, s8
	s_delay_alu instid0(VALU_DEP_1) | instskip(SKIP_2) | instid1(VALU_DEP_1)
	v_rcp_iflag_f32_e32 v6, v6
	s_waitcnt_depctr 0xfff
	v_mul_f32_e32 v6, 0x4f7ffffe, v6
	v_cvt_u32_f32_e32 v6, v6
	s_delay_alu instid0(VALU_DEP_1) | instskip(NEXT) | instid1(VALU_DEP_1)
	v_mul_lo_u32 v18, s23, v6
	v_mul_hi_u32 v18, v6, v18
	s_delay_alu instid0(VALU_DEP_1) | instskip(NEXT) | instid1(VALU_DEP_1)
	v_add_nc_u32_e32 v6, v6, v18
	v_mul_hi_u32 v6, v35, v6
	s_delay_alu instid0(VALU_DEP_1) | instskip(NEXT) | instid1(VALU_DEP_1)
	v_mul_lo_u32 v18, v6, s8
	v_sub_nc_u32_e32 v18, v35, v18
	s_delay_alu instid0(VALU_DEP_1) | instskip(SKIP_1) | instid1(VALU_DEP_2)
	v_subrev_nc_u32_e32 v36, s8, v18
	v_cmp_le_u32_e32 vcc_lo, s8, v18
	v_dual_cndmask_b32 v18, v18, v36 :: v_dual_add_nc_u32 v19, 1, v6
	s_delay_alu instid0(VALU_DEP_1) | instskip(NEXT) | instid1(VALU_DEP_2)
	v_cndmask_b32_e32 v6, v6, v19, vcc_lo
	v_cmp_le_u32_e32 vcc_lo, s8, v18
	s_delay_alu instid0(VALU_DEP_2) | instskip(NEXT) | instid1(VALU_DEP_1)
	v_add_nc_u32_e32 v19, 1, v6
	v_dual_cndmask_b32 v18, v6, v19 :: v_dual_mov_b32 v19, v5
.LBB57_18:                              ;   in Loop: Header=BB57_14 Depth=2
	s_or_b32 exec_lo, exec_lo, s0
	s_delay_alu instid0(VALU_DEP_1)
	v_cmp_eq_u64_e32 vcc_lo, v[18:19], v[13:14]
	s_mov_b32 s3, exec_lo
	v_cmpx_ne_u64_e64 v[18:19], v[13:14]
	s_xor_b32 s3, exec_lo, s3
; %bb.19:                               ;   in Loop: Header=BB57_14 Depth=2
	v_cmp_lt_i64_e64 s0, v[18:19], v[11:12]
                                        ; implicit-def: $vgpr35
                                        ; implicit-def: $vgpr4
	s_delay_alu instid0(VALU_DEP_1)
	v_cndmask_b32_e64 v12, v12, v19, s0
	v_cndmask_b32_e64 v11, v11, v18, s0
; %bb.20:                               ;   in Loop: Header=BB57_14 Depth=2
	s_or_saveexec_b32 s3, s3
	v_mov_b32_e32 v6, v15
	s_xor_b32 exec_lo, exec_lo, s3
	s_cbranch_execz .LBB57_13
; %bb.21:                               ;   in Loop: Header=BB57_14 Depth=2
	v_lshlrev_b64 v[18:19], 2, v[15:16]
	v_sub_nc_u32_e32 v6, v35, v17
	s_delay_alu instid0(VALU_DEP_2) | instskip(NEXT) | instid1(VALU_DEP_1)
	v_add_co_u32 v18, s0, s12, v18
	v_add_co_ci_u32_e64 v19, s0, s13, v19, s0
	global_load_b32 v16, v[18:19], off
	v_add_lshl_u32 v18, v23, v6, 2
	v_mov_b32_e32 v6, v4
	ds_store_b8 v20, v33 offset:2048
	s_waitcnt vmcnt(0)
	ds_store_b32 v18, v16
	s_branch .LBB57_13
.LBB57_22:                              ;   in Loop: Header=BB57_11 Depth=1
	s_or_b32 exec_lo, exec_lo, s25
.LBB57_23:                              ;   in Loop: Header=BB57_11 Depth=1
	s_delay_alu instid0(SALU_CYCLE_1)
	s_or_b32 exec_lo, exec_lo, s24
	ds_bpermute_b32 v4, v24, v6
	s_waitcnt lgkmcnt(0)
	buffer_gl0_inv
	ds_load_u8 v13, v20 offset:2048
	s_mov_b32 s0, exec_lo
	v_mov_b32_e32 v15, 0
	v_min_i32_e32 v4, v4, v6
	ds_bpermute_b32 v6, v25, v4
	s_waitcnt lgkmcnt(0)
	v_min_i32_e32 v4, v6, v4
	ds_bpermute_b32 v6, v26, v4
	v_and_b32_e32 v4, 1, v13
	s_delay_alu instid0(VALU_DEP_1)
	v_cmpx_eq_u32_e32 1, v4
	s_cbranch_execz .LBB57_10
; %bb.24:                               ;   in Loop: Header=BB57_11 Depth=1
	v_ashrrev_i32_e32 v4, 31, v3
	v_mul_lo_u32 v15, s18, v3
	v_mad_u64_u32 v[13:14], null, s19, v3, 0
	v_add_nc_u32_e32 v17, s17, v34
	s_delay_alu instid0(VALU_DEP_4) | instskip(NEXT) | instid1(VALU_DEP_2)
	v_mul_lo_u32 v16, s19, v4
	v_ashrrev_i32_e32 v18, 31, v17
	s_delay_alu instid0(VALU_DEP_2) | instskip(SKIP_1) | instid1(VALU_DEP_2)
	v_add3_u32 v14, v14, v16, v15
	v_lshlrev_b64 v[15:16], 3, v[3:4]
	v_lshlrev_b64 v[34:35], 2, v[13:14]
	s_delay_alu instid0(VALU_DEP_2) | instskip(NEXT) | instid1(VALU_DEP_3)
	v_add_co_u32 v36, vcc_lo, s4, v15
	v_add_co_ci_u32_e32 v37, vcc_lo, s5, v16, vcc_lo
	s_delay_alu instid0(VALU_DEP_3) | instskip(NEXT) | instid1(VALU_DEP_4)
	v_add_co_u32 v14, vcc_lo, v21, v34
	v_add_co_ci_u32_e32 v16, vcc_lo, v22, v35, vcc_lo
	v_add_co_u32 v4, vcc_lo, v27, v34
	v_add_co_ci_u32_e32 v13, vcc_lo, v28, v35, vcc_lo
	global_store_b64 v[36:37], v[17:18], off
	s_and_saveexec_b32 s3, s21
	s_cbranch_execz .LBB57_28
; %bb.25:                               ;   in Loop: Header=BB57_11 Depth=1
	s_and_b32 vcc_lo, exec_lo, s1
	s_cbranch_vccz .LBB57_31
; %bb.26:                               ;   in Loop: Header=BB57_11 Depth=1
	ds_load_b32 v15, v32
	v_add_co_u32 v17, vcc_lo, v14, v7
	v_add_co_ci_u32_e32 v18, vcc_lo, v16, v8, vcc_lo
	s_waitcnt lgkmcnt(0)
	global_store_b32 v[17:18], v15, off
	s_cbranch_execnz .LBB57_28
.LBB57_27:                              ;   in Loop: Header=BB57_11 Depth=1
	ds_load_b32 v15, v32
	v_lshlrev_b32_e32 v17, 2, v0
	s_delay_alu instid0(VALU_DEP_1)
	v_add_co_u32 v17, vcc_lo, v4, v17
	v_add_co_ci_u32_e32 v18, vcc_lo, 0, v13, vcc_lo
	s_waitcnt lgkmcnt(0)
	global_store_b32 v[17:18], v15, off
.LBB57_28:                              ;   in Loop: Header=BB57_11 Depth=1
	s_or_b32 exec_lo, exec_lo, s3
	v_mov_b32_e32 v15, 1
	s_and_saveexec_b32 s3, s22
	s_cbranch_execz .LBB57_9
; %bb.29:                               ;   in Loop: Header=BB57_11 Depth=1
	s_and_not1_b32 vcc_lo, exec_lo, s1
	s_cbranch_vccnz .LBB57_32
; %bb.30:                               ;   in Loop: Header=BB57_11 Depth=1
	ds_load_b32 v17, v32 offset:16
	v_add_co_u32 v14, vcc_lo, v14, v9
	v_add_co_ci_u32_e32 v15, vcc_lo, v16, v10, vcc_lo
	s_mov_b32 s14, 1
	s_waitcnt lgkmcnt(0)
	global_store_b32 v[14:15], v17, off
	s_cbranch_execnz .LBB57_8
	s_branch .LBB57_33
.LBB57_31:                              ;   in Loop: Header=BB57_11 Depth=1
	s_branch .LBB57_27
.LBB57_32:                              ;   in Loop: Header=BB57_11 Depth=1
                                        ; implicit-def: $sgpr14
.LBB57_33:                              ;   in Loop: Header=BB57_11 Depth=1
	ds_load_b32 v16, v32 offset:16
	v_lshlrev_b32_e32 v14, 2, v0
	s_mov_b32 s14, 1
	s_delay_alu instid0(VALU_DEP_1)
	v_add_co_u32 v14, vcc_lo, v4, v14
	v_add_co_ci_u32_e32 v15, vcc_lo, 0, v13, vcc_lo
	s_waitcnt lgkmcnt(0)
	global_store_b32 v[14:15], v16, off offset:16
	s_branch .LBB57_8
.LBB57_34:
	s_endpgm
	.section	.rodata,"a",@progbits
	.p2align	6, 0x0
	.amdhsa_kernel _ZN9rocsparseL42csr2bsr_wavefront_per_row_multipass_kernelILj256ELj32ELj8EfilEEv20rocsparse_direction_T4_S2_S2_S2_S2_21rocsparse_index_base_PKT2_PKT3_PKS2_S3_PS4_PS7_PS2_
		.amdhsa_group_segment_fixed_size 2056
		.amdhsa_private_segment_fixed_size 0
		.amdhsa_kernarg_size 112
		.amdhsa_user_sgpr_count 15
		.amdhsa_user_sgpr_dispatch_ptr 0
		.amdhsa_user_sgpr_queue_ptr 0
		.amdhsa_user_sgpr_kernarg_segment_ptr 1
		.amdhsa_user_sgpr_dispatch_id 0
		.amdhsa_user_sgpr_private_segment_size 0
		.amdhsa_wavefront_size32 1
		.amdhsa_uses_dynamic_stack 0
		.amdhsa_enable_private_segment 0
		.amdhsa_system_sgpr_workgroup_id_x 1
		.amdhsa_system_sgpr_workgroup_id_y 0
		.amdhsa_system_sgpr_workgroup_id_z 0
		.amdhsa_system_sgpr_workgroup_info 0
		.amdhsa_system_vgpr_workitem_id 0
		.amdhsa_next_free_vgpr 45
		.amdhsa_next_free_sgpr 27
		.amdhsa_reserve_vcc 1
		.amdhsa_float_round_mode_32 0
		.amdhsa_float_round_mode_16_64 0
		.amdhsa_float_denorm_mode_32 3
		.amdhsa_float_denorm_mode_16_64 3
		.amdhsa_dx10_clamp 1
		.amdhsa_ieee_mode 1
		.amdhsa_fp16_overflow 0
		.amdhsa_workgroup_processor_mode 1
		.amdhsa_memory_ordered 1
		.amdhsa_forward_progress 0
		.amdhsa_shared_vgpr_count 0
		.amdhsa_exception_fp_ieee_invalid_op 0
		.amdhsa_exception_fp_denorm_src 0
		.amdhsa_exception_fp_ieee_div_zero 0
		.amdhsa_exception_fp_ieee_overflow 0
		.amdhsa_exception_fp_ieee_underflow 0
		.amdhsa_exception_fp_ieee_inexact 0
		.amdhsa_exception_int_div_zero 0
	.end_amdhsa_kernel
	.section	.text._ZN9rocsparseL42csr2bsr_wavefront_per_row_multipass_kernelILj256ELj32ELj8EfilEEv20rocsparse_direction_T4_S2_S2_S2_S2_21rocsparse_index_base_PKT2_PKT3_PKS2_S3_PS4_PS7_PS2_,"axG",@progbits,_ZN9rocsparseL42csr2bsr_wavefront_per_row_multipass_kernelILj256ELj32ELj8EfilEEv20rocsparse_direction_T4_S2_S2_S2_S2_21rocsparse_index_base_PKT2_PKT3_PKS2_S3_PS4_PS7_PS2_,comdat
.Lfunc_end57:
	.size	_ZN9rocsparseL42csr2bsr_wavefront_per_row_multipass_kernelILj256ELj32ELj8EfilEEv20rocsparse_direction_T4_S2_S2_S2_S2_21rocsparse_index_base_PKT2_PKT3_PKS2_S3_PS4_PS7_PS2_, .Lfunc_end57-_ZN9rocsparseL42csr2bsr_wavefront_per_row_multipass_kernelILj256ELj32ELj8EfilEEv20rocsparse_direction_T4_S2_S2_S2_S2_21rocsparse_index_base_PKT2_PKT3_PKS2_S3_PS4_PS7_PS2_
                                        ; -- End function
	.section	.AMDGPU.csdata,"",@progbits
; Kernel info:
; codeLenInByte = 2776
; NumSgprs: 29
; NumVgprs: 45
; ScratchSize: 0
; MemoryBound: 0
; FloatMode: 240
; IeeeMode: 1
; LDSByteSize: 2056 bytes/workgroup (compile time only)
; SGPRBlocks: 3
; VGPRBlocks: 5
; NumSGPRsForWavesPerEU: 29
; NumVGPRsForWavesPerEU: 45
; Occupancy: 16
; WaveLimiterHint : 0
; COMPUTE_PGM_RSRC2:SCRATCH_EN: 0
; COMPUTE_PGM_RSRC2:USER_SGPR: 15
; COMPUTE_PGM_RSRC2:TRAP_HANDLER: 0
; COMPUTE_PGM_RSRC2:TGID_X_EN: 1
; COMPUTE_PGM_RSRC2:TGID_Y_EN: 0
; COMPUTE_PGM_RSRC2:TGID_Z_EN: 0
; COMPUTE_PGM_RSRC2:TIDIG_COMP_CNT: 0
	.section	.text._ZN9rocsparseL42csr2bsr_wavefront_per_row_multipass_kernelILj256ELj64ELj16EfilEEv20rocsparse_direction_T4_S2_S2_S2_S2_21rocsparse_index_base_PKT2_PKT3_PKS2_S3_PS4_PS7_PS2_,"axG",@progbits,_ZN9rocsparseL42csr2bsr_wavefront_per_row_multipass_kernelILj256ELj64ELj16EfilEEv20rocsparse_direction_T4_S2_S2_S2_S2_21rocsparse_index_base_PKT2_PKT3_PKS2_S3_PS4_PS7_PS2_,comdat
	.globl	_ZN9rocsparseL42csr2bsr_wavefront_per_row_multipass_kernelILj256ELj64ELj16EfilEEv20rocsparse_direction_T4_S2_S2_S2_S2_21rocsparse_index_base_PKT2_PKT3_PKS2_S3_PS4_PS7_PS2_ ; -- Begin function _ZN9rocsparseL42csr2bsr_wavefront_per_row_multipass_kernelILj256ELj64ELj16EfilEEv20rocsparse_direction_T4_S2_S2_S2_S2_21rocsparse_index_base_PKT2_PKT3_PKS2_S3_PS4_PS7_PS2_
	.p2align	8
	.type	_ZN9rocsparseL42csr2bsr_wavefront_per_row_multipass_kernelILj256ELj64ELj16EfilEEv20rocsparse_direction_T4_S2_S2_S2_S2_21rocsparse_index_base_PKT2_PKT3_PKS2_S3_PS4_PS7_PS2_,@function
_ZN9rocsparseL42csr2bsr_wavefront_per_row_multipass_kernelILj256ELj64ELj16EfilEEv20rocsparse_direction_T4_S2_S2_S2_S2_21rocsparse_index_base_PKT2_PKT3_PKS2_S3_PS4_PS7_PS2_: ; @_ZN9rocsparseL42csr2bsr_wavefront_per_row_multipass_kernelILj256ELj64ELj16EfilEEv20rocsparse_direction_T4_S2_S2_S2_S2_21rocsparse_index_base_PKT2_PKT3_PKS2_S3_PS4_PS7_PS2_
; %bb.0:
	s_load_b64 s[8:9], s[0:1], 0x28
	v_lshrrev_b32_e32 v24, 6, v0
	s_mov_b32 s10, s15
	s_ashr_i32 s11, s15, 31
	s_clause 0x1
	s_load_b64 s[14:15], s[0:1], 0x8
	s_load_b128 s[4:7], s[0:1], 0x18
	s_lshl_b64 s[2:3], s[10:11], 2
	v_mov_b32_e32 v2, 0
	v_or_b32_e32 v5, s2, v24
	v_bfe_u32 v1, v0, 2, 4
	s_clause 0x1
	s_load_b32 s16, s[0:1], 0x30
	s_load_b64 s[12:13], s[0:1], 0x40
	s_waitcnt lgkmcnt(0)
	v_mul_lo_u32 v6, v5, s9
	v_mad_u64_u32 v[3:4], null, v5, s8, v[1:2]
	s_mul_i32 s2, s3, s8
	s_delay_alu instid0(VALU_DEP_1) | instid1(SALU_CYCLE_1)
	v_add3_u32 v4, s2, v4, v6
	v_cmp_gt_i64_e64 s2, s[8:9], v[1:2]
	v_mov_b32_e32 v6, v2
	s_delay_alu instid0(VALU_DEP_3) | instskip(NEXT) | instid1(VALU_DEP_3)
	v_cmp_gt_i64_e32 vcc_lo, s[14:15], v[3:4]
	s_and_b32 s3, s2, vcc_lo
	s_delay_alu instid0(SALU_CYCLE_1)
	s_and_saveexec_b32 s11, s3
	s_cbranch_execz .LBB58_2
; %bb.1:
	v_lshlrev_b64 v[5:6], 2, v[3:4]
	s_delay_alu instid0(VALU_DEP_1) | instskip(NEXT) | instid1(VALU_DEP_2)
	v_add_co_u32 v5, vcc_lo, s12, v5
	v_add_co_ci_u32_e32 v6, vcc_lo, s13, v6, vcc_lo
	global_load_b32 v5, v[5:6], off
	s_waitcnt vmcnt(0)
	v_subrev_nc_u32_e32 v6, s16, v5
.LBB58_2:
	s_or_b32 exec_lo, exec_lo, s11
	s_and_saveexec_b32 s11, s3
	s_cbranch_execz .LBB58_4
; %bb.3:
	v_lshlrev_b64 v[2:3], 2, v[3:4]
	s_delay_alu instid0(VALU_DEP_1) | instskip(NEXT) | instid1(VALU_DEP_2)
	v_add_co_u32 v2, vcc_lo, s12, v2
	v_add_co_ci_u32_e32 v3, vcc_lo, s13, v3, vcc_lo
	global_load_b32 v2, v[2:3], off offset:4
	s_waitcnt vmcnt(0)
	v_subrev_nc_u32_e32 v2, s16, v2
.LBB58_4:
	s_or_b32 exec_lo, exec_lo, s11
	s_load_b32 s17, s[0:1], 0x50
	v_mov_b32_e32 v5, 0
	v_lshl_or_b32 v4, s10, 2, v24
	s_mov_b32 s3, exec_lo
	s_delay_alu instid0(VALU_DEP_2) | instskip(NEXT) | instid1(VALU_DEP_2)
	v_mov_b32_e32 v3, v5
	v_cmpx_gt_i64_e64 s[4:5], v[4:5]
	s_cbranch_execz .LBB58_6
; %bb.5:
	s_load_b64 s[4:5], s[0:1], 0x60
	v_lshlrev_b64 v[3:4], 2, v[4:5]
	s_waitcnt lgkmcnt(0)
	s_delay_alu instid0(VALU_DEP_1) | instskip(NEXT) | instid1(VALU_DEP_2)
	v_add_co_u32 v3, vcc_lo, s4, v3
	v_add_co_ci_u32_e32 v4, vcc_lo, s5, v4, vcc_lo
	global_load_b32 v3, v[3:4], off
	s_waitcnt vmcnt(0)
	v_subrev_nc_u32_e32 v3, s17, v3
.LBB58_6:
	s_or_b32 exec_lo, exec_lo, s3
	v_cmp_lt_i64_e64 s3, s[6:7], 1
	s_delay_alu instid0(VALU_DEP_1)
	s_and_b32 vcc_lo, exec_lo, s3
	s_cbranch_vccnz .LBB58_44
; %bb.7:
	v_mbcnt_lo_u32_b32 v11, -1, 0
	v_mad_u64_u32 v[7:8], null, v1, s8, 0
	s_load_b64 s[14:15], s[0:1], 0x58
	v_dual_mov_b32 v5, 0 :: v_dual_lshlrev_b32 v10, 2, v1
	s_delay_alu instid0(VALU_DEP_3)
	v_xor_b32_e32 v12, 2, v11
	v_xor_b32_e32 v13, 1, v11
	s_mul_i32 s3, s8, s9
	s_mul_hi_u32 s4, s8, s8
	v_lshl_or_b32 v30, v11, 2, 12
	v_cmp_gt_i32_e32 vcc_lo, 32, v12
	v_mov_b32_e32 v4, v8
	s_add_i32 s10, s4, s3
	s_load_b64 s[4:5], s[0:1], 0x68
	s_add_i32 s18, s10, s3
	s_clause 0x2
	s_load_b64 s[10:11], s[0:1], 0x48
	s_load_b64 s[12:13], s[0:1], 0x38
	s_load_b32 s0, s[0:1], 0x0
	v_mad_u64_u32 v[8:9], null, v1, s9, v[4:5]
	v_cndmask_b32_e32 v9, v11, v12, vcc_lo
	v_lshlrev_b32_e32 v4, 8, v24
	v_cmp_gt_i32_e32 vcc_lo, 32, v13
	v_mov_b32_e32 v12, v5
	s_waitcnt lgkmcnt(0)
	v_add_co_u32 v25, s1, s14, v10
	v_lshlrev_b64 v[7:8], 2, v[7:8]
	v_lshl_or_b32 v27, v1, 4, v4
	v_or_b32_e32 v1, 32, v11
	v_cndmask_b32_e32 v10, v11, v13, vcc_lo
	v_xor_b32_e32 v4, 16, v11
	v_lshlrev_b32_e32 v28, 2, v9
	v_add_co_u32 v31, vcc_lo, s14, v7
	v_add_co_ci_u32_e32 v32, vcc_lo, s15, v8, vcc_lo
	v_cmp_gt_i32_e32 vcc_lo, 32, v1
	v_xor_b32_e32 v7, 8, v11
	v_xor_b32_e32 v8, 4, v11
	v_add_co_ci_u32_e64 v26, null, s15, 0, s1
	v_cndmask_b32_e32 v1, v11, v1, vcc_lo
	v_cmp_gt_i32_e32 vcc_lo, 32, v4
	s_cmp_lg_u32 s0, 0
	v_bfrev_b32_e32 v37, 0.5
	s_mul_i32 s19, s8, s8
	v_dual_cndmask_b32 v4, v11, v4 :: v_dual_lshlrev_b32 v33, 2, v1
	v_cmp_gt_i32_e32 vcc_lo, 32, v7
	v_and_b32_e32 v0, 3, v0
	s_mov_b32 s20, 0
	s_cselect_b32 s21, -1, 0
	s_sub_i32 s25, 0, s8
	v_cndmask_b32_e32 v7, v11, v7, vcc_lo
	v_cmp_gt_i32_e32 vcc_lo, 32, v8
	v_or_b32_e32 v1, v27, v0
	v_or_b32_e32 v15, 12, v0
	s_delay_alu instid0(VALU_DEP_4) | instskip(SKIP_4) | instid1(VALU_DEP_4)
	v_lshlrev_b32_e32 v35, 2, v7
	v_or_b32_e32 v7, 4, v0
	v_dual_cndmask_b32 v8, v11, v8 :: v_dual_lshlrev_b32 v29, 2, v10
	v_mad_u64_u32 v[9:10], null, v0, s8, 0
	v_or_b32_e32 v11, 8, v0
	v_mad_u64_u32 v[13:14], null, v7, s8, 0
	v_dual_mov_b32 v1, v5 :: v_dual_lshlrev_b32 v38, 2, v1
	s_delay_alu instid0(VALU_DEP_3) | instskip(SKIP_2) | instid1(VALU_DEP_4)
	v_mad_u64_u32 v[19:20], null, v11, s8, 0
	v_mad_u64_u32 v[21:22], null, v15, s8, 0
	v_lshlrev_b32_e32 v34, 2, v4
	v_cmp_gt_u64_e32 vcc_lo, s[8:9], v[0:1]
	v_mov_b32_e32 v1, v10
	v_mov_b32_e32 v4, v14
	v_lshlrev_b32_e32 v36, 2, v8
	v_mov_b32_e32 v8, v5
	v_cmp_gt_u64_e64 s1, s[8:9], v[11:12]
	v_mad_u64_u32 v[16:17], null, v0, s9, v[1:2]
	v_mov_b32_e32 v1, v20
	v_mad_u64_u32 v[17:18], null, v7, s9, v[4:5]
	v_mov_b32_e32 v4, v22
	s_and_b32 s22, s2, vcc_lo
	s_delay_alu instid0(VALU_DEP_3) | instskip(SKIP_1) | instid1(VALU_DEP_3)
	v_mad_u64_u32 v[22:23], null, v11, s9, v[1:2]
	v_mov_b32_e32 v10, v16
	v_mad_u64_u32 v[39:40], null, v15, s9, v[4:5]
	v_mov_b32_e32 v16, v5
	v_dual_mov_b32 v14, v17 :: v_dual_mov_b32 v17, 0
	v_mov_b32_e32 v20, v22
	v_mov_b32_e32 v18, 0
	s_delay_alu instid0(VALU_DEP_4)
	v_cmp_gt_u64_e64 s3, s[8:9], v[15:16]
	v_dual_mov_b32 v22, v39 :: v_dual_mov_b32 v39, 0
	v_cmp_gt_u64_e64 s0, s[8:9], v[7:8]
	v_lshlrev_b64 v[7:8], 2, v[9:10]
	v_lshlrev_b64 v[9:10], 2, v[13:14]
	;; [unrolled: 1-line block ×4, first 2 shown]
	v_mov_b32_e32 v1, 1
	s_and_b32 s23, s2, s0
	s_and_b32 s1, s2, s1
	;; [unrolled: 1-line block ×3, first 2 shown]
	s_ashr_i32 s2, s9, 31
	s_branch .LBB58_11
.LBB58_8:                               ;   in Loop: Header=BB58_11 Depth=1
	v_mov_b32_e32 v20, s14
.LBB58_9:                               ;   in Loop: Header=BB58_11 Depth=1
	s_or_b32 exec_lo, exec_lo, s3
.LBB58_10:                              ;   in Loop: Header=BB58_11 Depth=1
	s_delay_alu instid0(SALU_CYCLE_1)
	s_or_b32 exec_lo, exec_lo, s0
	ds_bpermute_b32 v17, v33, v15
	ds_bpermute_b32 v18, v33, v16
	s_waitcnt lgkmcnt(0)
	s_waitcnt_vscnt null, 0x0
	buffer_gl0_inv
	buffer_gl0_inv
	v_add_nc_u32_e32 v3, v20, v3
	v_cmp_lt_i64_e32 vcc_lo, v[17:18], v[15:16]
	v_dual_cndmask_b32 v16, v16, v18 :: v_dual_cndmask_b32 v15, v15, v17
	ds_bpermute_b32 v18, v34, v16
	ds_bpermute_b32 v17, v34, v15
	s_waitcnt lgkmcnt(0)
	v_cmp_lt_i64_e32 vcc_lo, v[17:18], v[15:16]
	v_dual_cndmask_b32 v16, v16, v18 :: v_dual_cndmask_b32 v15, v15, v17
	ds_bpermute_b32 v18, v35, v16
	ds_bpermute_b32 v17, v35, v15
	s_waitcnt lgkmcnt(0)
	;; [unrolled: 5-line block ×5, first 2 shown]
	v_cmp_lt_i64_e32 vcc_lo, v[17:18], v[15:16]
	v_cndmask_b32_e32 v4, v15, v17, vcc_lo
	ds_bpermute_b32 v17, v37, v4
	s_waitcnt lgkmcnt(0)
	v_ashrrev_i32_e32 v18, 31, v17
	v_mov_b32_e32 v39, v17
	s_delay_alu instid0(VALU_DEP_2) | instskip(SKIP_1) | instid1(SALU_CYCLE_1)
	v_cmp_le_i64_e32 vcc_lo, s[6:7], v[17:18]
	s_or_b32 s20, vcc_lo, s20
	s_and_not1_b32 exec_lo, exec_lo, s20
	s_cbranch_execz .LBB58_44
.LBB58_11:                              ; =>This Loop Header: Depth=1
                                        ;     Child Loop BB58_14 Depth 2
	v_dual_mov_b32 v16, s7 :: v_dual_add_nc_u32 v19, v6, v0
	v_dual_mov_b32 v15, s6 :: v_dual_mov_b32 v6, v2
	s_mov_b32 s26, exec_lo
	ds_store_b8 v24, v5 offset:4096
	ds_store_2addr_b32 v38, v5, v5 offset1:4
	ds_store_2addr_b32 v38, v5, v5 offset0:8 offset1:12
	s_waitcnt lgkmcnt(0)
	buffer_gl0_inv
	v_cmpx_lt_i32_e64 v19, v2
	s_cbranch_execz .LBB58_23
; %bb.12:                               ;   in Loop: Header=BB58_11 Depth=1
	v_mad_u64_u32 v[21:22], null, v17, s8, 0
	v_dual_mov_b32 v16, s7 :: v_dual_mov_b32 v15, s6
	v_mov_b32_e32 v4, v2
	s_mov_b32 s27, 0
	s_branch .LBB58_14
.LBB58_13:                              ;   in Loop: Header=BB58_14 Depth=2
	s_or_b32 exec_lo, exec_lo, s3
	s_delay_alu instid0(VALU_DEP_1) | instskip(SKIP_1) | instid1(VALU_DEP_1)
	v_dual_mov_b32 v4, v6 :: v_dual_add_nc_u32 v19, 4, v19
	s_xor_b32 s3, vcc_lo, -1
	v_cmp_ge_i32_e64 s0, v19, v2
	s_delay_alu instid0(VALU_DEP_1) | instskip(NEXT) | instid1(SALU_CYCLE_1)
	s_or_b32 s0, s3, s0
	s_and_b32 s0, exec_lo, s0
	s_delay_alu instid0(SALU_CYCLE_1) | instskip(NEXT) | instid1(SALU_CYCLE_1)
	s_or_b32 s27, s0, s27
	s_and_not1_b32 exec_lo, exec_lo, s27
	s_cbranch_execz .LBB58_22
.LBB58_14:                              ;   Parent Loop BB58_11 Depth=1
                                        ; =>  This Inner Loop Header: Depth=2
	v_ashrrev_i32_e32 v20, 31, v19
	s_mov_b32 s0, exec_lo
	s_delay_alu instid0(VALU_DEP_1) | instskip(NEXT) | instid1(VALU_DEP_1)
	v_lshlrev_b64 v[22:23], 3, v[19:20]
	v_add_co_u32 v22, vcc_lo, s10, v22
	s_delay_alu instid0(VALU_DEP_2) | instskip(SKIP_4) | instid1(VALU_DEP_1)
	v_add_co_ci_u32_e32 v23, vcc_lo, s11, v23, vcc_lo
	global_load_b64 v[22:23], v[22:23], off
	s_waitcnt vmcnt(0)
	v_sub_co_u32 v40, vcc_lo, v22, s16
	v_subrev_co_ci_u32_e32 v41, vcc_lo, 0, v23, vcc_lo
                                        ; implicit-def: $vgpr22_vgpr23
	v_or_b32_e32 v6, s9, v41
	s_delay_alu instid0(VALU_DEP_1)
	v_cmpx_ne_u64_e32 0, v[5:6]
	s_xor_b32 s28, exec_lo, s0
	s_cbranch_execz .LBB58_16
; %bb.15:                               ;   in Loop: Header=BB58_14 Depth=2
	s_add_u32 s14, s8, s2
	s_mov_b32 s3, s2
	s_addc_u32 s15, s9, s2
	s_delay_alu instid0(SALU_CYCLE_1) | instskip(NEXT) | instid1(SALU_CYCLE_1)
	s_xor_b64 s[14:15], s[14:15], s[2:3]
	v_cvt_f32_u32_e32 v6, s14
	v_cvt_f32_u32_e32 v22, s15
	s_sub_u32 s0, 0, s14
	s_subb_u32 s3, 0, s15
	s_delay_alu instid0(VALU_DEP_1) | instskip(NEXT) | instid1(VALU_DEP_1)
	v_fmac_f32_e32 v6, 0x4f800000, v22
	v_rcp_f32_e32 v6, v6
	s_waitcnt_depctr 0xfff
	v_mul_f32_e32 v6, 0x5f7ffffc, v6
	s_delay_alu instid0(VALU_DEP_1) | instskip(NEXT) | instid1(VALU_DEP_1)
	v_mul_f32_e32 v22, 0x2f800000, v6
	v_trunc_f32_e32 v22, v22
	s_delay_alu instid0(VALU_DEP_1) | instskip(SKIP_1) | instid1(VALU_DEP_2)
	v_fmac_f32_e32 v6, 0xcf800000, v22
	v_cvt_u32_f32_e32 v22, v22
	v_cvt_u32_f32_e32 v6, v6
	s_delay_alu instid0(VALU_DEP_2) | instskip(NEXT) | instid1(VALU_DEP_2)
	v_mul_lo_u32 v23, s0, v22
	v_mul_hi_u32 v42, s0, v6
	v_mul_lo_u32 v43, s3, v6
	s_delay_alu instid0(VALU_DEP_2) | instskip(SKIP_1) | instid1(VALU_DEP_2)
	v_add_nc_u32_e32 v23, v42, v23
	v_mul_lo_u32 v42, s0, v6
	v_add_nc_u32_e32 v23, v23, v43
	s_delay_alu instid0(VALU_DEP_2) | instskip(NEXT) | instid1(VALU_DEP_2)
	v_mul_hi_u32 v43, v6, v42
	v_mul_lo_u32 v44, v6, v23
	v_mul_hi_u32 v45, v6, v23
	v_mul_hi_u32 v46, v22, v42
	v_mul_lo_u32 v42, v22, v42
	v_mul_hi_u32 v47, v22, v23
	v_mul_lo_u32 v23, v22, v23
	v_add_co_u32 v43, vcc_lo, v43, v44
	v_add_co_ci_u32_e32 v44, vcc_lo, 0, v45, vcc_lo
	s_delay_alu instid0(VALU_DEP_2) | instskip(NEXT) | instid1(VALU_DEP_2)
	v_add_co_u32 v42, vcc_lo, v43, v42
	v_add_co_ci_u32_e32 v42, vcc_lo, v44, v46, vcc_lo
	v_add_co_ci_u32_e32 v43, vcc_lo, 0, v47, vcc_lo
	v_ashrrev_i32_e32 v46, 31, v41
	s_delay_alu instid0(VALU_DEP_3) | instskip(NEXT) | instid1(VALU_DEP_3)
	v_add_co_u32 v23, vcc_lo, v42, v23
	v_add_co_ci_u32_e32 v42, vcc_lo, 0, v43, vcc_lo
	s_delay_alu instid0(VALU_DEP_2) | instskip(NEXT) | instid1(VALU_DEP_2)
	v_add_co_u32 v6, vcc_lo, v6, v23
	v_add_co_ci_u32_e32 v22, vcc_lo, v22, v42, vcc_lo
	s_delay_alu instid0(VALU_DEP_2) | instskip(SKIP_1) | instid1(VALU_DEP_3)
	v_mul_hi_u32 v23, s0, v6
	v_mul_lo_u32 v43, s3, v6
	v_mul_lo_u32 v42, s0, v22
	s_delay_alu instid0(VALU_DEP_1) | instskip(SKIP_1) | instid1(VALU_DEP_2)
	v_add_nc_u32_e32 v23, v23, v42
	v_mul_lo_u32 v42, s0, v6
	v_add_nc_u32_e32 v23, v23, v43
	s_delay_alu instid0(VALU_DEP_2) | instskip(NEXT) | instid1(VALU_DEP_2)
	v_mul_hi_u32 v43, v6, v42
	v_mul_lo_u32 v44, v6, v23
	v_mul_hi_u32 v45, v6, v23
	v_mul_hi_u32 v47, v22, v42
	v_mul_lo_u32 v42, v22, v42
	v_mul_hi_u32 v48, v22, v23
	v_mul_lo_u32 v23, v22, v23
	v_add_co_u32 v43, vcc_lo, v43, v44
	v_add_co_ci_u32_e32 v44, vcc_lo, 0, v45, vcc_lo
	s_delay_alu instid0(VALU_DEP_2) | instskip(NEXT) | instid1(VALU_DEP_2)
	v_add_co_u32 v42, vcc_lo, v43, v42
	v_add_co_ci_u32_e32 v42, vcc_lo, v44, v47, vcc_lo
	v_add_co_ci_u32_e32 v43, vcc_lo, 0, v48, vcc_lo
	v_add_co_u32 v44, vcc_lo, v40, v46
	v_add_co_ci_u32_e32 v41, vcc_lo, v41, v46, vcc_lo
	s_delay_alu instid0(VALU_DEP_4) | instskip(NEXT) | instid1(VALU_DEP_4)
	v_add_co_u32 v23, vcc_lo, v42, v23
	v_add_co_ci_u32_e32 v42, vcc_lo, 0, v43, vcc_lo
	s_delay_alu instid0(VALU_DEP_4) | instskip(NEXT) | instid1(VALU_DEP_3)
	v_xor_b32_e32 v45, v44, v46
	v_add_co_u32 v6, vcc_lo, v6, v23
	s_delay_alu instid0(VALU_DEP_3) | instskip(SKIP_1) | instid1(VALU_DEP_3)
	v_add_co_ci_u32_e32 v47, vcc_lo, v22, v42, vcc_lo
	v_xor_b32_e32 v48, v41, v46
	v_mul_hi_u32 v49, v45, v6
	s_delay_alu instid0(VALU_DEP_3) | instskip(NEXT) | instid1(VALU_DEP_3)
	v_mad_u64_u32 v[22:23], null, v45, v47, 0
	v_mad_u64_u32 v[41:42], null, v48, v6, 0
	;; [unrolled: 1-line block ×3, first 2 shown]
	s_delay_alu instid0(VALU_DEP_3) | instskip(NEXT) | instid1(VALU_DEP_4)
	v_add_co_u32 v6, vcc_lo, v49, v22
	v_add_co_ci_u32_e32 v22, vcc_lo, 0, v23, vcc_lo
	s_delay_alu instid0(VALU_DEP_2) | instskip(NEXT) | instid1(VALU_DEP_2)
	v_add_co_u32 v6, vcc_lo, v6, v41
	v_add_co_ci_u32_e32 v6, vcc_lo, v22, v42, vcc_lo
	v_add_co_ci_u32_e32 v22, vcc_lo, 0, v44, vcc_lo
	s_delay_alu instid0(VALU_DEP_2) | instskip(NEXT) | instid1(VALU_DEP_2)
	v_add_co_u32 v6, vcc_lo, v6, v43
	v_add_co_ci_u32_e32 v41, vcc_lo, 0, v22, vcc_lo
	s_delay_alu instid0(VALU_DEP_2) | instskip(SKIP_1) | instid1(VALU_DEP_3)
	v_mul_lo_u32 v42, s15, v6
	v_mad_u64_u32 v[22:23], null, s14, v6, 0
	v_mul_lo_u32 v43, s14, v41
	s_delay_alu instid0(VALU_DEP_2) | instskip(NEXT) | instid1(VALU_DEP_2)
	v_sub_co_u32 v22, vcc_lo, v45, v22
	v_add3_u32 v23, v23, v43, v42
	s_delay_alu instid0(VALU_DEP_1) | instskip(NEXT) | instid1(VALU_DEP_1)
	v_sub_nc_u32_e32 v42, v48, v23
	v_subrev_co_ci_u32_e64 v42, s0, s15, v42, vcc_lo
	v_add_co_u32 v43, s0, v6, 2
	s_delay_alu instid0(VALU_DEP_1) | instskip(SKIP_3) | instid1(VALU_DEP_3)
	v_add_co_ci_u32_e64 v44, s0, 0, v41, s0
	v_sub_co_u32 v45, s0, v22, s14
	v_sub_co_ci_u32_e32 v23, vcc_lo, v48, v23, vcc_lo
	v_subrev_co_ci_u32_e64 v42, s0, 0, v42, s0
	v_cmp_le_u32_e32 vcc_lo, s14, v45
	s_delay_alu instid0(VALU_DEP_3) | instskip(SKIP_1) | instid1(VALU_DEP_4)
	v_cmp_eq_u32_e64 s0, s15, v23
	v_cndmask_b32_e64 v45, 0, -1, vcc_lo
	v_cmp_le_u32_e32 vcc_lo, s15, v42
	v_cndmask_b32_e64 v47, 0, -1, vcc_lo
	v_cmp_le_u32_e32 vcc_lo, s14, v22
	;; [unrolled: 2-line block ×3, first 2 shown]
	v_cndmask_b32_e64 v48, 0, -1, vcc_lo
	v_cmp_eq_u32_e32 vcc_lo, s15, v42
	s_delay_alu instid0(VALU_DEP_2) | instskip(SKIP_3) | instid1(VALU_DEP_3)
	v_cndmask_b32_e64 v22, v48, v22, s0
	v_cndmask_b32_e32 v42, v47, v45, vcc_lo
	v_add_co_u32 v45, vcc_lo, v6, 1
	v_add_co_ci_u32_e32 v47, vcc_lo, 0, v41, vcc_lo
	v_cmp_ne_u32_e32 vcc_lo, 0, v42
	s_delay_alu instid0(VALU_DEP_2) | instskip(SKIP_2) | instid1(VALU_DEP_3)
	v_dual_cndmask_b32 v42, v45, v43 :: v_dual_cndmask_b32 v23, v47, v44
	v_cmp_ne_u32_e32 vcc_lo, 0, v22
	v_xor_b32_e32 v43, s2, v46
	v_cndmask_b32_e32 v6, v6, v42, vcc_lo
	s_delay_alu instid0(VALU_DEP_4) | instskip(NEXT) | instid1(VALU_DEP_2)
	v_cndmask_b32_e32 v22, v41, v23, vcc_lo
	v_xor_b32_e32 v6, v6, v43
	s_delay_alu instid0(VALU_DEP_2) | instskip(NEXT) | instid1(VALU_DEP_2)
	v_xor_b32_e32 v23, v22, v43
	v_sub_co_u32 v22, vcc_lo, v6, v43
	s_delay_alu instid0(VALU_DEP_2)
	v_sub_co_ci_u32_e32 v23, vcc_lo, v23, v43, vcc_lo
.LBB58_16:                              ;   in Loop: Header=BB58_14 Depth=2
	s_and_not1_saveexec_b32 s0, s28
	s_cbranch_execz .LBB58_18
; %bb.17:                               ;   in Loop: Header=BB58_14 Depth=2
	v_cvt_f32_u32_e32 v6, s8
	s_delay_alu instid0(VALU_DEP_1) | instskip(SKIP_2) | instid1(VALU_DEP_1)
	v_rcp_iflag_f32_e32 v6, v6
	s_waitcnt_depctr 0xfff
	v_mul_f32_e32 v6, 0x4f7ffffe, v6
	v_cvt_u32_f32_e32 v6, v6
	s_delay_alu instid0(VALU_DEP_1) | instskip(NEXT) | instid1(VALU_DEP_1)
	v_mul_lo_u32 v22, s25, v6
	v_mul_hi_u32 v22, v6, v22
	s_delay_alu instid0(VALU_DEP_1) | instskip(NEXT) | instid1(VALU_DEP_1)
	v_add_nc_u32_e32 v6, v6, v22
	v_mul_hi_u32 v6, v40, v6
	s_delay_alu instid0(VALU_DEP_1) | instskip(NEXT) | instid1(VALU_DEP_1)
	v_mul_lo_u32 v22, v6, s8
	v_sub_nc_u32_e32 v22, v40, v22
	s_delay_alu instid0(VALU_DEP_1) | instskip(SKIP_1) | instid1(VALU_DEP_2)
	v_subrev_nc_u32_e32 v41, s8, v22
	v_cmp_le_u32_e32 vcc_lo, s8, v22
	v_dual_cndmask_b32 v22, v22, v41 :: v_dual_add_nc_u32 v23, 1, v6
	s_delay_alu instid0(VALU_DEP_1) | instskip(NEXT) | instid1(VALU_DEP_2)
	v_cndmask_b32_e32 v6, v6, v23, vcc_lo
	v_cmp_le_u32_e32 vcc_lo, s8, v22
	s_delay_alu instid0(VALU_DEP_2) | instskip(NEXT) | instid1(VALU_DEP_1)
	v_add_nc_u32_e32 v23, 1, v6
	v_dual_cndmask_b32 v22, v6, v23 :: v_dual_mov_b32 v23, v5
.LBB58_18:                              ;   in Loop: Header=BB58_14 Depth=2
	s_or_b32 exec_lo, exec_lo, s0
	s_delay_alu instid0(VALU_DEP_1)
	v_cmp_eq_u64_e32 vcc_lo, v[22:23], v[17:18]
	s_mov_b32 s3, exec_lo
	v_cmpx_ne_u64_e64 v[22:23], v[17:18]
	s_xor_b32 s3, exec_lo, s3
; %bb.19:                               ;   in Loop: Header=BB58_14 Depth=2
	v_cmp_lt_i64_e64 s0, v[22:23], v[15:16]
                                        ; implicit-def: $vgpr40
                                        ; implicit-def: $vgpr4
	s_delay_alu instid0(VALU_DEP_1)
	v_cndmask_b32_e64 v16, v16, v23, s0
	v_cndmask_b32_e64 v15, v15, v22, s0
; %bb.20:                               ;   in Loop: Header=BB58_14 Depth=2
	s_or_saveexec_b32 s3, s3
	v_mov_b32_e32 v6, v19
	s_xor_b32 exec_lo, exec_lo, s3
	s_cbranch_execz .LBB58_13
; %bb.21:                               ;   in Loop: Header=BB58_14 Depth=2
	v_lshlrev_b64 v[22:23], 2, v[19:20]
	v_sub_nc_u32_e32 v6, v40, v21
	s_delay_alu instid0(VALU_DEP_2) | instskip(NEXT) | instid1(VALU_DEP_1)
	v_add_co_u32 v22, s0, s12, v22
	v_add_co_ci_u32_e64 v23, s0, s13, v23, s0
	global_load_b32 v20, v[22:23], off
	v_add_lshl_u32 v22, v27, v6, 2
	v_mov_b32_e32 v6, v4
	ds_store_b8 v24, v1 offset:4096
	s_waitcnt vmcnt(0)
	ds_store_b32 v22, v20
	s_branch .LBB58_13
.LBB58_22:                              ;   in Loop: Header=BB58_11 Depth=1
	s_or_b32 exec_lo, exec_lo, s27
.LBB58_23:                              ;   in Loop: Header=BB58_11 Depth=1
	s_delay_alu instid0(SALU_CYCLE_1)
	s_or_b32 exec_lo, exec_lo, s26
	ds_bpermute_b32 v4, v28, v6
	s_waitcnt lgkmcnt(0)
	buffer_gl0_inv
	ds_load_u8 v17, v24 offset:4096
	v_mov_b32_e32 v20, 0
	s_mov_b32 s0, exec_lo
	v_min_i32_e32 v4, v4, v6
	ds_bpermute_b32 v6, v29, v4
	s_waitcnt lgkmcnt(0)
	v_min_i32_e32 v4, v6, v4
	ds_bpermute_b32 v6, v30, v4
	v_and_b32_e32 v4, 1, v17
	s_delay_alu instid0(VALU_DEP_1)
	v_cmpx_eq_u32_e32 1, v4
	s_cbranch_execz .LBB58_10
; %bb.24:                               ;   in Loop: Header=BB58_11 Depth=1
	v_ashrrev_i32_e32 v4, 31, v3
	v_mul_lo_u32 v19, s18, v3
	v_mad_u64_u32 v[17:18], null, s19, v3, 0
	v_add_nc_u32_e32 v20, s17, v39
	s_delay_alu instid0(VALU_DEP_4) | instskip(SKIP_1) | instid1(VALU_DEP_1)
	v_mul_lo_u32 v21, s19, v4
	v_lshlrev_b64 v[22:23], 3, v[3:4]
	v_add_co_u32 v22, vcc_lo, s4, v22
	s_delay_alu instid0(VALU_DEP_3) | instskip(NEXT) | instid1(VALU_DEP_3)
	v_add3_u32 v18, v18, v21, v19
	v_add_co_ci_u32_e32 v23, vcc_lo, s5, v23, vcc_lo
	v_ashrrev_i32_e32 v21, 31, v20
	s_delay_alu instid0(VALU_DEP_3)
	v_lshlrev_b64 v[39:40], 2, v[17:18]
	global_store_b64 v[22:23], v[20:21], off
	v_add_co_u32 v18, vcc_lo, v25, v39
	v_add_co_ci_u32_e32 v19, vcc_lo, v26, v40, vcc_lo
	v_add_co_u32 v4, vcc_lo, v31, v39
	v_add_co_ci_u32_e32 v17, vcc_lo, v32, v40, vcc_lo
	s_and_saveexec_b32 s3, s22
	s_cbranch_execz .LBB58_28
; %bb.25:                               ;   in Loop: Header=BB58_11 Depth=1
	s_and_b32 vcc_lo, exec_lo, s21
	s_cbranch_vccz .LBB58_39
; %bb.26:                               ;   in Loop: Header=BB58_11 Depth=1
	ds_load_b32 v22, v38
	v_add_co_u32 v20, vcc_lo, v18, v7
	v_add_co_ci_u32_e32 v21, vcc_lo, v19, v8, vcc_lo
	s_waitcnt lgkmcnt(0)
	global_store_b32 v[20:21], v22, off
	s_cbranch_execnz .LBB58_28
.LBB58_27:                              ;   in Loop: Header=BB58_11 Depth=1
	ds_load_b32 v22, v38
	v_lshlrev_b32_e32 v20, 2, v0
	s_delay_alu instid0(VALU_DEP_1)
	v_add_co_u32 v20, vcc_lo, v4, v20
	v_add_co_ci_u32_e32 v21, vcc_lo, 0, v17, vcc_lo
	s_waitcnt lgkmcnt(0)
	global_store_b32 v[20:21], v22, off
.LBB58_28:                              ;   in Loop: Header=BB58_11 Depth=1
	s_or_b32 exec_lo, exec_lo, s3
	s_and_saveexec_b32 s3, s23
	s_cbranch_execz .LBB58_32
; %bb.29:                               ;   in Loop: Header=BB58_11 Depth=1
	s_and_not1_b32 vcc_lo, exec_lo, s21
	s_cbranch_vccnz .LBB58_40
; %bb.30:                               ;   in Loop: Header=BB58_11 Depth=1
	ds_load_b32 v22, v38 offset:16
	v_add_co_u32 v20, vcc_lo, v18, v9
	v_add_co_ci_u32_e32 v21, vcc_lo, v19, v10, vcc_lo
	s_waitcnt lgkmcnt(0)
	global_store_b32 v[20:21], v22, off
	s_cbranch_execnz .LBB58_32
.LBB58_31:                              ;   in Loop: Header=BB58_11 Depth=1
	ds_load_b32 v22, v38 offset:16
	v_lshlrev_b32_e32 v20, 2, v0
	s_delay_alu instid0(VALU_DEP_1)
	v_add_co_u32 v20, vcc_lo, v4, v20
	v_add_co_ci_u32_e32 v21, vcc_lo, 0, v17, vcc_lo
	s_waitcnt lgkmcnt(0)
	global_store_b32 v[20:21], v22, off offset:16
.LBB58_32:                              ;   in Loop: Header=BB58_11 Depth=1
	s_or_b32 exec_lo, exec_lo, s3
	s_and_saveexec_b32 s3, s1
	s_cbranch_execz .LBB58_36
; %bb.33:                               ;   in Loop: Header=BB58_11 Depth=1
	s_and_not1_b32 vcc_lo, exec_lo, s21
	s_cbranch_vccnz .LBB58_41
; %bb.34:                               ;   in Loop: Header=BB58_11 Depth=1
	ds_load_b32 v22, v38 offset:32
	v_add_co_u32 v20, vcc_lo, v18, v11
	v_add_co_ci_u32_e32 v21, vcc_lo, v19, v12, vcc_lo
	s_waitcnt lgkmcnt(0)
	global_store_b32 v[20:21], v22, off
	s_cbranch_execnz .LBB58_36
.LBB58_35:                              ;   in Loop: Header=BB58_11 Depth=1
	ds_load_b32 v22, v38 offset:32
	v_lshlrev_b32_e32 v20, 2, v0
	s_delay_alu instid0(VALU_DEP_1)
	v_add_co_u32 v20, vcc_lo, v4, v20
	v_add_co_ci_u32_e32 v21, vcc_lo, 0, v17, vcc_lo
	s_waitcnt lgkmcnt(0)
	global_store_b32 v[20:21], v22, off offset:32
.LBB58_36:                              ;   in Loop: Header=BB58_11 Depth=1
	s_or_b32 exec_lo, exec_lo, s3
	v_mov_b32_e32 v20, 1
	s_and_saveexec_b32 s3, s24
	s_cbranch_execz .LBB58_9
; %bb.37:                               ;   in Loop: Header=BB58_11 Depth=1
	s_and_not1_b32 vcc_lo, exec_lo, s21
	s_cbranch_vccnz .LBB58_42
; %bb.38:                               ;   in Loop: Header=BB58_11 Depth=1
	ds_load_b32 v20, v38 offset:48
	v_add_co_u32 v18, vcc_lo, v18, v13
	v_add_co_ci_u32_e32 v19, vcc_lo, v19, v14, vcc_lo
	s_mov_b32 s14, 1
	s_waitcnt lgkmcnt(0)
	global_store_b32 v[18:19], v20, off
	s_cbranch_execnz .LBB58_8
	s_branch .LBB58_43
.LBB58_39:                              ;   in Loop: Header=BB58_11 Depth=1
	s_branch .LBB58_27
.LBB58_40:                              ;   in Loop: Header=BB58_11 Depth=1
	s_branch .LBB58_31
.LBB58_41:                              ;   in Loop: Header=BB58_11 Depth=1
	s_branch .LBB58_35
.LBB58_42:                              ;   in Loop: Header=BB58_11 Depth=1
                                        ; implicit-def: $sgpr14
.LBB58_43:                              ;   in Loop: Header=BB58_11 Depth=1
	ds_load_b32 v20, v38 offset:48
	v_lshlrev_b32_e32 v18, 2, v0
	s_mov_b32 s14, 1
	s_delay_alu instid0(VALU_DEP_1)
	v_add_co_u32 v18, vcc_lo, v4, v18
	v_add_co_ci_u32_e32 v19, vcc_lo, 0, v17, vcc_lo
	s_waitcnt lgkmcnt(0)
	global_store_b32 v[18:19], v20, off offset:48
	s_branch .LBB58_8
.LBB58_44:
	s_endpgm
	.section	.rodata,"a",@progbits
	.p2align	6, 0x0
	.amdhsa_kernel _ZN9rocsparseL42csr2bsr_wavefront_per_row_multipass_kernelILj256ELj64ELj16EfilEEv20rocsparse_direction_T4_S2_S2_S2_S2_21rocsparse_index_base_PKT2_PKT3_PKS2_S3_PS4_PS7_PS2_
		.amdhsa_group_segment_fixed_size 4100
		.amdhsa_private_segment_fixed_size 0
		.amdhsa_kernarg_size 112
		.amdhsa_user_sgpr_count 15
		.amdhsa_user_sgpr_dispatch_ptr 0
		.amdhsa_user_sgpr_queue_ptr 0
		.amdhsa_user_sgpr_kernarg_segment_ptr 1
		.amdhsa_user_sgpr_dispatch_id 0
		.amdhsa_user_sgpr_private_segment_size 0
		.amdhsa_wavefront_size32 1
		.amdhsa_uses_dynamic_stack 0
		.amdhsa_enable_private_segment 0
		.amdhsa_system_sgpr_workgroup_id_x 1
		.amdhsa_system_sgpr_workgroup_id_y 0
		.amdhsa_system_sgpr_workgroup_id_z 0
		.amdhsa_system_sgpr_workgroup_info 0
		.amdhsa_system_vgpr_workitem_id 0
		.amdhsa_next_free_vgpr 50
		.amdhsa_next_free_sgpr 29
		.amdhsa_reserve_vcc 1
		.amdhsa_float_round_mode_32 0
		.amdhsa_float_round_mode_16_64 0
		.amdhsa_float_denorm_mode_32 3
		.amdhsa_float_denorm_mode_16_64 3
		.amdhsa_dx10_clamp 1
		.amdhsa_ieee_mode 1
		.amdhsa_fp16_overflow 0
		.amdhsa_workgroup_processor_mode 1
		.amdhsa_memory_ordered 1
		.amdhsa_forward_progress 0
		.amdhsa_shared_vgpr_count 0
		.amdhsa_exception_fp_ieee_invalid_op 0
		.amdhsa_exception_fp_denorm_src 0
		.amdhsa_exception_fp_ieee_div_zero 0
		.amdhsa_exception_fp_ieee_overflow 0
		.amdhsa_exception_fp_ieee_underflow 0
		.amdhsa_exception_fp_ieee_inexact 0
		.amdhsa_exception_int_div_zero 0
	.end_amdhsa_kernel
	.section	.text._ZN9rocsparseL42csr2bsr_wavefront_per_row_multipass_kernelILj256ELj64ELj16EfilEEv20rocsparse_direction_T4_S2_S2_S2_S2_21rocsparse_index_base_PKT2_PKT3_PKS2_S3_PS4_PS7_PS2_,"axG",@progbits,_ZN9rocsparseL42csr2bsr_wavefront_per_row_multipass_kernelILj256ELj64ELj16EfilEEv20rocsparse_direction_T4_S2_S2_S2_S2_21rocsparse_index_base_PKT2_PKT3_PKS2_S3_PS4_PS7_PS2_,comdat
.Lfunc_end58:
	.size	_ZN9rocsparseL42csr2bsr_wavefront_per_row_multipass_kernelILj256ELj64ELj16EfilEEv20rocsparse_direction_T4_S2_S2_S2_S2_21rocsparse_index_base_PKT2_PKT3_PKS2_S3_PS4_PS7_PS2_, .Lfunc_end58-_ZN9rocsparseL42csr2bsr_wavefront_per_row_multipass_kernelILj256ELj64ELj16EfilEEv20rocsparse_direction_T4_S2_S2_S2_S2_21rocsparse_index_base_PKT2_PKT3_PKS2_S3_PS4_PS7_PS2_
                                        ; -- End function
	.section	.AMDGPU.csdata,"",@progbits
; Kernel info:
; codeLenInByte = 3128
; NumSgprs: 31
; NumVgprs: 50
; ScratchSize: 0
; MemoryBound: 0
; FloatMode: 240
; IeeeMode: 1
; LDSByteSize: 4100 bytes/workgroup (compile time only)
; SGPRBlocks: 3
; VGPRBlocks: 6
; NumSGPRsForWavesPerEU: 31
; NumVGPRsForWavesPerEU: 50
; Occupancy: 16
; WaveLimiterHint : 0
; COMPUTE_PGM_RSRC2:SCRATCH_EN: 0
; COMPUTE_PGM_RSRC2:USER_SGPR: 15
; COMPUTE_PGM_RSRC2:TRAP_HANDLER: 0
; COMPUTE_PGM_RSRC2:TGID_X_EN: 1
; COMPUTE_PGM_RSRC2:TGID_Y_EN: 0
; COMPUTE_PGM_RSRC2:TGID_Z_EN: 0
; COMPUTE_PGM_RSRC2:TIDIG_COMP_CNT: 0
	.section	.text._ZN9rocsparseL42csr2bsr_wavefront_per_row_multipass_kernelILj256ELj32ELj16EfilEEv20rocsparse_direction_T4_S2_S2_S2_S2_21rocsparse_index_base_PKT2_PKT3_PKS2_S3_PS4_PS7_PS2_,"axG",@progbits,_ZN9rocsparseL42csr2bsr_wavefront_per_row_multipass_kernelILj256ELj32ELj16EfilEEv20rocsparse_direction_T4_S2_S2_S2_S2_21rocsparse_index_base_PKT2_PKT3_PKS2_S3_PS4_PS7_PS2_,comdat
	.globl	_ZN9rocsparseL42csr2bsr_wavefront_per_row_multipass_kernelILj256ELj32ELj16EfilEEv20rocsparse_direction_T4_S2_S2_S2_S2_21rocsparse_index_base_PKT2_PKT3_PKS2_S3_PS4_PS7_PS2_ ; -- Begin function _ZN9rocsparseL42csr2bsr_wavefront_per_row_multipass_kernelILj256ELj32ELj16EfilEEv20rocsparse_direction_T4_S2_S2_S2_S2_21rocsparse_index_base_PKT2_PKT3_PKS2_S3_PS4_PS7_PS2_
	.p2align	8
	.type	_ZN9rocsparseL42csr2bsr_wavefront_per_row_multipass_kernelILj256ELj32ELj16EfilEEv20rocsparse_direction_T4_S2_S2_S2_S2_21rocsparse_index_base_PKT2_PKT3_PKS2_S3_PS4_PS7_PS2_,@function
_ZN9rocsparseL42csr2bsr_wavefront_per_row_multipass_kernelILj256ELj32ELj16EfilEEv20rocsparse_direction_T4_S2_S2_S2_S2_21rocsparse_index_base_PKT2_PKT3_PKS2_S3_PS4_PS7_PS2_: ; @_ZN9rocsparseL42csr2bsr_wavefront_per_row_multipass_kernelILj256ELj32ELj16EfilEEv20rocsparse_direction_T4_S2_S2_S2_S2_21rocsparse_index_base_PKT2_PKT3_PKS2_S3_PS4_PS7_PS2_
; %bb.0:
	s_load_b64 s[12:13], s[0:1], 0x28
	v_lshrrev_b32_e32 v32, 5, v0
	s_mov_b32 s4, s15
	s_ashr_i32 s5, s15, 31
	s_clause 0x1
	s_load_b64 s[14:15], s[0:1], 0x8
	s_load_b128 s[8:11], s[0:1], 0x18
	s_lshl_b64 s[2:3], s[4:5], 3
	v_mov_b32_e32 v2, 0
	v_or_b32_e32 v5, s2, v32
	v_bfe_u32 v1, v0, 1, 4
	s_clause 0x1
	s_load_b32 s18, s[0:1], 0x30
	s_load_b64 s[6:7], s[0:1], 0x40
	s_waitcnt lgkmcnt(0)
	v_mul_lo_u32 v6, v5, s13
	v_mad_u64_u32 v[3:4], null, v5, s12, v[1:2]
	s_mul_i32 s2, s3, s12
	s_delay_alu instid0(VALU_DEP_1) | instid1(SALU_CYCLE_1)
	v_add3_u32 v4, s2, v4, v6
	v_cmp_gt_i64_e64 s2, s[12:13], v[1:2]
	v_mov_b32_e32 v6, v2
	s_delay_alu instid0(VALU_DEP_3) | instskip(NEXT) | instid1(VALU_DEP_3)
	v_cmp_gt_i64_e32 vcc_lo, s[14:15], v[3:4]
	s_and_b32 s3, s2, vcc_lo
	s_delay_alu instid0(SALU_CYCLE_1)
	s_and_saveexec_b32 s5, s3
	s_cbranch_execz .LBB59_2
; %bb.1:
	v_lshlrev_b64 v[5:6], 2, v[3:4]
	s_delay_alu instid0(VALU_DEP_1) | instskip(NEXT) | instid1(VALU_DEP_2)
	v_add_co_u32 v5, vcc_lo, s6, v5
	v_add_co_ci_u32_e32 v6, vcc_lo, s7, v6, vcc_lo
	global_load_b32 v5, v[5:6], off
	s_waitcnt vmcnt(0)
	v_subrev_nc_u32_e32 v6, s18, v5
.LBB59_2:
	s_or_b32 exec_lo, exec_lo, s5
	s_and_saveexec_b32 s5, s3
	s_cbranch_execz .LBB59_4
; %bb.3:
	v_lshlrev_b64 v[2:3], 2, v[3:4]
	s_delay_alu instid0(VALU_DEP_1) | instskip(NEXT) | instid1(VALU_DEP_2)
	v_add_co_u32 v2, vcc_lo, s6, v2
	v_add_co_ci_u32_e32 v3, vcc_lo, s7, v3, vcc_lo
	global_load_b32 v2, v[2:3], off offset:4
	s_waitcnt vmcnt(0)
	v_subrev_nc_u32_e32 v2, s18, v2
.LBB59_4:
	s_or_b32 exec_lo, exec_lo, s5
	s_load_b32 s19, s[0:1], 0x50
	v_mov_b32_e32 v5, 0
	v_lshl_or_b32 v4, s4, 3, v32
	s_mov_b32 s3, exec_lo
	s_delay_alu instid0(VALU_DEP_2) | instskip(NEXT) | instid1(VALU_DEP_2)
	v_mov_b32_e32 v3, v5
	v_cmpx_gt_i64_e64 s[8:9], v[4:5]
	s_cbranch_execz .LBB59_6
; %bb.5:
	s_load_b64 s[4:5], s[0:1], 0x60
	v_lshlrev_b64 v[3:4], 2, v[4:5]
	s_waitcnt lgkmcnt(0)
	s_delay_alu instid0(VALU_DEP_1) | instskip(NEXT) | instid1(VALU_DEP_2)
	v_add_co_u32 v3, vcc_lo, s4, v3
	v_add_co_ci_u32_e32 v4, vcc_lo, s5, v4, vcc_lo
	global_load_b32 v3, v[3:4], off
	s_waitcnt vmcnt(0)
	v_subrev_nc_u32_e32 v3, s19, v3
.LBB59_6:
	s_or_b32 exec_lo, exec_lo, s3
	v_cmp_lt_i64_e64 s3, s[10:11], 1
	s_delay_alu instid0(VALU_DEP_1)
	s_and_b32 vcc_lo, exec_lo, s3
	s_cbranch_vccnz .LBB59_64
; %bb.7:
	v_mad_u64_u32 v[7:8], null, v1, s12, 0
	s_mul_i32 s3, s12, s13
	s_mul_hi_u32 s4, s12, s12
	v_mbcnt_lo_u32_b32 v10, -1, 0
	s_add_i32 s6, s4, s3
	s_clause 0x1
	s_load_b64 s[4:5], s[0:1], 0x58
	s_load_b64 s[8:9], s[0:1], 0x68
	v_dual_mov_b32 v44, 0x7c :: v_dual_lshlrev_b32 v11, 8, v32
	v_mov_b32_e32 v4, v8
	s_clause 0x2
	s_load_b64 s[14:15], s[0:1], 0x48
	s_load_b64 s[16:17], s[0:1], 0x38
	s_load_b32 s0, s[0:1], 0x0
	s_add_i32 s20, s6, s3
	v_lshl_or_b32 v35, v1, 4, v11
	v_lshl_or_b32 v37, v10, 2, 4
	v_mad_u64_u32 v[8:9], null, v1, s13, v[4:5]
	v_lshlrev_b32_e32 v9, 2, v1
	v_xor_b32_e32 v4, 1, v10
	v_xor_b32_e32 v1, 16, v10
	s_mul_i32 s21, s12, s12
	s_mov_b32 s22, 0
	s_delay_alu instid0(VALU_DEP_2)
	v_cmp_gt_i32_e32 vcc_lo, 32, v4
	v_lshlrev_b64 v[7:8], 2, v[7:8]
	v_mov_b32_e32 v5, 0
	s_waitcnt lgkmcnt(0)
	v_add_co_u32 v33, s1, s4, v9
	v_cndmask_b32_e32 v4, v10, v4, vcc_lo
	v_add_co_ci_u32_e64 v34, null, s5, 0, s1
	v_add_co_u32 v38, vcc_lo, s4, v7
	v_add_co_ci_u32_e32 v39, vcc_lo, s5, v8, vcc_lo
	v_xor_b32_e32 v7, 4, v10
	v_lshlrev_b32_e32 v36, 2, v4
	v_xor_b32_e32 v4, 8, v10
	v_cmp_gt_i32_e32 vcc_lo, 32, v1
	v_and_b32_e32 v0, 1, v0
	v_xor_b32_e32 v8, 2, v10
	s_cmp_lg_u32 s0, 0
	v_dual_mov_b32 v14, v5 :: v_dual_cndmask_b32 v1, v10, v1
	v_cmp_gt_i32_e32 vcc_lo, 32, v4
	v_or_b32_e32 v13, 6, v0
	v_or_b32_e32 v9, 4, v0
	;; [unrolled: 1-line block ×3, first 2 shown]
	v_lshlrev_b32_e32 v40, 2, v1
	v_or_b32_e32 v1, v35, v0
	v_cndmask_b32_e32 v4, v10, v4, vcc_lo
	v_cmp_gt_i32_e32 vcc_lo, 32, v7
	v_mad_u64_u32 v[17:18], null, v13, s12, 0
	s_delay_alu instid0(VALU_DEP_4)
	v_lshlrev_b32_e32 v45, 2, v1
	v_mad_u64_u32 v[15:16], null, v9, s12, 0
	v_cndmask_b32_e32 v7, v10, v7, vcc_lo
	v_cmp_gt_i32_e32 vcc_lo, 32, v8
	v_mov_b32_e32 v1, v5
	v_lshlrev_b32_e32 v41, 2, v4
	v_cmp_gt_u64_e64 s3, s[12:13], v[13:14]
	v_lshlrev_b32_e32 v42, 2, v7
	v_or_b32_e32 v7, 2, v0
	v_cndmask_b32_e32 v8, v10, v8, vcc_lo
	v_cmp_gt_u64_e32 vcc_lo, s[12:13], v[0:1]
	v_mov_b32_e32 v4, v16
	v_mad_u64_u32 v[29:30], null, v25, s12, 0
	v_mad_u64_u32 v[11:12], null, v7, s12, 0
	v_dual_mov_b32 v8, v5 :: v_dual_lshlrev_b32 v43, 2, v8
	v_mul_lo_u32 v20, v0, s13
	v_mul_lo_u32 v19, v0, s12
	v_mov_b32_e32 v26, v5
	s_cselect_b32 s23, -1, 0
	v_mov_b32_e32 v1, v12
	v_cmp_gt_u64_e64 s0, s[12:13], v[7:8]
	s_and_b32 s24, s2, vcc_lo
	v_cmp_gt_u64_e64 s7, s[12:13], v[25:26]
	s_and_b32 s26, s2, s3
	v_mad_u64_u32 v[21:22], null, v7, s13, v[1:2]
	v_mad_u64_u32 v[22:23], null, v9, s13, v[4:5]
	v_or_b32_e32 v7, 8, v0
	v_mov_b32_e32 v1, v18
	s_and_b32 s25, s2, s0
	s_and_b32 s7, s2, s7
	s_delay_alu instid0(VALU_DEP_4)
	v_mov_b32_e32 v12, v21
	v_cmp_gt_u64_e64 s4, s[12:13], v[7:8]
	v_mov_b32_e32 v16, v22
	v_mad_u64_u32 v[21:22], null, v7, s12, 0
	v_mov_b32_e32 v10, v5
	v_mad_u64_u32 v[23:24], null, v13, s13, v[1:2]
	v_or_b32_e32 v13, 12, v0
	s_and_b32 s27, s2, s4
	s_sub_i32 s29, 0, s12
	s_delay_alu instid0(VALU_DEP_4)
	v_mov_b32_e32 v1, v22
	v_cmp_gt_u64_e64 s1, s[12:13], v[9:10]
	v_or_b32_e32 v9, 10, v0
	v_mov_b32_e32 v18, v23
	v_mad_u64_u32 v[27:28], null, v13, s12, 0
	v_mad_u64_u32 v[46:47], null, v7, s13, v[1:2]
	s_delay_alu instid0(VALU_DEP_4) | instskip(SKIP_2) | instid1(VALU_DEP_4)
	v_mad_u64_u32 v[23:24], null, v9, s12, 0
	v_cmp_gt_u64_e64 s5, s[12:13], v[9:10]
	s_and_b32 s1, s2, s1
	v_mov_b32_e32 v1, v28
	v_cmp_gt_u64_e64 s6, s[12:13], v[13:14]
	v_mov_b32_e32 v22, v46
	v_mov_b32_e32 v46, 0
	;; [unrolled: 1-line block ×3, first 2 shown]
	s_and_b32 s28, s2, s5
	s_delay_alu instid0(VALU_DEP_4) | instskip(SKIP_1) | instid1(VALU_DEP_1)
	s_and_b32 s6, s2, s6
	s_ashr_i32 s2, s13, 31
	v_mad_u64_u32 v[7:8], null, v9, s13, v[4:5]
	v_mov_b32_e32 v4, v30
	v_mad_u64_u32 v[30:31], null, v13, s13, v[1:2]
	v_lshlrev_b64 v[13:14], 2, v[17:18]
	v_mov_b32_e32 v1, 1
	s_delay_alu instid0(VALU_DEP_4)
	v_mad_u64_u32 v[47:48], null, v25, s13, v[4:5]
	v_dual_mov_b32 v24, v7 :: v_dual_mov_b32 v25, 0
	v_mov_b32_e32 v28, v30
	v_lshlrev_b64 v[7:8], 2, v[19:20]
	v_lshlrev_b64 v[9:10], 2, v[11:12]
	;; [unrolled: 1-line block ×3, first 2 shown]
	v_mov_b32_e32 v30, v47
	v_lshlrev_b64 v[15:16], 2, v[21:22]
	v_lshlrev_b64 v[17:18], 2, v[23:24]
	;; [unrolled: 1-line block ×3, first 2 shown]
	v_mov_b32_e32 v26, 0
	v_lshlrev_b64 v[21:22], 2, v[29:30]
	s_branch .LBB59_11
.LBB59_8:                               ;   in Loop: Header=BB59_11 Depth=1
	v_mov_b32_e32 v28, s4
.LBB59_9:                               ;   in Loop: Header=BB59_11 Depth=1
	s_or_b32 exec_lo, exec_lo, s3
.LBB59_10:                              ;   in Loop: Header=BB59_11 Depth=1
	s_delay_alu instid0(SALU_CYCLE_1)
	s_or_b32 exec_lo, exec_lo, s0
	ds_bpermute_b32 v25, v40, v23
	ds_bpermute_b32 v26, v40, v24
	s_waitcnt lgkmcnt(0)
	s_waitcnt_vscnt null, 0x0
	buffer_gl0_inv
	buffer_gl0_inv
	v_add_nc_u32_e32 v3, v28, v3
	v_cmp_lt_i64_e32 vcc_lo, v[25:26], v[23:24]
	v_dual_cndmask_b32 v24, v24, v26 :: v_dual_cndmask_b32 v23, v23, v25
	ds_bpermute_b32 v26, v41, v24
	ds_bpermute_b32 v25, v41, v23
	s_waitcnt lgkmcnt(0)
	v_cmp_lt_i64_e32 vcc_lo, v[25:26], v[23:24]
	v_dual_cndmask_b32 v24, v24, v26 :: v_dual_cndmask_b32 v23, v23, v25
	ds_bpermute_b32 v26, v42, v24
	ds_bpermute_b32 v25, v42, v23
	s_waitcnt lgkmcnt(0)
	;; [unrolled: 5-line block ×4, first 2 shown]
	v_cmp_lt_i64_e32 vcc_lo, v[25:26], v[23:24]
	v_cndmask_b32_e32 v4, v23, v25, vcc_lo
	ds_bpermute_b32 v25, v44, v4
	s_waitcnt lgkmcnt(0)
	v_ashrrev_i32_e32 v26, 31, v25
	v_mov_b32_e32 v46, v25
	s_delay_alu instid0(VALU_DEP_2) | instskip(SKIP_1) | instid1(SALU_CYCLE_1)
	v_cmp_le_i64_e32 vcc_lo, s[10:11], v[25:26]
	s_or_b32 s22, vcc_lo, s22
	s_and_not1_b32 exec_lo, exec_lo, s22
	s_cbranch_execz .LBB59_64
.LBB59_11:                              ; =>This Loop Header: Depth=1
                                        ;     Child Loop BB59_14 Depth 2
	v_dual_mov_b32 v24, s11 :: v_dual_add_nc_u32 v27, v6, v0
	v_dual_mov_b32 v23, s10 :: v_dual_mov_b32 v6, v2
	s_mov_b32 s30, exec_lo
	ds_store_b8 v32, v5 offset:8192
	ds_store_2addr_b32 v45, v5, v5 offset1:2
	ds_store_2addr_b32 v45, v5, v5 offset0:4 offset1:6
	ds_store_2addr_b32 v45, v5, v5 offset0:8 offset1:10
	;; [unrolled: 1-line block ×3, first 2 shown]
	s_waitcnt lgkmcnt(0)
	buffer_gl0_inv
	v_cmpx_lt_i32_e64 v27, v2
	s_cbranch_execz .LBB59_23
; %bb.12:                               ;   in Loop: Header=BB59_11 Depth=1
	v_mad_u64_u32 v[29:30], null, v25, s12, 0
	v_dual_mov_b32 v24, s11 :: v_dual_mov_b32 v23, s10
	v_mov_b32_e32 v4, v2
	s_mov_b32 s31, 0
	s_branch .LBB59_14
.LBB59_13:                              ;   in Loop: Header=BB59_14 Depth=2
	s_or_b32 exec_lo, exec_lo, s3
	s_delay_alu instid0(VALU_DEP_1) | instskip(SKIP_1) | instid1(VALU_DEP_1)
	v_dual_mov_b32 v4, v6 :: v_dual_add_nc_u32 v27, 2, v27
	s_xor_b32 s3, vcc_lo, -1
	v_cmp_ge_i32_e64 s0, v27, v2
	s_delay_alu instid0(VALU_DEP_1) | instskip(NEXT) | instid1(SALU_CYCLE_1)
	s_or_b32 s0, s3, s0
	s_and_b32 s0, exec_lo, s0
	s_delay_alu instid0(SALU_CYCLE_1) | instskip(NEXT) | instid1(SALU_CYCLE_1)
	s_or_b32 s31, s0, s31
	s_and_not1_b32 exec_lo, exec_lo, s31
	s_cbranch_execz .LBB59_22
.LBB59_14:                              ;   Parent Loop BB59_11 Depth=1
                                        ; =>  This Inner Loop Header: Depth=2
	v_ashrrev_i32_e32 v28, 31, v27
	s_mov_b32 s0, exec_lo
	s_delay_alu instid0(VALU_DEP_1) | instskip(NEXT) | instid1(VALU_DEP_1)
	v_lshlrev_b64 v[30:31], 3, v[27:28]
	v_add_co_u32 v30, vcc_lo, s14, v30
	s_delay_alu instid0(VALU_DEP_2) | instskip(SKIP_4) | instid1(VALU_DEP_1)
	v_add_co_ci_u32_e32 v31, vcc_lo, s15, v31, vcc_lo
	global_load_b64 v[30:31], v[30:31], off
	s_waitcnt vmcnt(0)
	v_sub_co_u32 v47, vcc_lo, v30, s18
	v_subrev_co_ci_u32_e32 v48, vcc_lo, 0, v31, vcc_lo
                                        ; implicit-def: $vgpr30_vgpr31
	v_or_b32_e32 v6, s13, v48
	s_delay_alu instid0(VALU_DEP_1)
	v_cmpx_ne_u64_e32 0, v[5:6]
	s_xor_b32 s33, exec_lo, s0
	s_cbranch_execz .LBB59_16
; %bb.15:                               ;   in Loop: Header=BB59_14 Depth=2
	s_add_u32 s4, s12, s2
	s_mov_b32 s3, s2
	s_addc_u32 s5, s13, s2
	s_delay_alu instid0(SALU_CYCLE_1) | instskip(NEXT) | instid1(SALU_CYCLE_1)
	s_xor_b64 s[4:5], s[4:5], s[2:3]
	v_cvt_f32_u32_e32 v6, s4
	v_cvt_f32_u32_e32 v30, s5
	s_sub_u32 s0, 0, s4
	s_subb_u32 s3, 0, s5
	s_delay_alu instid0(VALU_DEP_1) | instskip(NEXT) | instid1(VALU_DEP_1)
	v_fmac_f32_e32 v6, 0x4f800000, v30
	v_rcp_f32_e32 v6, v6
	s_waitcnt_depctr 0xfff
	v_mul_f32_e32 v6, 0x5f7ffffc, v6
	s_delay_alu instid0(VALU_DEP_1) | instskip(NEXT) | instid1(VALU_DEP_1)
	v_mul_f32_e32 v30, 0x2f800000, v6
	v_trunc_f32_e32 v30, v30
	s_delay_alu instid0(VALU_DEP_1) | instskip(SKIP_1) | instid1(VALU_DEP_2)
	v_fmac_f32_e32 v6, 0xcf800000, v30
	v_cvt_u32_f32_e32 v30, v30
	v_cvt_u32_f32_e32 v6, v6
	s_delay_alu instid0(VALU_DEP_2) | instskip(NEXT) | instid1(VALU_DEP_2)
	v_mul_lo_u32 v31, s0, v30
	v_mul_hi_u32 v49, s0, v6
	v_mul_lo_u32 v50, s3, v6
	s_delay_alu instid0(VALU_DEP_2) | instskip(SKIP_1) | instid1(VALU_DEP_2)
	v_add_nc_u32_e32 v31, v49, v31
	v_mul_lo_u32 v49, s0, v6
	v_add_nc_u32_e32 v31, v31, v50
	s_delay_alu instid0(VALU_DEP_2) | instskip(NEXT) | instid1(VALU_DEP_2)
	v_mul_hi_u32 v50, v6, v49
	v_mul_lo_u32 v51, v6, v31
	v_mul_hi_u32 v52, v6, v31
	v_mul_hi_u32 v53, v30, v49
	v_mul_lo_u32 v49, v30, v49
	v_mul_hi_u32 v54, v30, v31
	v_mul_lo_u32 v31, v30, v31
	v_add_co_u32 v50, vcc_lo, v50, v51
	v_add_co_ci_u32_e32 v51, vcc_lo, 0, v52, vcc_lo
	s_delay_alu instid0(VALU_DEP_2) | instskip(NEXT) | instid1(VALU_DEP_2)
	v_add_co_u32 v49, vcc_lo, v50, v49
	v_add_co_ci_u32_e32 v49, vcc_lo, v51, v53, vcc_lo
	v_add_co_ci_u32_e32 v50, vcc_lo, 0, v54, vcc_lo
	v_ashrrev_i32_e32 v53, 31, v48
	s_delay_alu instid0(VALU_DEP_3) | instskip(NEXT) | instid1(VALU_DEP_3)
	v_add_co_u32 v31, vcc_lo, v49, v31
	v_add_co_ci_u32_e32 v49, vcc_lo, 0, v50, vcc_lo
	s_delay_alu instid0(VALU_DEP_2) | instskip(NEXT) | instid1(VALU_DEP_2)
	v_add_co_u32 v6, vcc_lo, v6, v31
	v_add_co_ci_u32_e32 v30, vcc_lo, v30, v49, vcc_lo
	s_delay_alu instid0(VALU_DEP_2) | instskip(SKIP_1) | instid1(VALU_DEP_3)
	v_mul_hi_u32 v31, s0, v6
	v_mul_lo_u32 v50, s3, v6
	v_mul_lo_u32 v49, s0, v30
	s_delay_alu instid0(VALU_DEP_1) | instskip(SKIP_1) | instid1(VALU_DEP_2)
	v_add_nc_u32_e32 v31, v31, v49
	v_mul_lo_u32 v49, s0, v6
	v_add_nc_u32_e32 v31, v31, v50
	s_delay_alu instid0(VALU_DEP_2) | instskip(NEXT) | instid1(VALU_DEP_2)
	v_mul_hi_u32 v50, v6, v49
	v_mul_lo_u32 v51, v6, v31
	v_mul_hi_u32 v52, v6, v31
	v_mul_hi_u32 v54, v30, v49
	v_mul_lo_u32 v49, v30, v49
	v_mul_hi_u32 v55, v30, v31
	v_mul_lo_u32 v31, v30, v31
	v_add_co_u32 v50, vcc_lo, v50, v51
	v_add_co_ci_u32_e32 v51, vcc_lo, 0, v52, vcc_lo
	s_delay_alu instid0(VALU_DEP_2) | instskip(NEXT) | instid1(VALU_DEP_2)
	v_add_co_u32 v49, vcc_lo, v50, v49
	v_add_co_ci_u32_e32 v49, vcc_lo, v51, v54, vcc_lo
	v_add_co_ci_u32_e32 v50, vcc_lo, 0, v55, vcc_lo
	v_add_co_u32 v51, vcc_lo, v47, v53
	v_add_co_ci_u32_e32 v48, vcc_lo, v48, v53, vcc_lo
	s_delay_alu instid0(VALU_DEP_4) | instskip(NEXT) | instid1(VALU_DEP_4)
	v_add_co_u32 v31, vcc_lo, v49, v31
	v_add_co_ci_u32_e32 v49, vcc_lo, 0, v50, vcc_lo
	s_delay_alu instid0(VALU_DEP_4) | instskip(NEXT) | instid1(VALU_DEP_3)
	v_xor_b32_e32 v52, v51, v53
	v_add_co_u32 v6, vcc_lo, v6, v31
	s_delay_alu instid0(VALU_DEP_3) | instskip(SKIP_1) | instid1(VALU_DEP_3)
	v_add_co_ci_u32_e32 v54, vcc_lo, v30, v49, vcc_lo
	v_xor_b32_e32 v55, v48, v53
	v_mul_hi_u32 v56, v52, v6
	s_delay_alu instid0(VALU_DEP_3) | instskip(NEXT) | instid1(VALU_DEP_3)
	v_mad_u64_u32 v[30:31], null, v52, v54, 0
	v_mad_u64_u32 v[48:49], null, v55, v6, 0
	;; [unrolled: 1-line block ×3, first 2 shown]
	s_delay_alu instid0(VALU_DEP_3) | instskip(NEXT) | instid1(VALU_DEP_4)
	v_add_co_u32 v6, vcc_lo, v56, v30
	v_add_co_ci_u32_e32 v30, vcc_lo, 0, v31, vcc_lo
	s_delay_alu instid0(VALU_DEP_2) | instskip(NEXT) | instid1(VALU_DEP_2)
	v_add_co_u32 v6, vcc_lo, v6, v48
	v_add_co_ci_u32_e32 v6, vcc_lo, v30, v49, vcc_lo
	v_add_co_ci_u32_e32 v30, vcc_lo, 0, v51, vcc_lo
	s_delay_alu instid0(VALU_DEP_2) | instskip(NEXT) | instid1(VALU_DEP_2)
	v_add_co_u32 v6, vcc_lo, v6, v50
	v_add_co_ci_u32_e32 v48, vcc_lo, 0, v30, vcc_lo
	s_delay_alu instid0(VALU_DEP_2) | instskip(SKIP_1) | instid1(VALU_DEP_3)
	v_mul_lo_u32 v49, s5, v6
	v_mad_u64_u32 v[30:31], null, s4, v6, 0
	v_mul_lo_u32 v50, s4, v48
	s_delay_alu instid0(VALU_DEP_2) | instskip(NEXT) | instid1(VALU_DEP_2)
	v_sub_co_u32 v30, vcc_lo, v52, v30
	v_add3_u32 v31, v31, v50, v49
	s_delay_alu instid0(VALU_DEP_1) | instskip(NEXT) | instid1(VALU_DEP_1)
	v_sub_nc_u32_e32 v49, v55, v31
	v_subrev_co_ci_u32_e64 v49, s0, s5, v49, vcc_lo
	v_add_co_u32 v50, s0, v6, 2
	s_delay_alu instid0(VALU_DEP_1) | instskip(SKIP_3) | instid1(VALU_DEP_3)
	v_add_co_ci_u32_e64 v51, s0, 0, v48, s0
	v_sub_co_u32 v52, s0, v30, s4
	v_sub_co_ci_u32_e32 v31, vcc_lo, v55, v31, vcc_lo
	v_subrev_co_ci_u32_e64 v49, s0, 0, v49, s0
	v_cmp_le_u32_e32 vcc_lo, s4, v52
	s_delay_alu instid0(VALU_DEP_3) | instskip(SKIP_1) | instid1(VALU_DEP_4)
	v_cmp_eq_u32_e64 s0, s5, v31
	v_cndmask_b32_e64 v52, 0, -1, vcc_lo
	v_cmp_le_u32_e32 vcc_lo, s5, v49
	v_cndmask_b32_e64 v54, 0, -1, vcc_lo
	v_cmp_le_u32_e32 vcc_lo, s4, v30
	;; [unrolled: 2-line block ×3, first 2 shown]
	v_cndmask_b32_e64 v55, 0, -1, vcc_lo
	v_cmp_eq_u32_e32 vcc_lo, s5, v49
	s_delay_alu instid0(VALU_DEP_2) | instskip(SKIP_3) | instid1(VALU_DEP_3)
	v_cndmask_b32_e64 v30, v55, v30, s0
	v_cndmask_b32_e32 v49, v54, v52, vcc_lo
	v_add_co_u32 v52, vcc_lo, v6, 1
	v_add_co_ci_u32_e32 v54, vcc_lo, 0, v48, vcc_lo
	v_cmp_ne_u32_e32 vcc_lo, 0, v49
	s_delay_alu instid0(VALU_DEP_2) | instskip(NEXT) | instid1(VALU_DEP_4)
	v_cndmask_b32_e32 v31, v54, v51, vcc_lo
	v_cndmask_b32_e32 v49, v52, v50, vcc_lo
	v_cmp_ne_u32_e32 vcc_lo, 0, v30
	v_xor_b32_e32 v50, s2, v53
	s_delay_alu instid0(VALU_DEP_3) | instskip(SKIP_1) | instid1(VALU_DEP_2)
	v_cndmask_b32_e32 v6, v6, v49, vcc_lo
	v_cndmask_b32_e32 v30, v48, v31, vcc_lo
	v_xor_b32_e32 v6, v6, v50
	s_delay_alu instid0(VALU_DEP_2) | instskip(NEXT) | instid1(VALU_DEP_2)
	v_xor_b32_e32 v31, v30, v50
	v_sub_co_u32 v30, vcc_lo, v6, v50
	s_delay_alu instid0(VALU_DEP_2)
	v_sub_co_ci_u32_e32 v31, vcc_lo, v31, v50, vcc_lo
.LBB59_16:                              ;   in Loop: Header=BB59_14 Depth=2
	s_and_not1_saveexec_b32 s0, s33
	s_cbranch_execz .LBB59_18
; %bb.17:                               ;   in Loop: Header=BB59_14 Depth=2
	v_cvt_f32_u32_e32 v6, s12
	s_delay_alu instid0(VALU_DEP_1) | instskip(SKIP_2) | instid1(VALU_DEP_1)
	v_rcp_iflag_f32_e32 v6, v6
	s_waitcnt_depctr 0xfff
	v_mul_f32_e32 v6, 0x4f7ffffe, v6
	v_cvt_u32_f32_e32 v6, v6
	s_delay_alu instid0(VALU_DEP_1) | instskip(NEXT) | instid1(VALU_DEP_1)
	v_mul_lo_u32 v30, s29, v6
	v_mul_hi_u32 v30, v6, v30
	s_delay_alu instid0(VALU_DEP_1) | instskip(NEXT) | instid1(VALU_DEP_1)
	v_add_nc_u32_e32 v6, v6, v30
	v_mul_hi_u32 v6, v47, v6
	s_delay_alu instid0(VALU_DEP_1) | instskip(NEXT) | instid1(VALU_DEP_1)
	v_mul_lo_u32 v30, v6, s12
	v_sub_nc_u32_e32 v30, v47, v30
	s_delay_alu instid0(VALU_DEP_1) | instskip(SKIP_1) | instid1(VALU_DEP_2)
	v_subrev_nc_u32_e32 v48, s12, v30
	v_cmp_le_u32_e32 vcc_lo, s12, v30
	v_dual_cndmask_b32 v30, v30, v48 :: v_dual_add_nc_u32 v31, 1, v6
	s_delay_alu instid0(VALU_DEP_1) | instskip(NEXT) | instid1(VALU_DEP_2)
	v_cndmask_b32_e32 v6, v6, v31, vcc_lo
	v_cmp_le_u32_e32 vcc_lo, s12, v30
	s_delay_alu instid0(VALU_DEP_2) | instskip(NEXT) | instid1(VALU_DEP_1)
	v_add_nc_u32_e32 v31, 1, v6
	v_dual_cndmask_b32 v30, v6, v31 :: v_dual_mov_b32 v31, v5
.LBB59_18:                              ;   in Loop: Header=BB59_14 Depth=2
	s_or_b32 exec_lo, exec_lo, s0
	s_delay_alu instid0(VALU_DEP_1)
	v_cmp_eq_u64_e32 vcc_lo, v[30:31], v[25:26]
	s_mov_b32 s3, exec_lo
	v_cmpx_ne_u64_e64 v[30:31], v[25:26]
	s_xor_b32 s3, exec_lo, s3
; %bb.19:                               ;   in Loop: Header=BB59_14 Depth=2
	v_cmp_lt_i64_e64 s0, v[30:31], v[23:24]
                                        ; implicit-def: $vgpr47
                                        ; implicit-def: $vgpr4
	s_delay_alu instid0(VALU_DEP_1)
	v_cndmask_b32_e64 v24, v24, v31, s0
	v_cndmask_b32_e64 v23, v23, v30, s0
; %bb.20:                               ;   in Loop: Header=BB59_14 Depth=2
	s_or_saveexec_b32 s3, s3
	v_mov_b32_e32 v6, v27
	s_xor_b32 exec_lo, exec_lo, s3
	s_cbranch_execz .LBB59_13
; %bb.21:                               ;   in Loop: Header=BB59_14 Depth=2
	v_lshlrev_b64 v[30:31], 2, v[27:28]
	v_sub_nc_u32_e32 v6, v47, v29
	s_delay_alu instid0(VALU_DEP_2) | instskip(NEXT) | instid1(VALU_DEP_1)
	v_add_co_u32 v30, s0, s16, v30
	v_add_co_ci_u32_e64 v31, s0, s17, v31, s0
	global_load_b32 v28, v[30:31], off
	v_add_lshl_u32 v30, v35, v6, 2
	v_mov_b32_e32 v6, v4
	ds_store_b8 v32, v1 offset:8192
	s_waitcnt vmcnt(0)
	ds_store_b32 v30, v28
	s_branch .LBB59_13
.LBB59_22:                              ;   in Loop: Header=BB59_11 Depth=1
	s_or_b32 exec_lo, exec_lo, s31
.LBB59_23:                              ;   in Loop: Header=BB59_11 Depth=1
	s_delay_alu instid0(SALU_CYCLE_1)
	s_or_b32 exec_lo, exec_lo, s30
	ds_bpermute_b32 v4, v36, v6
	s_waitcnt lgkmcnt(0)
	buffer_gl0_inv
	ds_load_u8 v25, v32 offset:8192
	v_mov_b32_e32 v28, 0
	s_mov_b32 s0, exec_lo
	v_min_i32_e32 v4, v4, v6
	ds_bpermute_b32 v6, v37, v4
	s_waitcnt lgkmcnt(1)
	v_and_b32_e32 v4, 1, v25
	s_delay_alu instid0(VALU_DEP_1)
	v_cmpx_eq_u32_e32 1, v4
	s_cbranch_execz .LBB59_10
; %bb.24:                               ;   in Loop: Header=BB59_11 Depth=1
	v_ashrrev_i32_e32 v4, 31, v3
	v_mul_lo_u32 v27, s20, v3
	v_mad_u64_u32 v[25:26], null, s21, v3, 0
	v_add_nc_u32_e32 v28, s19, v46
	s_delay_alu instid0(VALU_DEP_4) | instskip(SKIP_1) | instid1(VALU_DEP_1)
	v_mul_lo_u32 v29, s21, v4
	v_lshlrev_b64 v[30:31], 3, v[3:4]
	v_add_co_u32 v30, vcc_lo, s8, v30
	s_delay_alu instid0(VALU_DEP_3) | instskip(NEXT) | instid1(VALU_DEP_3)
	v_add3_u32 v26, v26, v29, v27
	v_add_co_ci_u32_e32 v31, vcc_lo, s9, v31, vcc_lo
	v_ashrrev_i32_e32 v29, 31, v28
	s_delay_alu instid0(VALU_DEP_3)
	v_lshlrev_b64 v[46:47], 2, v[25:26]
	global_store_b64 v[30:31], v[28:29], off
	v_add_co_u32 v26, vcc_lo, v33, v46
	v_add_co_ci_u32_e32 v27, vcc_lo, v34, v47, vcc_lo
	v_add_co_u32 v4, vcc_lo, v38, v46
	v_add_co_ci_u32_e32 v25, vcc_lo, v39, v47, vcc_lo
	s_and_saveexec_b32 s3, s24
	s_cbranch_execz .LBB59_28
; %bb.25:                               ;   in Loop: Header=BB59_11 Depth=1
	s_and_b32 vcc_lo, exec_lo, s23
	s_cbranch_vccz .LBB59_55
; %bb.26:                               ;   in Loop: Header=BB59_11 Depth=1
	ds_load_b32 v30, v45
	v_add_co_u32 v28, vcc_lo, v26, v7
	v_add_co_ci_u32_e32 v29, vcc_lo, v27, v8, vcc_lo
	s_waitcnt lgkmcnt(0)
	global_store_b32 v[28:29], v30, off
	s_cbranch_execnz .LBB59_28
.LBB59_27:                              ;   in Loop: Header=BB59_11 Depth=1
	ds_load_b32 v30, v45
	v_lshlrev_b32_e32 v28, 2, v0
	s_delay_alu instid0(VALU_DEP_1)
	v_add_co_u32 v28, vcc_lo, v4, v28
	v_add_co_ci_u32_e32 v29, vcc_lo, 0, v25, vcc_lo
	s_waitcnt lgkmcnt(0)
	global_store_b32 v[28:29], v30, off
.LBB59_28:                              ;   in Loop: Header=BB59_11 Depth=1
	s_or_b32 exec_lo, exec_lo, s3
	s_and_saveexec_b32 s3, s25
	s_cbranch_execz .LBB59_32
; %bb.29:                               ;   in Loop: Header=BB59_11 Depth=1
	s_and_not1_b32 vcc_lo, exec_lo, s23
	s_cbranch_vccnz .LBB59_56
; %bb.30:                               ;   in Loop: Header=BB59_11 Depth=1
	ds_load_b32 v30, v45 offset:8
	v_add_co_u32 v28, vcc_lo, v26, v9
	v_add_co_ci_u32_e32 v29, vcc_lo, v27, v10, vcc_lo
	s_waitcnt lgkmcnt(0)
	global_store_b32 v[28:29], v30, off
	s_cbranch_execnz .LBB59_32
.LBB59_31:                              ;   in Loop: Header=BB59_11 Depth=1
	ds_load_b32 v30, v45 offset:8
	v_lshlrev_b32_e32 v28, 2, v0
	s_delay_alu instid0(VALU_DEP_1)
	v_add_co_u32 v28, vcc_lo, v4, v28
	v_add_co_ci_u32_e32 v29, vcc_lo, 0, v25, vcc_lo
	s_waitcnt lgkmcnt(0)
	global_store_b32 v[28:29], v30, off offset:8
.LBB59_32:                              ;   in Loop: Header=BB59_11 Depth=1
	s_or_b32 exec_lo, exec_lo, s3
	s_and_saveexec_b32 s3, s1
	s_cbranch_execz .LBB59_36
; %bb.33:                               ;   in Loop: Header=BB59_11 Depth=1
	s_and_not1_b32 vcc_lo, exec_lo, s23
	s_cbranch_vccnz .LBB59_57
; %bb.34:                               ;   in Loop: Header=BB59_11 Depth=1
	ds_load_b32 v30, v45 offset:16
	v_add_co_u32 v28, vcc_lo, v26, v11
	v_add_co_ci_u32_e32 v29, vcc_lo, v27, v12, vcc_lo
	s_waitcnt lgkmcnt(0)
	global_store_b32 v[28:29], v30, off
	s_cbranch_execnz .LBB59_36
.LBB59_35:                              ;   in Loop: Header=BB59_11 Depth=1
	ds_load_b32 v30, v45 offset:16
	v_lshlrev_b32_e32 v28, 2, v0
	s_delay_alu instid0(VALU_DEP_1)
	v_add_co_u32 v28, vcc_lo, v4, v28
	v_add_co_ci_u32_e32 v29, vcc_lo, 0, v25, vcc_lo
	s_waitcnt lgkmcnt(0)
	global_store_b32 v[28:29], v30, off offset:16
.LBB59_36:                              ;   in Loop: Header=BB59_11 Depth=1
	s_or_b32 exec_lo, exec_lo, s3
	s_and_saveexec_b32 s3, s26
	s_cbranch_execz .LBB59_40
; %bb.37:                               ;   in Loop: Header=BB59_11 Depth=1
	s_and_not1_b32 vcc_lo, exec_lo, s23
	s_cbranch_vccnz .LBB59_58
; %bb.38:                               ;   in Loop: Header=BB59_11 Depth=1
	ds_load_b32 v30, v45 offset:24
	v_add_co_u32 v28, vcc_lo, v26, v13
	v_add_co_ci_u32_e32 v29, vcc_lo, v27, v14, vcc_lo
	s_waitcnt lgkmcnt(0)
	global_store_b32 v[28:29], v30, off
	s_cbranch_execnz .LBB59_40
.LBB59_39:                              ;   in Loop: Header=BB59_11 Depth=1
	ds_load_b32 v30, v45 offset:24
	v_lshlrev_b32_e32 v28, 2, v0
	s_delay_alu instid0(VALU_DEP_1)
	v_add_co_u32 v28, vcc_lo, v4, v28
	v_add_co_ci_u32_e32 v29, vcc_lo, 0, v25, vcc_lo
	s_waitcnt lgkmcnt(0)
	global_store_b32 v[28:29], v30, off offset:24
.LBB59_40:                              ;   in Loop: Header=BB59_11 Depth=1
	s_or_b32 exec_lo, exec_lo, s3
	s_and_saveexec_b32 s3, s27
	s_cbranch_execz .LBB59_44
; %bb.41:                               ;   in Loop: Header=BB59_11 Depth=1
	s_and_not1_b32 vcc_lo, exec_lo, s23
	s_cbranch_vccnz .LBB59_59
; %bb.42:                               ;   in Loop: Header=BB59_11 Depth=1
	ds_load_b32 v30, v45 offset:32
	v_add_co_u32 v28, vcc_lo, v26, v15
	v_add_co_ci_u32_e32 v29, vcc_lo, v27, v16, vcc_lo
	s_waitcnt lgkmcnt(0)
	global_store_b32 v[28:29], v30, off
	s_cbranch_execnz .LBB59_44
.LBB59_43:                              ;   in Loop: Header=BB59_11 Depth=1
	ds_load_b32 v30, v45 offset:32
	v_lshlrev_b32_e32 v28, 2, v0
	s_delay_alu instid0(VALU_DEP_1)
	v_add_co_u32 v28, vcc_lo, v4, v28
	v_add_co_ci_u32_e32 v29, vcc_lo, 0, v25, vcc_lo
	s_waitcnt lgkmcnt(0)
	global_store_b32 v[28:29], v30, off offset:32
.LBB59_44:                              ;   in Loop: Header=BB59_11 Depth=1
	s_or_b32 exec_lo, exec_lo, s3
	s_and_saveexec_b32 s3, s28
	s_cbranch_execz .LBB59_48
; %bb.45:                               ;   in Loop: Header=BB59_11 Depth=1
	s_and_not1_b32 vcc_lo, exec_lo, s23
	s_cbranch_vccnz .LBB59_60
; %bb.46:                               ;   in Loop: Header=BB59_11 Depth=1
	ds_load_b32 v30, v45 offset:40
	v_add_co_u32 v28, vcc_lo, v26, v17
	v_add_co_ci_u32_e32 v29, vcc_lo, v27, v18, vcc_lo
	s_waitcnt lgkmcnt(0)
	global_store_b32 v[28:29], v30, off
	s_cbranch_execnz .LBB59_48
.LBB59_47:                              ;   in Loop: Header=BB59_11 Depth=1
	ds_load_b32 v30, v45 offset:40
	v_lshlrev_b32_e32 v28, 2, v0
	s_delay_alu instid0(VALU_DEP_1)
	v_add_co_u32 v28, vcc_lo, v4, v28
	v_add_co_ci_u32_e32 v29, vcc_lo, 0, v25, vcc_lo
	s_waitcnt lgkmcnt(0)
	global_store_b32 v[28:29], v30, off offset:40
.LBB59_48:                              ;   in Loop: Header=BB59_11 Depth=1
	s_or_b32 exec_lo, exec_lo, s3
	s_and_saveexec_b32 s3, s6
	s_cbranch_execz .LBB59_52
; %bb.49:                               ;   in Loop: Header=BB59_11 Depth=1
	s_and_not1_b32 vcc_lo, exec_lo, s23
	s_cbranch_vccnz .LBB59_61
; %bb.50:                               ;   in Loop: Header=BB59_11 Depth=1
	ds_load_b32 v30, v45 offset:48
	v_add_co_u32 v28, vcc_lo, v26, v19
	v_add_co_ci_u32_e32 v29, vcc_lo, v27, v20, vcc_lo
	s_waitcnt lgkmcnt(0)
	global_store_b32 v[28:29], v30, off
	s_cbranch_execnz .LBB59_52
.LBB59_51:                              ;   in Loop: Header=BB59_11 Depth=1
	ds_load_b32 v30, v45 offset:48
	v_lshlrev_b32_e32 v28, 2, v0
	s_delay_alu instid0(VALU_DEP_1)
	v_add_co_u32 v28, vcc_lo, v4, v28
	v_add_co_ci_u32_e32 v29, vcc_lo, 0, v25, vcc_lo
	s_waitcnt lgkmcnt(0)
	global_store_b32 v[28:29], v30, off offset:48
.LBB59_52:                              ;   in Loop: Header=BB59_11 Depth=1
	s_or_b32 exec_lo, exec_lo, s3
	v_mov_b32_e32 v28, 1
	s_and_saveexec_b32 s3, s7
	s_cbranch_execz .LBB59_9
; %bb.53:                               ;   in Loop: Header=BB59_11 Depth=1
	s_and_not1_b32 vcc_lo, exec_lo, s23
	s_cbranch_vccnz .LBB59_62
; %bb.54:                               ;   in Loop: Header=BB59_11 Depth=1
	ds_load_b32 v28, v45 offset:56
	v_add_co_u32 v26, vcc_lo, v26, v21
	v_add_co_ci_u32_e32 v27, vcc_lo, v27, v22, vcc_lo
	s_mov_b32 s4, 1
	s_waitcnt lgkmcnt(0)
	global_store_b32 v[26:27], v28, off
	s_cbranch_execnz .LBB59_8
	s_branch .LBB59_63
.LBB59_55:                              ;   in Loop: Header=BB59_11 Depth=1
	s_branch .LBB59_27
.LBB59_56:                              ;   in Loop: Header=BB59_11 Depth=1
	s_branch .LBB59_31
.LBB59_57:                              ;   in Loop: Header=BB59_11 Depth=1
	s_branch .LBB59_35
.LBB59_58:                              ;   in Loop: Header=BB59_11 Depth=1
	s_branch .LBB59_39
.LBB59_59:                              ;   in Loop: Header=BB59_11 Depth=1
	s_branch .LBB59_43
.LBB59_60:                              ;   in Loop: Header=BB59_11 Depth=1
	s_branch .LBB59_47
.LBB59_61:                              ;   in Loop: Header=BB59_11 Depth=1
	s_branch .LBB59_51
.LBB59_62:                              ;   in Loop: Header=BB59_11 Depth=1
                                        ; implicit-def: $sgpr4
.LBB59_63:                              ;   in Loop: Header=BB59_11 Depth=1
	ds_load_b32 v28, v45 offset:56
	v_lshlrev_b32_e32 v26, 2, v0
	s_mov_b32 s4, 1
	s_delay_alu instid0(VALU_DEP_1)
	v_add_co_u32 v26, vcc_lo, v4, v26
	v_add_co_ci_u32_e32 v27, vcc_lo, 0, v25, vcc_lo
	s_waitcnt lgkmcnt(0)
	global_store_b32 v[26:27], v28, off offset:56
	s_branch .LBB59_8
.LBB59_64:
	s_endpgm
	.section	.rodata,"a",@progbits
	.p2align	6, 0x0
	.amdhsa_kernel _ZN9rocsparseL42csr2bsr_wavefront_per_row_multipass_kernelILj256ELj32ELj16EfilEEv20rocsparse_direction_T4_S2_S2_S2_S2_21rocsparse_index_base_PKT2_PKT3_PKS2_S3_PS4_PS7_PS2_
		.amdhsa_group_segment_fixed_size 8200
		.amdhsa_private_segment_fixed_size 0
		.amdhsa_kernarg_size 112
		.amdhsa_user_sgpr_count 15
		.amdhsa_user_sgpr_dispatch_ptr 0
		.amdhsa_user_sgpr_queue_ptr 0
		.amdhsa_user_sgpr_kernarg_segment_ptr 1
		.amdhsa_user_sgpr_dispatch_id 0
		.amdhsa_user_sgpr_private_segment_size 0
		.amdhsa_wavefront_size32 1
		.amdhsa_uses_dynamic_stack 0
		.amdhsa_enable_private_segment 0
		.amdhsa_system_sgpr_workgroup_id_x 1
		.amdhsa_system_sgpr_workgroup_id_y 0
		.amdhsa_system_sgpr_workgroup_id_z 0
		.amdhsa_system_sgpr_workgroup_info 0
		.amdhsa_system_vgpr_workitem_id 0
		.amdhsa_next_free_vgpr 57
		.amdhsa_next_free_sgpr 34
		.amdhsa_reserve_vcc 1
		.amdhsa_float_round_mode_32 0
		.amdhsa_float_round_mode_16_64 0
		.amdhsa_float_denorm_mode_32 3
		.amdhsa_float_denorm_mode_16_64 3
		.amdhsa_dx10_clamp 1
		.amdhsa_ieee_mode 1
		.amdhsa_fp16_overflow 0
		.amdhsa_workgroup_processor_mode 1
		.amdhsa_memory_ordered 1
		.amdhsa_forward_progress 0
		.amdhsa_shared_vgpr_count 0
		.amdhsa_exception_fp_ieee_invalid_op 0
		.amdhsa_exception_fp_denorm_src 0
		.amdhsa_exception_fp_ieee_div_zero 0
		.amdhsa_exception_fp_ieee_overflow 0
		.amdhsa_exception_fp_ieee_underflow 0
		.amdhsa_exception_fp_ieee_inexact 0
		.amdhsa_exception_int_div_zero 0
	.end_amdhsa_kernel
	.section	.text._ZN9rocsparseL42csr2bsr_wavefront_per_row_multipass_kernelILj256ELj32ELj16EfilEEv20rocsparse_direction_T4_S2_S2_S2_S2_21rocsparse_index_base_PKT2_PKT3_PKS2_S3_PS4_PS7_PS2_,"axG",@progbits,_ZN9rocsparseL42csr2bsr_wavefront_per_row_multipass_kernelILj256ELj32ELj16EfilEEv20rocsparse_direction_T4_S2_S2_S2_S2_21rocsparse_index_base_PKT2_PKT3_PKS2_S3_PS4_PS7_PS2_,comdat
.Lfunc_end59:
	.size	_ZN9rocsparseL42csr2bsr_wavefront_per_row_multipass_kernelILj256ELj32ELj16EfilEEv20rocsparse_direction_T4_S2_S2_S2_S2_21rocsparse_index_base_PKT2_PKT3_PKS2_S3_PS4_PS7_PS2_, .Lfunc_end59-_ZN9rocsparseL42csr2bsr_wavefront_per_row_multipass_kernelILj256ELj32ELj16EfilEEv20rocsparse_direction_T4_S2_S2_S2_S2_21rocsparse_index_base_PKT2_PKT3_PKS2_S3_PS4_PS7_PS2_
                                        ; -- End function
	.section	.AMDGPU.csdata,"",@progbits
; Kernel info:
; codeLenInByte = 3688
; NumSgprs: 36
; NumVgprs: 57
; ScratchSize: 0
; MemoryBound: 0
; FloatMode: 240
; IeeeMode: 1
; LDSByteSize: 8200 bytes/workgroup (compile time only)
; SGPRBlocks: 4
; VGPRBlocks: 7
; NumSGPRsForWavesPerEU: 36
; NumVGPRsForWavesPerEU: 57
; Occupancy: 16
; WaveLimiterHint : 0
; COMPUTE_PGM_RSRC2:SCRATCH_EN: 0
; COMPUTE_PGM_RSRC2:USER_SGPR: 15
; COMPUTE_PGM_RSRC2:TRAP_HANDLER: 0
; COMPUTE_PGM_RSRC2:TGID_X_EN: 1
; COMPUTE_PGM_RSRC2:TGID_Y_EN: 0
; COMPUTE_PGM_RSRC2:TGID_Z_EN: 0
; COMPUTE_PGM_RSRC2:TIDIG_COMP_CNT: 0
	.section	.text._ZN9rocsparseL38csr2bsr_block_per_row_multipass_kernelILj256ELj32EfilEEv20rocsparse_direction_T3_S2_S2_S2_S2_21rocsparse_index_base_PKT1_PKT2_PKS2_S3_PS4_PS7_PS2_,"axG",@progbits,_ZN9rocsparseL38csr2bsr_block_per_row_multipass_kernelILj256ELj32EfilEEv20rocsparse_direction_T3_S2_S2_S2_S2_21rocsparse_index_base_PKT1_PKT2_PKS2_S3_PS4_PS7_PS2_,comdat
	.globl	_ZN9rocsparseL38csr2bsr_block_per_row_multipass_kernelILj256ELj32EfilEEv20rocsparse_direction_T3_S2_S2_S2_S2_21rocsparse_index_base_PKT1_PKT2_PKS2_S3_PS4_PS7_PS2_ ; -- Begin function _ZN9rocsparseL38csr2bsr_block_per_row_multipass_kernelILj256ELj32EfilEEv20rocsparse_direction_T3_S2_S2_S2_S2_21rocsparse_index_base_PKT1_PKT2_PKS2_S3_PS4_PS7_PS2_
	.p2align	8
	.type	_ZN9rocsparseL38csr2bsr_block_per_row_multipass_kernelILj256ELj32EfilEEv20rocsparse_direction_T3_S2_S2_S2_S2_21rocsparse_index_base_PKT1_PKT2_PKS2_S3_PS4_PS7_PS2_,@function
_ZN9rocsparseL38csr2bsr_block_per_row_multipass_kernelILj256ELj32EfilEEv20rocsparse_direction_T3_S2_S2_S2_S2_21rocsparse_index_base_PKT1_PKT2_PKS2_S3_PS4_PS7_PS2_: ; @_ZN9rocsparseL38csr2bsr_block_per_row_multipass_kernelILj256ELj32EfilEEv20rocsparse_direction_T3_S2_S2_S2_S2_21rocsparse_index_base_PKT1_PKT2_PKS2_S3_PS4_PS7_PS2_
; %bb.0:
	s_mov_b32 s2, s15
	s_clause 0x1
	s_load_b128 s[12:15], s[0:1], 0x20
	s_load_b64 s[6:7], s[0:1], 0x8
	v_mov_b32_e32 v2, 0
	v_lshrrev_b32_e32 v1, 3, v0
	s_clause 0x1
	s_load_b32 s28, s[0:1], 0x30
	s_load_b64 s[4:5], s[0:1], 0x40
	s_ashr_i32 s3, s2, 31
	v_mov_b32_e32 v16, v2
	s_waitcnt lgkmcnt(0)
	v_mad_u64_u32 v[3:4], null, s2, s14, v[1:2]
	s_mul_i32 s8, s2, s15
	s_mul_i32 s9, s3, s14
	s_delay_alu instid0(VALU_DEP_1) | instid1(SALU_CYCLE_1)
	v_add3_u32 v4, s8, s9, v4
	v_cmp_gt_i64_e64 s9, s[14:15], v[1:2]
	s_delay_alu instid0(VALU_DEP_2) | instskip(NEXT) | instid1(VALU_DEP_2)
	v_cmp_gt_i64_e32 vcc_lo, s[6:7], v[3:4]
	s_and_b32 s6, s9, vcc_lo
	s_delay_alu instid0(SALU_CYCLE_1)
	s_and_saveexec_b32 s7, s6
	s_cbranch_execnz .LBB60_3
; %bb.1:
	s_or_b32 exec_lo, exec_lo, s7
	s_and_saveexec_b32 s7, s6
	s_cbranch_execnz .LBB60_4
.LBB60_2:
	s_or_b32 exec_lo, exec_lo, s7
	v_cmp_lt_i64_e64 s4, s[12:13], 1
	s_delay_alu instid0(VALU_DEP_1)
	s_and_b32 vcc_lo, exec_lo, s4
	s_cbranch_vccz .LBB60_5
	s_branch .LBB60_45
.LBB60_3:
	v_lshlrev_b64 v[5:6], 2, v[3:4]
	s_delay_alu instid0(VALU_DEP_1) | instskip(NEXT) | instid1(VALU_DEP_2)
	v_add_co_u32 v5, vcc_lo, s4, v5
	v_add_co_ci_u32_e32 v6, vcc_lo, s5, v6, vcc_lo
	global_load_b32 v5, v[5:6], off
	s_waitcnt vmcnt(0)
	v_subrev_nc_u32_e32 v16, s28, v5
	s_or_b32 exec_lo, exec_lo, s7
	s_and_saveexec_b32 s7, s6
	s_cbranch_execz .LBB60_2
.LBB60_4:
	v_lshlrev_b64 v[2:3], 2, v[3:4]
	s_delay_alu instid0(VALU_DEP_1) | instskip(NEXT) | instid1(VALU_DEP_2)
	v_add_co_u32 v2, vcc_lo, s4, v2
	v_add_co_ci_u32_e32 v3, vcc_lo, s5, v3, vcc_lo
	global_load_b32 v2, v[2:3], off offset:4
	s_waitcnt vmcnt(0)
	v_subrev_nc_u32_e32 v2, s28, v2
	s_or_b32 exec_lo, exec_lo, s7
	v_cmp_lt_i64_e64 s4, s[12:13], 1
	s_delay_alu instid0(VALU_DEP_1)
	s_and_b32 vcc_lo, exec_lo, s4
	s_cbranch_vccnz .LBB60_45
.LBB60_5:
	s_clause 0x1
	s_load_b128 s[4:7], s[0:1], 0x58
	s_load_b64 s[16:17], s[0:1], 0x68
	v_mbcnt_lo_u32_b32 v10, -1, 0
	s_mul_i32 s8, s14, s15
	s_mul_hi_u32 s10, s14, s14
	v_mad_u64_u32 v[6:7], null, v1, s14, 0
	s_clause 0x3
	s_load_b32 s30, s[0:1], 0x50
	s_load_b64 s[18:19], s[0:1], 0x48
	s_load_b64 s[20:21], s[0:1], 0x38
	s_load_b32 s11, s[0:1], 0x0
	s_lshl_b64 s[0:1], s[2:3], 2
	s_add_i32 s2, s10, s8
	v_xor_b32_e32 v11, 4, v10
	s_add_i32 s31, s2, s8
	v_dual_mov_b32 v4, v7 :: v_dual_lshlrev_b32 v9, 2, v1
	v_xor_b32_e32 v12, 2, v10
	s_delay_alu instid0(VALU_DEP_3)
	v_cmp_gt_i32_e32 vcc_lo, 32, v11
	v_mov_b32_e32 v3, 0
	v_and_b32_e32 v5, 7, v0
	v_cmp_gt_u32_e64 s2, 64, v0
	v_cmp_gt_u32_e64 s3, 32, v0
	s_waitcnt lgkmcnt(0)
	s_add_u32 s0, s6, s0
	s_addc_u32 s1, s7, s1
	v_mad_u64_u32 v[7:8], null, v1, s15, v[4:5]
	s_load_b32 s0, s[0:1], 0x0
	v_cndmask_b32_e32 v4, v10, v11, vcc_lo
	v_cmp_gt_i32_e32 vcc_lo, 32, v12
	v_lshlrev_b32_e32 v19, 5, v1
	v_xor_b32_e32 v1, 1, v10
	v_lshlrev_b32_e32 v28, 3, v0
	v_lshlrev_b64 v[6:7], 2, v[6:7]
	v_cndmask_b32_e32 v8, v10, v12, vcc_lo
	v_lshlrev_b32_e32 v21, 2, v4
	v_cmp_gt_i32_e32 vcc_lo, 32, v1
	v_cmp_gt_u32_e64 s1, 0x80, v0
	v_cmp_gt_u32_e64 s6, 4, v0
	;; [unrolled: 1-line block ×3, first 2 shown]
	v_cmp_eq_u32_e64 s8, 0, v0
	v_dual_cndmask_b32 v1, v10, v1 :: v_dual_lshlrev_b32 v22, 2, v8
	v_add_co_u32 v4, vcc_lo, s4, v6
	v_add_co_ci_u32_e32 v7, vcc_lo, s5, v7, vcc_lo
	s_waitcnt lgkmcnt(0)
	s_sub_i32 s22, s0, s30
	v_add_co_u32 v24, s0, s4, v9
	s_delay_alu instid0(VALU_DEP_1)
	v_add_co_ci_u32_e64 v25, null, s5, 0, s0
	v_mov_b32_e32 v6, v3
	v_cmp_gt_u32_e64 s4, 16, v0
	v_cmp_gt_u32_e64 s5, 8, v0
	v_or_b32_e32 v0, 8, v5
	v_or_b32_e32 v12, 24, v5
	v_lshl_or_b32 v20, v10, 2, 28
	s_cmp_eq_u32 s11, 0
	v_mov_b32_e32 v13, v3
	v_mad_u64_u32 v[10:11], null, v0, s14, 0
	v_lshlrev_b32_e32 v23, 2, v1
	v_mad_u64_u32 v[17:18], null, v12, s14, 0
	v_lshlrev_b32_e32 v1, 2, v5
	s_cselect_b32 s0, -1, 0
	s_mul_i32 s29, s14, s14
	s_mov_b64 s[24:25], 0
	s_delay_alu instid0(VALU_DEP_1) | instskip(SKIP_4) | instid1(VALU_DEP_3)
	v_add_co_u32 v26, vcc_lo, v4, v1
	v_add_co_ci_u32_e32 v27, vcc_lo, 0, v7, vcc_lo
	v_mad_u64_u32 v[7:8], null, v5, s14, 0
	v_or_b32_e32 v1, v19, v5
	v_cmp_gt_i64_e32 vcc_lo, s[14:15], v[5:6]
	v_mov_b32_e32 v4, v8
	v_or_b32_e32 v8, 16, v5
	s_and_b32 s33, s9, vcc_lo
	s_delay_alu instid0(VALU_DEP_2) | instskip(NEXT) | instid1(VALU_DEP_2)
	v_mad_u64_u32 v[30:31], null, v5, s15, v[4:5]
	v_mad_u64_u32 v[14:15], null, v8, s14, 0
	v_lshlrev_b32_e32 v29, 2, v1
	v_mov_b32_e32 v1, v3
	v_mov_b32_e32 v4, v11
	s_delay_alu instid0(VALU_DEP_2) | instskip(SKIP_1) | instid1(VALU_DEP_3)
	v_cmp_gt_i64_e64 s10, s[14:15], v[0:1]
	v_mov_b32_e32 v1, v15
	v_mad_u64_u32 v[31:32], null, v0, s15, v[4:5]
	v_mov_b32_e32 v0, v18
	s_delay_alu instid0(VALU_DEP_3) | instskip(SKIP_1) | instid1(VALU_DEP_2)
	v_mad_u64_u32 v[32:33], null, v8, s15, v[1:2]
	s_and_b32 s34, s9, s10
	v_mad_u64_u32 v[33:34], null, v12, s15, v[0:1]
	v_mov_b32_e32 v9, v3
	v_mov_b32_e32 v11, v31
	s_ashr_i32 s10, s15, 31
	s_delay_alu instid0(VALU_DEP_3) | instskip(NEXT) | instid1(VALU_DEP_3)
	v_dual_mov_b32 v15, v32 :: v_dual_mov_b32 v18, v33
	v_cmp_gt_i64_e64 s11, s[14:15], v[8:9]
	v_mov_b32_e32 v8, v30
	v_mov_b32_e32 v30, 1
	s_delay_alu instid0(VALU_DEP_2)
	v_lshlrev_b64 v[0:1], 2, v[7:8]
	v_lshlrev_b64 v[8:9], 2, v[14:15]
	v_mov_b32_e32 v14, 0
	v_cmp_gt_i64_e32 vcc_lo, s[14:15], v[12:13]
	v_lshlrev_b64 v[6:7], 2, v[10:11]
	v_lshlrev_b64 v[10:11], 2, v[17:18]
	s_and_b32 s35, s9, s11
	s_and_b32 s36, s9, vcc_lo
	s_branch .LBB60_7
.LBB60_6:                               ;   in Loop: Header=BB60_7 Depth=1
	s_or_b32 exec_lo, exec_lo, s11
	s_waitcnt lgkmcnt(0)
	s_barrier
	buffer_gl0_inv
	ds_load_b64 v[14:15], v3
	s_add_i32 s22, s9, s22
	s_waitcnt lgkmcnt(0)
	s_barrier
	buffer_gl0_inv
	v_readfirstlane_b32 s24, v14
	v_readfirstlane_b32 s25, v15
	s_delay_alu instid0(VALU_DEP_1) | instskip(NEXT) | instid1(SALU_CYCLE_1)
	s_bfe_i64 s[24:25], s[24:25], 0x200000
	v_cmp_lt_i64_e64 s11, s[24:25], s[12:13]
	s_delay_alu instid0(VALU_DEP_1)
	s_and_b32 vcc_lo, exec_lo, s11
	s_cbranch_vccz .LBB60_45
.LBB60_7:                               ; =>This Loop Header: Depth=1
                                        ;     Child Loop BB60_10 Depth 2
	v_dual_mov_b32 v12, s12 :: v_dual_add_nc_u32 v15, v16, v5
	v_dual_mov_b32 v13, s13 :: v_dual_mov_b32 v4, v2
	s_mov_b32 s23, exec_lo
	ds_store_b8 v3, v3 offset:4096
	ds_store_2addr_b32 v29, v3, v3 offset1:8
	ds_store_2addr_b32 v29, v3, v3 offset0:16 offset1:24
	s_waitcnt lgkmcnt(0)
	s_barrier
	buffer_gl0_inv
	v_cmpx_lt_i32_e64 v15, v2
	s_cbranch_execz .LBB60_19
; %bb.8:                                ;   in Loop: Header=BB60_7 Depth=1
	v_dual_mov_b32 v12, s12 :: v_dual_mov_b32 v13, s13
	v_mov_b32_e32 v31, v2
	s_mul_i32 s38, s24, s14
	s_mov_b32 s37, 0
	s_branch .LBB60_10
.LBB60_9:                               ;   in Loop: Header=BB60_10 Depth=2
	s_or_b32 exec_lo, exec_lo, s11
	v_add_nc_u32_e32 v15, 8, v15
	s_xor_b32 s11, vcc_lo, -1
	v_mov_b32_e32 v31, v4
	s_delay_alu instid0(VALU_DEP_2) | instskip(NEXT) | instid1(VALU_DEP_1)
	v_cmp_ge_i32_e64 s9, v15, v2
	s_or_b32 s9, s11, s9
	s_delay_alu instid0(SALU_CYCLE_1) | instskip(NEXT) | instid1(SALU_CYCLE_1)
	s_and_b32 s9, exec_lo, s9
	s_or_b32 s37, s9, s37
	s_delay_alu instid0(SALU_CYCLE_1)
	s_and_not1_b32 exec_lo, exec_lo, s37
	s_cbranch_execz .LBB60_18
.LBB60_10:                              ;   Parent Loop BB60_7 Depth=1
                                        ; =>  This Inner Loop Header: Depth=2
	v_ashrrev_i32_e32 v16, 31, v15
	s_mov_b32 s9, exec_lo
	s_delay_alu instid0(VALU_DEP_1) | instskip(NEXT) | instid1(VALU_DEP_1)
	v_lshlrev_b64 v[17:18], 3, v[15:16]
	v_add_co_u32 v17, vcc_lo, s18, v17
	s_delay_alu instid0(VALU_DEP_2) | instskip(SKIP_4) | instid1(VALU_DEP_1)
	v_add_co_ci_u32_e32 v18, vcc_lo, s19, v18, vcc_lo
	global_load_b64 v[17:18], v[17:18], off
	s_waitcnt vmcnt(0)
	v_sub_co_u32 v32, vcc_lo, v17, s28
	v_subrev_co_ci_u32_e32 v33, vcc_lo, 0, v18, vcc_lo
                                        ; implicit-def: $vgpr17_vgpr18
	v_or_b32_e32 v4, s15, v33
	s_delay_alu instid0(VALU_DEP_1)
	v_cmpx_ne_u64_e32 0, v[3:4]
	s_xor_b32 s39, exec_lo, s9
	s_cbranch_execz .LBB60_12
; %bb.11:                               ;   in Loop: Header=BB60_10 Depth=2
	s_add_u32 s26, s14, s10
	s_mov_b32 s11, s10
	s_addc_u32 s27, s15, s10
	s_delay_alu instid0(SALU_CYCLE_1) | instskip(NEXT) | instid1(SALU_CYCLE_1)
	s_xor_b64 s[26:27], s[26:27], s[10:11]
	v_cvt_f32_u32_e32 v4, s26
	v_cvt_f32_u32_e32 v17, s27
	s_sub_u32 s9, 0, s26
	s_subb_u32 s11, 0, s27
	s_delay_alu instid0(VALU_DEP_1) | instskip(NEXT) | instid1(VALU_DEP_1)
	v_fmac_f32_e32 v4, 0x4f800000, v17
	v_rcp_f32_e32 v4, v4
	s_waitcnt_depctr 0xfff
	v_mul_f32_e32 v4, 0x5f7ffffc, v4
	s_delay_alu instid0(VALU_DEP_1) | instskip(NEXT) | instid1(VALU_DEP_1)
	v_mul_f32_e32 v17, 0x2f800000, v4
	v_trunc_f32_e32 v17, v17
	s_delay_alu instid0(VALU_DEP_1) | instskip(SKIP_1) | instid1(VALU_DEP_2)
	v_fmac_f32_e32 v4, 0xcf800000, v17
	v_cvt_u32_f32_e32 v17, v17
	v_cvt_u32_f32_e32 v4, v4
	s_delay_alu instid0(VALU_DEP_2) | instskip(NEXT) | instid1(VALU_DEP_2)
	v_mul_lo_u32 v18, s9, v17
	v_mul_hi_u32 v34, s9, v4
	v_mul_lo_u32 v35, s11, v4
	s_delay_alu instid0(VALU_DEP_2) | instskip(SKIP_1) | instid1(VALU_DEP_2)
	v_add_nc_u32_e32 v18, v34, v18
	v_mul_lo_u32 v34, s9, v4
	v_add_nc_u32_e32 v18, v18, v35
	s_delay_alu instid0(VALU_DEP_2) | instskip(NEXT) | instid1(VALU_DEP_2)
	v_mul_hi_u32 v35, v4, v34
	v_mul_lo_u32 v36, v4, v18
	v_mul_hi_u32 v37, v4, v18
	v_mul_hi_u32 v38, v17, v34
	v_mul_lo_u32 v34, v17, v34
	v_mul_hi_u32 v39, v17, v18
	v_mul_lo_u32 v18, v17, v18
	v_add_co_u32 v35, vcc_lo, v35, v36
	v_add_co_ci_u32_e32 v36, vcc_lo, 0, v37, vcc_lo
	s_delay_alu instid0(VALU_DEP_2) | instskip(NEXT) | instid1(VALU_DEP_2)
	v_add_co_u32 v34, vcc_lo, v35, v34
	v_add_co_ci_u32_e32 v34, vcc_lo, v36, v38, vcc_lo
	v_add_co_ci_u32_e32 v35, vcc_lo, 0, v39, vcc_lo
	v_ashrrev_i32_e32 v38, 31, v33
	s_delay_alu instid0(VALU_DEP_3) | instskip(NEXT) | instid1(VALU_DEP_3)
	v_add_co_u32 v18, vcc_lo, v34, v18
	v_add_co_ci_u32_e32 v34, vcc_lo, 0, v35, vcc_lo
	s_delay_alu instid0(VALU_DEP_2) | instskip(NEXT) | instid1(VALU_DEP_2)
	v_add_co_u32 v4, vcc_lo, v4, v18
	v_add_co_ci_u32_e32 v17, vcc_lo, v17, v34, vcc_lo
	s_delay_alu instid0(VALU_DEP_2) | instskip(SKIP_1) | instid1(VALU_DEP_3)
	v_mul_hi_u32 v18, s9, v4
	v_mul_lo_u32 v35, s11, v4
	v_mul_lo_u32 v34, s9, v17
	s_delay_alu instid0(VALU_DEP_1) | instskip(SKIP_1) | instid1(VALU_DEP_2)
	v_add_nc_u32_e32 v18, v18, v34
	v_mul_lo_u32 v34, s9, v4
	v_add_nc_u32_e32 v18, v18, v35
	s_delay_alu instid0(VALU_DEP_2) | instskip(NEXT) | instid1(VALU_DEP_2)
	v_mul_hi_u32 v35, v4, v34
	v_mul_lo_u32 v36, v4, v18
	v_mul_hi_u32 v37, v4, v18
	v_mul_hi_u32 v39, v17, v34
	v_mul_lo_u32 v34, v17, v34
	v_mul_hi_u32 v40, v17, v18
	v_mul_lo_u32 v18, v17, v18
	v_add_co_u32 v35, vcc_lo, v35, v36
	v_add_co_ci_u32_e32 v36, vcc_lo, 0, v37, vcc_lo
	s_delay_alu instid0(VALU_DEP_2) | instskip(NEXT) | instid1(VALU_DEP_2)
	v_add_co_u32 v34, vcc_lo, v35, v34
	v_add_co_ci_u32_e32 v34, vcc_lo, v36, v39, vcc_lo
	v_add_co_ci_u32_e32 v35, vcc_lo, 0, v40, vcc_lo
	v_add_co_u32 v36, vcc_lo, v32, v38
	v_add_co_ci_u32_e32 v33, vcc_lo, v33, v38, vcc_lo
	s_delay_alu instid0(VALU_DEP_4) | instskip(NEXT) | instid1(VALU_DEP_4)
	v_add_co_u32 v18, vcc_lo, v34, v18
	v_add_co_ci_u32_e32 v34, vcc_lo, 0, v35, vcc_lo
	s_delay_alu instid0(VALU_DEP_4) | instskip(NEXT) | instid1(VALU_DEP_3)
	v_xor_b32_e32 v37, v36, v38
	v_add_co_u32 v4, vcc_lo, v4, v18
	s_delay_alu instid0(VALU_DEP_3) | instskip(SKIP_1) | instid1(VALU_DEP_3)
	v_add_co_ci_u32_e32 v39, vcc_lo, v17, v34, vcc_lo
	v_xor_b32_e32 v40, v33, v38
	v_mul_hi_u32 v41, v37, v4
	s_delay_alu instid0(VALU_DEP_3) | instskip(NEXT) | instid1(VALU_DEP_3)
	v_mad_u64_u32 v[17:18], null, v37, v39, 0
	v_mad_u64_u32 v[33:34], null, v40, v4, 0
	v_mad_u64_u32 v[35:36], null, v40, v39, 0
	s_delay_alu instid0(VALU_DEP_3) | instskip(NEXT) | instid1(VALU_DEP_4)
	v_add_co_u32 v4, vcc_lo, v41, v17
	v_add_co_ci_u32_e32 v17, vcc_lo, 0, v18, vcc_lo
	s_delay_alu instid0(VALU_DEP_2) | instskip(NEXT) | instid1(VALU_DEP_2)
	v_add_co_u32 v4, vcc_lo, v4, v33
	v_add_co_ci_u32_e32 v4, vcc_lo, v17, v34, vcc_lo
	v_add_co_ci_u32_e32 v17, vcc_lo, 0, v36, vcc_lo
	s_delay_alu instid0(VALU_DEP_2) | instskip(NEXT) | instid1(VALU_DEP_2)
	v_add_co_u32 v4, vcc_lo, v4, v35
	v_add_co_ci_u32_e32 v33, vcc_lo, 0, v17, vcc_lo
	s_delay_alu instid0(VALU_DEP_2) | instskip(SKIP_1) | instid1(VALU_DEP_3)
	v_mul_lo_u32 v34, s27, v4
	v_mad_u64_u32 v[17:18], null, s26, v4, 0
	v_mul_lo_u32 v35, s26, v33
	s_delay_alu instid0(VALU_DEP_2) | instskip(NEXT) | instid1(VALU_DEP_2)
	v_sub_co_u32 v17, vcc_lo, v37, v17
	v_add3_u32 v18, v18, v35, v34
	s_delay_alu instid0(VALU_DEP_1) | instskip(NEXT) | instid1(VALU_DEP_1)
	v_sub_nc_u32_e32 v34, v40, v18
	v_subrev_co_ci_u32_e64 v34, s9, s27, v34, vcc_lo
	v_add_co_u32 v35, s9, v4, 2
	s_delay_alu instid0(VALU_DEP_1) | instskip(SKIP_3) | instid1(VALU_DEP_3)
	v_add_co_ci_u32_e64 v36, s9, 0, v33, s9
	v_sub_co_u32 v37, s9, v17, s26
	v_sub_co_ci_u32_e32 v18, vcc_lo, v40, v18, vcc_lo
	v_subrev_co_ci_u32_e64 v34, s9, 0, v34, s9
	v_cmp_le_u32_e32 vcc_lo, s26, v37
	s_delay_alu instid0(VALU_DEP_3) | instskip(SKIP_1) | instid1(VALU_DEP_4)
	v_cmp_eq_u32_e64 s9, s27, v18
	v_cndmask_b32_e64 v37, 0, -1, vcc_lo
	v_cmp_le_u32_e32 vcc_lo, s27, v34
	v_cndmask_b32_e64 v39, 0, -1, vcc_lo
	v_cmp_le_u32_e32 vcc_lo, s26, v17
	;; [unrolled: 2-line block ×3, first 2 shown]
	v_cndmask_b32_e64 v40, 0, -1, vcc_lo
	v_cmp_eq_u32_e32 vcc_lo, s27, v34
	s_delay_alu instid0(VALU_DEP_2) | instskip(SKIP_3) | instid1(VALU_DEP_3)
	v_cndmask_b32_e64 v17, v40, v17, s9
	v_cndmask_b32_e32 v34, v39, v37, vcc_lo
	v_add_co_u32 v37, vcc_lo, v4, 1
	v_add_co_ci_u32_e32 v39, vcc_lo, 0, v33, vcc_lo
	v_cmp_ne_u32_e32 vcc_lo, 0, v34
	s_delay_alu instid0(VALU_DEP_2) | instskip(NEXT) | instid1(VALU_DEP_4)
	v_cndmask_b32_e32 v18, v39, v36, vcc_lo
	v_cndmask_b32_e32 v34, v37, v35, vcc_lo
	v_cmp_ne_u32_e32 vcc_lo, 0, v17
	v_xor_b32_e32 v35, s10, v38
	s_delay_alu instid0(VALU_DEP_3) | instskip(SKIP_1) | instid1(VALU_DEP_2)
	v_cndmask_b32_e32 v4, v4, v34, vcc_lo
	v_cndmask_b32_e32 v17, v33, v18, vcc_lo
	v_xor_b32_e32 v4, v4, v35
	s_delay_alu instid0(VALU_DEP_2) | instskip(NEXT) | instid1(VALU_DEP_2)
	v_xor_b32_e32 v18, v17, v35
	v_sub_co_u32 v17, vcc_lo, v4, v35
	s_delay_alu instid0(VALU_DEP_2)
	v_sub_co_ci_u32_e32 v18, vcc_lo, v18, v35, vcc_lo
.LBB60_12:                              ;   in Loop: Header=BB60_10 Depth=2
	s_and_not1_saveexec_b32 s9, s39
	s_cbranch_execz .LBB60_14
; %bb.13:                               ;   in Loop: Header=BB60_10 Depth=2
	v_cvt_f32_u32_e32 v4, s14
	s_sub_i32 s11, 0, s14
	s_delay_alu instid0(VALU_DEP_1) | instskip(SKIP_2) | instid1(VALU_DEP_1)
	v_rcp_iflag_f32_e32 v4, v4
	s_waitcnt_depctr 0xfff
	v_mul_f32_e32 v4, 0x4f7ffffe, v4
	v_cvt_u32_f32_e32 v4, v4
	s_delay_alu instid0(VALU_DEP_1) | instskip(NEXT) | instid1(VALU_DEP_1)
	v_mul_lo_u32 v17, s11, v4
	v_mul_hi_u32 v17, v4, v17
	s_delay_alu instid0(VALU_DEP_1) | instskip(NEXT) | instid1(VALU_DEP_1)
	v_add_nc_u32_e32 v4, v4, v17
	v_mul_hi_u32 v4, v32, v4
	s_delay_alu instid0(VALU_DEP_1) | instskip(SKIP_1) | instid1(VALU_DEP_2)
	v_mul_lo_u32 v17, v4, s14
	v_add_nc_u32_e32 v18, 1, v4
	v_sub_nc_u32_e32 v17, v32, v17
	s_delay_alu instid0(VALU_DEP_1) | instskip(SKIP_1) | instid1(VALU_DEP_2)
	v_subrev_nc_u32_e32 v33, s14, v17
	v_cmp_le_u32_e32 vcc_lo, s14, v17
	v_dual_cndmask_b32 v17, v17, v33 :: v_dual_cndmask_b32 v4, v4, v18
	s_delay_alu instid0(VALU_DEP_1) | instskip(NEXT) | instid1(VALU_DEP_2)
	v_cmp_le_u32_e32 vcc_lo, s14, v17
	v_add_nc_u32_e32 v18, 1, v4
	s_delay_alu instid0(VALU_DEP_1)
	v_dual_cndmask_b32 v17, v4, v18 :: v_dual_mov_b32 v18, v3
.LBB60_14:                              ;   in Loop: Header=BB60_10 Depth=2
	s_or_b32 exec_lo, exec_lo, s9
	s_delay_alu instid0(VALU_DEP_1)
	v_cmp_eq_u64_e32 vcc_lo, s[24:25], v[17:18]
	s_mov_b32 s11, exec_lo
	v_cmpx_ne_u64_e64 s[24:25], v[17:18]
	s_xor_b32 s11, exec_lo, s11
; %bb.15:                               ;   in Loop: Header=BB60_10 Depth=2
	v_cmp_lt_i64_e64 s9, v[17:18], v[12:13]
                                        ; implicit-def: $vgpr32
                                        ; implicit-def: $vgpr31
	s_delay_alu instid0(VALU_DEP_1)
	v_cndmask_b32_e64 v13, v13, v18, s9
	v_cndmask_b32_e64 v12, v12, v17, s9
; %bb.16:                               ;   in Loop: Header=BB60_10 Depth=2
	s_or_saveexec_b32 s11, s11
	v_mov_b32_e32 v4, v15
	s_xor_b32 exec_lo, exec_lo, s11
	s_cbranch_execz .LBB60_9
; %bb.17:                               ;   in Loop: Header=BB60_10 Depth=2
	v_lshlrev_b64 v[16:17], 2, v[15:16]
	v_subrev_nc_u32_e32 v4, s38, v32
	s_delay_alu instid0(VALU_DEP_2) | instskip(NEXT) | instid1(VALU_DEP_1)
	v_add_co_u32 v16, s9, s20, v16
	v_add_co_ci_u32_e64 v17, s9, s21, v17, s9
	global_load_b32 v16, v[16:17], off
	v_add_lshl_u32 v17, v19, v4, 2
	v_mov_b32_e32 v4, v31
	ds_store_b8 v3, v30 offset:4096
	s_waitcnt vmcnt(0)
	ds_store_b32 v17, v16
	s_branch .LBB60_9
.LBB60_18:                              ;   in Loop: Header=BB60_7 Depth=1
	s_or_b32 exec_lo, exec_lo, s37
.LBB60_19:                              ;   in Loop: Header=BB60_7 Depth=1
	s_delay_alu instid0(SALU_CYCLE_1)
	s_or_b32 exec_lo, exec_lo, s23
	ds_bpermute_b32 v15, v21, v4
	s_waitcnt lgkmcnt(0)
	s_barrier
	buffer_gl0_inv
	ds_load_u8 v17, v3 offset:4096
	s_mov_b32 s9, 0
	v_min_i32_e32 v4, v15, v4
	s_waitcnt lgkmcnt(0)
	v_cmp_eq_u32_e32 vcc_lo, 0, v17
	ds_bpermute_b32 v15, v22, v4
	s_and_b32 vcc_lo, exec_lo, vcc_lo
	s_waitcnt lgkmcnt(0)
	v_min_i32_e32 v4, v15, v4
	ds_bpermute_b32 v15, v23, v4
	s_waitcnt lgkmcnt(0)
	v_min_i32_e32 v4, v15, v4
	ds_bpermute_b32 v16, v20, v4
	s_cbranch_vccnz .LBB60_26
; %bb.20:                               ;   in Loop: Header=BB60_7 Depth=1
	s_ashr_i32 s23, s22, 31
	s_mul_hi_u32 s9, s29, s22
	s_lshl_b64 s[24:25], s[22:23], 3
	s_mul_i32 s11, s29, s23
	s_add_u32 s24, s16, s24
	s_addc_u32 s25, s17, s25
	s_add_i32 s9, s9, s11
	s_mul_i32 s11, s31, s22
	s_mul_i32 s26, s29, s22
	s_add_i32 s27, s9, s11
	v_add_nc_u32_e32 v31, s30, v14
	s_lshl_b64 s[26:27], s[26:27], 2
	s_delay_alu instid0(SALU_CYCLE_1)
	v_add_co_u32 v4, vcc_lo, v24, s26
	v_add_co_ci_u32_e32 v14, vcc_lo, s27, v25, vcc_lo
	v_add_co_u32 v15, vcc_lo, v26, s26
	v_ashrrev_i32_e32 v32, 31, v31
	v_add_co_ci_u32_e32 v17, vcc_lo, s27, v27, vcc_lo
	global_store_b64 v3, v[31:32], s[24:25]
	s_and_saveexec_b32 s9, s33
	s_cbranch_execnz .LBB60_42
; %bb.21:                               ;   in Loop: Header=BB60_7 Depth=1
	s_or_b32 exec_lo, exec_lo, s9
	s_and_saveexec_b32 s9, s34
	s_cbranch_execnz .LBB60_43
.LBB60_22:                              ;   in Loop: Header=BB60_7 Depth=1
	s_or_b32 exec_lo, exec_lo, s9
	s_and_saveexec_b32 s9, s35
	s_cbranch_execnz .LBB60_44
.LBB60_23:                              ;   in Loop: Header=BB60_7 Depth=1
	s_or_b32 exec_lo, exec_lo, s9
	s_and_saveexec_b32 s9, s36
	s_cbranch_execz .LBB60_25
.LBB60_24:                              ;   in Loop: Header=BB60_7 Depth=1
	ds_load_b32 v18, v29 offset:96
	v_add_co_u32 v31, vcc_lo, 0x60, v15
	v_add_co_ci_u32_e32 v15, vcc_lo, 0, v17, vcc_lo
	v_add_co_u32 v4, vcc_lo, v4, v10
	v_add_co_ci_u32_e32 v14, vcc_lo, v14, v11, vcc_lo
	s_delay_alu instid0(VALU_DEP_1) | instskip(NEXT) | instid1(VALU_DEP_3)
	v_cndmask_b32_e64 v15, v14, v15, s0
	v_cndmask_b32_e64 v14, v4, v31, s0
	s_waitcnt lgkmcnt(0)
	global_store_b32 v[14:15], v18, off
.LBB60_25:                              ;   in Loop: Header=BB60_7 Depth=1
	s_or_b32 exec_lo, exec_lo, s9
	s_mov_b32 s9, 1
.LBB60_26:                              ;   in Loop: Header=BB60_7 Depth=1
	s_waitcnt lgkmcnt(0)
	s_waitcnt_vscnt null, 0x0
	s_barrier
	buffer_gl0_inv
	ds_store_b64 v28, v[12:13]
	s_waitcnt lgkmcnt(0)
	s_barrier
	buffer_gl0_inv
	s_and_saveexec_b32 s11, s1
	s_cbranch_execz .LBB60_28
; %bb.27:                               ;   in Loop: Header=BB60_7 Depth=1
	ds_load_2addr_stride64_b64 v[12:15], v28 offset1:2
	s_waitcnt lgkmcnt(0)
	v_cmp_lt_i64_e32 vcc_lo, v[14:15], v[12:13]
	v_dual_cndmask_b32 v13, v13, v15 :: v_dual_cndmask_b32 v12, v12, v14
	ds_store_b64 v28, v[12:13]
.LBB60_28:                              ;   in Loop: Header=BB60_7 Depth=1
	s_or_b32 exec_lo, exec_lo, s11
	s_waitcnt lgkmcnt(0)
	s_barrier
	buffer_gl0_inv
	s_and_saveexec_b32 s11, s2
	s_cbranch_execz .LBB60_30
; %bb.29:                               ;   in Loop: Header=BB60_7 Depth=1
	ds_load_2addr_stride64_b64 v[12:15], v28 offset1:1
	s_waitcnt lgkmcnt(0)
	v_cmp_lt_i64_e32 vcc_lo, v[14:15], v[12:13]
	v_dual_cndmask_b32 v13, v13, v15 :: v_dual_cndmask_b32 v12, v12, v14
	ds_store_b64 v28, v[12:13]
.LBB60_30:                              ;   in Loop: Header=BB60_7 Depth=1
	s_or_b32 exec_lo, exec_lo, s11
	s_waitcnt lgkmcnt(0)
	s_barrier
	buffer_gl0_inv
	s_and_saveexec_b32 s11, s3
	s_cbranch_execz .LBB60_32
; %bb.31:                               ;   in Loop: Header=BB60_7 Depth=1
	ds_load_2addr_b64 v[12:15], v28 offset1:32
	s_waitcnt lgkmcnt(0)
	v_cmp_lt_i64_e32 vcc_lo, v[14:15], v[12:13]
	v_dual_cndmask_b32 v13, v13, v15 :: v_dual_cndmask_b32 v12, v12, v14
	ds_store_b64 v28, v[12:13]
.LBB60_32:                              ;   in Loop: Header=BB60_7 Depth=1
	s_or_b32 exec_lo, exec_lo, s11
	s_waitcnt lgkmcnt(0)
	s_barrier
	buffer_gl0_inv
	s_and_saveexec_b32 s11, s4
	s_cbranch_execz .LBB60_34
; %bb.33:                               ;   in Loop: Header=BB60_7 Depth=1
	ds_load_2addr_b64 v[12:15], v28 offset1:16
	s_waitcnt lgkmcnt(0)
	v_cmp_lt_i64_e32 vcc_lo, v[14:15], v[12:13]
	v_dual_cndmask_b32 v13, v13, v15 :: v_dual_cndmask_b32 v12, v12, v14
	ds_store_b64 v28, v[12:13]
.LBB60_34:                              ;   in Loop: Header=BB60_7 Depth=1
	;; [unrolled: 13-line block ×5, first 2 shown]
	s_or_b32 exec_lo, exec_lo, s11
	s_waitcnt lgkmcnt(0)
	s_barrier
	buffer_gl0_inv
	s_and_saveexec_b32 s11, s8
	s_cbranch_execz .LBB60_6
; %bb.41:                               ;   in Loop: Header=BB60_7 Depth=1
	ds_load_b128 v[12:15], v3
	s_waitcnt lgkmcnt(0)
	v_cmp_lt_i64_e32 vcc_lo, v[14:15], v[12:13]
	v_dual_cndmask_b32 v13, v13, v15 :: v_dual_cndmask_b32 v12, v12, v14
	ds_store_b64 v3, v[12:13]
	s_branch .LBB60_6
.LBB60_42:                              ;   in Loop: Header=BB60_7 Depth=1
	ds_load_b32 v18, v29
	v_add_co_u32 v31, vcc_lo, v4, v0
	v_add_co_ci_u32_e32 v32, vcc_lo, v14, v1, vcc_lo
	s_delay_alu instid0(VALU_DEP_2) | instskip(NEXT) | instid1(VALU_DEP_2)
	v_cndmask_b32_e64 v31, v31, v15, s0
	v_cndmask_b32_e64 v32, v32, v17, s0
	s_waitcnt lgkmcnt(0)
	global_store_b32 v[31:32], v18, off
	s_or_b32 exec_lo, exec_lo, s9
	s_and_saveexec_b32 s9, s34
	s_cbranch_execz .LBB60_22
.LBB60_43:                              ;   in Loop: Header=BB60_7 Depth=1
	ds_load_b32 v18, v29 offset:32
	v_add_co_u32 v31, vcc_lo, v15, 32
	v_add_co_ci_u32_e32 v32, vcc_lo, 0, v17, vcc_lo
	v_add_co_u32 v33, vcc_lo, v4, v6
	v_add_co_ci_u32_e32 v34, vcc_lo, v14, v7, vcc_lo
	s_delay_alu instid0(VALU_DEP_2) | instskip(NEXT) | instid1(VALU_DEP_2)
	v_cndmask_b32_e64 v31, v33, v31, s0
	v_cndmask_b32_e64 v32, v34, v32, s0
	s_waitcnt lgkmcnt(0)
	global_store_b32 v[31:32], v18, off
	s_or_b32 exec_lo, exec_lo, s9
	s_and_saveexec_b32 s9, s35
	s_cbranch_execz .LBB60_23
.LBB60_44:                              ;   in Loop: Header=BB60_7 Depth=1
	ds_load_b32 v18, v29 offset:64
	v_add_co_u32 v31, vcc_lo, v15, 64
	v_add_co_ci_u32_e32 v32, vcc_lo, 0, v17, vcc_lo
	v_add_co_u32 v33, vcc_lo, v4, v8
	v_add_co_ci_u32_e32 v34, vcc_lo, v14, v9, vcc_lo
	s_delay_alu instid0(VALU_DEP_2) | instskip(NEXT) | instid1(VALU_DEP_2)
	v_cndmask_b32_e64 v31, v33, v31, s0
	v_cndmask_b32_e64 v32, v34, v32, s0
	s_waitcnt lgkmcnt(0)
	global_store_b32 v[31:32], v18, off
	s_or_b32 exec_lo, exec_lo, s9
	s_and_saveexec_b32 s9, s36
	s_cbranch_execnz .LBB60_24
	s_branch .LBB60_25
.LBB60_45:
	s_endpgm
	.section	.rodata,"a",@progbits
	.p2align	6, 0x0
	.amdhsa_kernel _ZN9rocsparseL38csr2bsr_block_per_row_multipass_kernelILj256ELj32EfilEEv20rocsparse_direction_T3_S2_S2_S2_S2_21rocsparse_index_base_PKT1_PKT2_PKS2_S3_PS4_PS7_PS2_
		.amdhsa_group_segment_fixed_size 4100
		.amdhsa_private_segment_fixed_size 0
		.amdhsa_kernarg_size 112
		.amdhsa_user_sgpr_count 15
		.amdhsa_user_sgpr_dispatch_ptr 0
		.amdhsa_user_sgpr_queue_ptr 0
		.amdhsa_user_sgpr_kernarg_segment_ptr 1
		.amdhsa_user_sgpr_dispatch_id 0
		.amdhsa_user_sgpr_private_segment_size 0
		.amdhsa_wavefront_size32 1
		.amdhsa_uses_dynamic_stack 0
		.amdhsa_enable_private_segment 0
		.amdhsa_system_sgpr_workgroup_id_x 1
		.amdhsa_system_sgpr_workgroup_id_y 0
		.amdhsa_system_sgpr_workgroup_id_z 0
		.amdhsa_system_sgpr_workgroup_info 0
		.amdhsa_system_vgpr_workitem_id 0
		.amdhsa_next_free_vgpr 42
		.amdhsa_next_free_sgpr 40
		.amdhsa_reserve_vcc 1
		.amdhsa_float_round_mode_32 0
		.amdhsa_float_round_mode_16_64 0
		.amdhsa_float_denorm_mode_32 3
		.amdhsa_float_denorm_mode_16_64 3
		.amdhsa_dx10_clamp 1
		.amdhsa_ieee_mode 1
		.amdhsa_fp16_overflow 0
		.amdhsa_workgroup_processor_mode 1
		.amdhsa_memory_ordered 1
		.amdhsa_forward_progress 0
		.amdhsa_shared_vgpr_count 0
		.amdhsa_exception_fp_ieee_invalid_op 0
		.amdhsa_exception_fp_denorm_src 0
		.amdhsa_exception_fp_ieee_div_zero 0
		.amdhsa_exception_fp_ieee_overflow 0
		.amdhsa_exception_fp_ieee_underflow 0
		.amdhsa_exception_fp_ieee_inexact 0
		.amdhsa_exception_int_div_zero 0
	.end_amdhsa_kernel
	.section	.text._ZN9rocsparseL38csr2bsr_block_per_row_multipass_kernelILj256ELj32EfilEEv20rocsparse_direction_T3_S2_S2_S2_S2_21rocsparse_index_base_PKT1_PKT2_PKS2_S3_PS4_PS7_PS2_,"axG",@progbits,_ZN9rocsparseL38csr2bsr_block_per_row_multipass_kernelILj256ELj32EfilEEv20rocsparse_direction_T3_S2_S2_S2_S2_21rocsparse_index_base_PKT1_PKT2_PKS2_S3_PS4_PS7_PS2_,comdat
.Lfunc_end60:
	.size	_ZN9rocsparseL38csr2bsr_block_per_row_multipass_kernelILj256ELj32EfilEEv20rocsparse_direction_T3_S2_S2_S2_S2_21rocsparse_index_base_PKT1_PKT2_PKS2_S3_PS4_PS7_PS2_, .Lfunc_end60-_ZN9rocsparseL38csr2bsr_block_per_row_multipass_kernelILj256ELj32EfilEEv20rocsparse_direction_T3_S2_S2_S2_S2_21rocsparse_index_base_PKT1_PKT2_PKS2_S3_PS4_PS7_PS2_
                                        ; -- End function
	.section	.AMDGPU.csdata,"",@progbits
; Kernel info:
; codeLenInByte = 3352
; NumSgprs: 42
; NumVgprs: 42
; ScratchSize: 0
; MemoryBound: 0
; FloatMode: 240
; IeeeMode: 1
; LDSByteSize: 4100 bytes/workgroup (compile time only)
; SGPRBlocks: 5
; VGPRBlocks: 5
; NumSGPRsForWavesPerEU: 42
; NumVGPRsForWavesPerEU: 42
; Occupancy: 16
; WaveLimiterHint : 1
; COMPUTE_PGM_RSRC2:SCRATCH_EN: 0
; COMPUTE_PGM_RSRC2:USER_SGPR: 15
; COMPUTE_PGM_RSRC2:TRAP_HANDLER: 0
; COMPUTE_PGM_RSRC2:TGID_X_EN: 1
; COMPUTE_PGM_RSRC2:TGID_Y_EN: 0
; COMPUTE_PGM_RSRC2:TGID_Z_EN: 0
; COMPUTE_PGM_RSRC2:TIDIG_COMP_CNT: 0
	.section	.text._ZN9rocsparseL38csr2bsr_block_per_row_multipass_kernelILj256ELj64EfilEEv20rocsparse_direction_T3_S2_S2_S2_S2_21rocsparse_index_base_PKT1_PKT2_PKS2_S3_PS4_PS7_PS2_,"axG",@progbits,_ZN9rocsparseL38csr2bsr_block_per_row_multipass_kernelILj256ELj64EfilEEv20rocsparse_direction_T3_S2_S2_S2_S2_21rocsparse_index_base_PKT1_PKT2_PKS2_S3_PS4_PS7_PS2_,comdat
	.globl	_ZN9rocsparseL38csr2bsr_block_per_row_multipass_kernelILj256ELj64EfilEEv20rocsparse_direction_T3_S2_S2_S2_S2_21rocsparse_index_base_PKT1_PKT2_PKS2_S3_PS4_PS7_PS2_ ; -- Begin function _ZN9rocsparseL38csr2bsr_block_per_row_multipass_kernelILj256ELj64EfilEEv20rocsparse_direction_T3_S2_S2_S2_S2_21rocsparse_index_base_PKT1_PKT2_PKS2_S3_PS4_PS7_PS2_
	.p2align	8
	.type	_ZN9rocsparseL38csr2bsr_block_per_row_multipass_kernelILj256ELj64EfilEEv20rocsparse_direction_T3_S2_S2_S2_S2_21rocsparse_index_base_PKT1_PKT2_PKS2_S3_PS4_PS7_PS2_,@function
_ZN9rocsparseL38csr2bsr_block_per_row_multipass_kernelILj256ELj64EfilEEv20rocsparse_direction_T3_S2_S2_S2_S2_21rocsparse_index_base_PKT1_PKT2_PKS2_S3_PS4_PS7_PS2_: ; @_ZN9rocsparseL38csr2bsr_block_per_row_multipass_kernelILj256ELj64EfilEEv20rocsparse_direction_T3_S2_S2_S2_S2_21rocsparse_index_base_PKT1_PKT2_PKS2_S3_PS4_PS7_PS2_
; %bb.0:
	s_mov_b32 s2, s15
	s_clause 0x1
	s_load_b128 s[12:15], s[0:1], 0x20
	s_load_b64 s[6:7], s[0:1], 0x8
	v_mov_b32_e32 v2, 0
	v_lshrrev_b32_e32 v1, 2, v0
	s_clause 0x1
	s_load_b32 s28, s[0:1], 0x30
	s_load_b64 s[4:5], s[0:1], 0x40
	s_ashr_i32 s3, s2, 31
	v_mov_b32_e32 v40, v2
	s_waitcnt lgkmcnt(0)
	v_mad_u64_u32 v[3:4], null, s2, s14, v[1:2]
	s_mul_i32 s8, s2, s15
	s_mul_i32 s9, s3, s14
	s_delay_alu instid0(VALU_DEP_1) | instid1(SALU_CYCLE_1)
	v_add3_u32 v4, s8, s9, v4
	v_cmp_gt_i64_e64 s9, s[14:15], v[1:2]
	s_delay_alu instid0(VALU_DEP_2) | instskip(NEXT) | instid1(VALU_DEP_2)
	v_cmp_gt_i64_e32 vcc_lo, s[6:7], v[3:4]
	s_and_b32 s6, s9, vcc_lo
	s_delay_alu instid0(SALU_CYCLE_1)
	s_and_saveexec_b32 s7, s6
	s_cbranch_execnz .LBB61_3
; %bb.1:
	s_or_b32 exec_lo, exec_lo, s7
	s_and_saveexec_b32 s7, s6
	s_cbranch_execnz .LBB61_4
.LBB61_2:
	s_or_b32 exec_lo, exec_lo, s7
	v_cmp_lt_i64_e64 s4, s[12:13], 1
	s_delay_alu instid0(VALU_DEP_1)
	s_and_b32 vcc_lo, exec_lo, s4
	s_cbranch_vccz .LBB61_5
	s_branch .LBB61_69
.LBB61_3:
	v_lshlrev_b64 v[5:6], 2, v[3:4]
	s_delay_alu instid0(VALU_DEP_1) | instskip(NEXT) | instid1(VALU_DEP_2)
	v_add_co_u32 v5, vcc_lo, s4, v5
	v_add_co_ci_u32_e32 v6, vcc_lo, s5, v6, vcc_lo
	global_load_b32 v5, v[5:6], off
	s_waitcnt vmcnt(0)
	v_subrev_nc_u32_e32 v40, s28, v5
	s_or_b32 exec_lo, exec_lo, s7
	s_and_saveexec_b32 s7, s6
	s_cbranch_execz .LBB61_2
.LBB61_4:
	v_lshlrev_b64 v[2:3], 2, v[3:4]
	s_delay_alu instid0(VALU_DEP_1) | instskip(NEXT) | instid1(VALU_DEP_2)
	v_add_co_u32 v2, vcc_lo, s4, v2
	v_add_co_ci_u32_e32 v3, vcc_lo, s5, v3, vcc_lo
	global_load_b32 v2, v[2:3], off offset:4
	s_waitcnt vmcnt(0)
	v_subrev_nc_u32_e32 v2, s28, v2
	s_or_b32 exec_lo, exec_lo, s7
	v_cmp_lt_i64_e64 s4, s[12:13], 1
	s_delay_alu instid0(VALU_DEP_1)
	s_and_b32 vcc_lo, exec_lo, s4
	s_cbranch_vccnz .LBB61_69
.LBB61_5:
	s_clause 0x1
	s_load_b128 s[4:7], s[0:1], 0x58
	s_load_b64 s[16:17], s[0:1], 0x68
	v_mad_u64_u32 v[6:7], null, v1, s14, 0
	v_mbcnt_lo_u32_b32 v9, -1, 0
	s_mul_i32 s8, s14, s15
	s_mul_hi_u32 s10, s14, s14
	s_clause 0x3
	s_load_b32 s30, s[0:1], 0x50
	s_load_b64 s[18:19], s[0:1], 0x48
	s_load_b64 s[20:21], s[0:1], 0x38
	s_load_b32 s11, s[0:1], 0x0
	s_add_i32 s10, s10, s8
	v_xor_b32_e32 v11, 2, v9
	v_dual_mov_b32 v4, v7 :: v_dual_mov_b32 v3, 0
	s_lshl_b64 s[0:1], s[2:3], 2
	s_add_i32 s31, s10, s8
	s_delay_alu instid0(VALU_DEP_2) | instskip(NEXT) | instid1(VALU_DEP_2)
	v_cmp_gt_i32_e32 vcc_lo, 32, v11
	v_mad_u64_u32 v[7:8], null, v1, s15, v[4:5]
	v_xor_b32_e32 v4, 1, v9
	v_lshlrev_b32_e32 v10, 2, v1
	v_lshlrev_b32_e32 v43, 6, v1
	s_waitcnt lgkmcnt(0)
	s_add_u32 s0, s6, s0
	s_addc_u32 s1, s7, s1
	v_cndmask_b32_e32 v1, v9, v11, vcc_lo
	s_load_b32 s0, s[0:1], 0x0
	v_cmp_gt_i32_e32 vcc_lo, 32, v4
	v_lshlrev_b64 v[6:7], 2, v[6:7]
	v_and_b32_e32 v5, 3, v0
	v_lshlrev_b32_e32 v45, 2, v1
	v_lshl_or_b32 v44, v9, 2, 12
	v_cndmask_b32_e32 v4, v9, v4, vcc_lo
	v_lshlrev_b32_e32 v51, 3, v0
	v_add_co_u32 v1, vcc_lo, s4, v6
	v_mov_b32_e32 v6, v3
	s_delay_alu instid0(VALU_DEP_4)
	v_lshlrev_b32_e32 v46, 2, v4
	v_add_co_ci_u32_e32 v4, vcc_lo, s5, v7, vcc_lo
	v_or_b32_e32 v7, 4, v5
	v_cmp_gt_u32_e64 s1, 0x80, v0
	v_cmp_gt_u32_e64 s2, 64, v0
	;; [unrolled: 1-line block ×4, first 2 shown]
	v_mad_u64_u32 v[11:12], null, v7, s14, 0
	v_lshlrev_b32_e32 v8, 2, v5
	s_waitcnt lgkmcnt(0)
	s_sub_i32 s22, s0, s30
	v_add_co_u32 v47, s0, s4, v10
	v_mad_u64_u32 v[9:10], null, v5, s14, 0
	v_add_co_u32 v49, vcc_lo, v1, v8
	v_or_b32_e32 v1, v43, v5
	v_add_co_ci_u32_e64 v48, null, s5, 0, s0
	v_cmp_gt_u32_e64 s4, 16, v0
	v_cmp_gt_u32_e64 s5, 8, v0
	;; [unrolled: 1-line block ×3, first 2 shown]
	v_cmp_eq_u32_e64 s8, 0, v0
	v_lshlrev_b32_e32 v52, 2, v1
	v_dual_mov_b32 v0, v10 :: v_dual_mov_b32 v1, v12
	v_add_co_ci_u32_e32 v50, vcc_lo, 0, v4, vcc_lo
	v_cmp_gt_i64_e32 vcc_lo, s[14:15], v[5:6]
	v_or_b32_e32 v6, 12, v5
	s_delay_alu instid0(VALU_DEP_4) | instskip(SKIP_2) | instid1(VALU_DEP_4)
	v_mad_u64_u32 v[12:13], null, v5, s15, v[0:1]
	v_or_b32_e32 v0, 8, v5
	v_mad_u64_u32 v[13:14], null, v7, s15, v[1:2]
	v_mad_u64_u32 v[16:17], null, v6, s14, 0
	s_delay_alu instid0(VALU_DEP_3)
	v_mad_u64_u32 v[14:15], null, v0, s14, 0
	v_mov_b32_e32 v8, v3
	v_mov_b32_e32 v1, v3
	s_cmp_eq_u32 s11, 0
	v_mov_b32_e32 v10, v12
	s_cselect_b32 s0, -1, 0
	v_cmp_gt_i64_e64 s10, s[14:15], v[7:8]
	v_mov_b32_e32 v4, v15
	s_and_b32 s33, s9, vcc_lo
	v_mov_b32_e32 v7, v3
	v_cmp_gt_i64_e32 vcc_lo, s[14:15], v[0:1]
	v_mov_b32_e32 v1, v17
	v_mad_u64_u32 v[17:18], null, v0, s15, v[4:5]
	v_or_b32_e32 v0, 16, v5
	s_and_b32 s34, s9, s10
	v_cmp_gt_i64_e64 s10, s[14:15], v[6:7]
	v_mad_u64_u32 v[7:8], null, v6, s15, v[1:2]
	v_or_b32_e32 v6, 20, v5
	v_mov_b32_e32 v15, v17
	v_mad_u64_u32 v[18:19], null, v0, s14, 0
	v_dual_mov_b32 v12, v13 :: v_dual_mov_b32 v1, v3
	s_delay_alu instid0(VALU_DEP_4) | instskip(SKIP_2) | instid1(VALU_DEP_4)
	v_mad_u64_u32 v[20:21], null, v6, s14, 0
	s_and_b32 s35, s9, vcc_lo
	v_mov_b32_e32 v17, v7
	v_mov_b32_e32 v4, v19
	;; [unrolled: 1-line block ×3, first 2 shown]
	v_cmp_gt_i64_e32 vcc_lo, s[14:15], v[0:1]
	s_and_b32 s36, s9, s10
	v_mov_b32_e32 v1, v21
	v_mad_u64_u32 v[21:22], null, v0, s15, v[4:5]
	v_or_b32_e32 v0, 24, v5
	v_cmp_gt_i64_e64 s10, s[14:15], v[6:7]
	s_delay_alu instid0(VALU_DEP_4) | instskip(SKIP_1) | instid1(VALU_DEP_4)
	v_mad_u64_u32 v[7:8], null, v6, s15, v[1:2]
	v_or_b32_e32 v6, 28, v5
	v_mad_u64_u32 v[22:23], null, v0, s14, 0
	v_or_b32_e32 v38, 60, v5
	v_mov_b32_e32 v19, v21
	s_delay_alu instid0(VALU_DEP_4) | instskip(SKIP_1) | instid1(VALU_DEP_3)
	v_mad_u64_u32 v[24:25], null, v6, s14, 0
	s_and_b32 s37, s9, vcc_lo
	v_mad_u64_u32 v[53:54], null, v38, s14, 0
	v_mov_b32_e32 v4, v23
	v_mov_b32_e32 v1, v3
	;; [unrolled: 1-line block ×4, first 2 shown]
	s_and_b32 s38, s9, s10
	v_mov_b32_e32 v39, v3
	v_cmp_gt_i64_e32 vcc_lo, s[14:15], v[0:1]
	v_mov_b32_e32 v1, v25
	v_mad_u64_u32 v[25:26], null, v0, s15, v[4:5]
	v_or_b32_e32 v0, 32, v5
	v_cmp_gt_i64_e64 s10, s[14:15], v[6:7]
	s_and_b32 s39, s9, vcc_lo
	s_mul_i32 s29, s14, s14
	s_delay_alu instid0(VALU_DEP_2) | instskip(NEXT) | instid1(VALU_DEP_2)
	v_mad_u64_u32 v[26:27], null, v0, s14, 0
	s_and_b32 s40, s9, s10
	s_delay_alu instid0(VALU_DEP_1) | instskip(SKIP_3) | instid1(VALU_DEP_2)
	v_mov_b32_e32 v4, v27
	v_mad_u64_u32 v[7:8], null, v6, s15, v[1:2]
	v_or_b32_e32 v6, 36, v5
	v_mov_b32_e32 v1, v3
	v_mad_u64_u32 v[28:29], null, v6, s14, 0
	s_delay_alu instid0(VALU_DEP_2) | instskip(NEXT) | instid1(VALU_DEP_2)
	v_cmp_gt_i64_e32 vcc_lo, s[14:15], v[0:1]
	v_mov_b32_e32 v1, v29
	v_mad_u64_u32 v[29:30], null, v0, s15, v[4:5]
	v_or_b32_e32 v0, 40, v5
	s_and_b32 s41, s9, vcc_lo
	s_delay_alu instid0(VALU_DEP_1) | instskip(SKIP_3) | instid1(VALU_DEP_4)
	v_mad_u64_u32 v[30:31], null, v0, s14, 0
	v_mov_b32_e32 v23, v25
	v_mov_b32_e32 v25, v7
	;; [unrolled: 1-line block ×4, first 2 shown]
	s_delay_alu instid0(VALU_DEP_2)
	v_cmp_gt_i64_e64 s10, s[14:15], v[6:7]
	v_mad_u64_u32 v[7:8], null, v6, s15, v[1:2]
	v_or_b32_e32 v6, 44, v5
	v_mov_b32_e32 v1, v3
	v_mad_u64_u32 v[34:35], null, v0, s15, v[4:5]
	s_and_b32 s42, s9, s10
	s_delay_alu instid0(VALU_DEP_3) | instskip(NEXT) | instid1(VALU_DEP_3)
	v_mad_u64_u32 v[32:33], null, v6, s14, 0
	v_cmp_gt_i64_e32 vcc_lo, s[14:15], v[0:1]
	s_delay_alu instid0(VALU_DEP_3) | instskip(NEXT) | instid1(VALU_DEP_3)
	v_dual_mov_b32 v8, v3 :: v_dual_mov_b32 v31, v34
	v_mov_b32_e32 v0, v33
	s_and_b32 s43, s9, vcc_lo
	s_delay_alu instid0(VALU_DEP_1) | instskip(SKIP_1) | instid1(VALU_DEP_2)
	v_mad_u64_u32 v[35:36], null, v6, s15, v[0:1]
	v_or_b32_e32 v0, 52, v5
	v_mov_b32_e32 v33, v35
	s_delay_alu instid0(VALU_DEP_2) | instskip(SKIP_3) | instid1(VALU_DEP_1)
	v_mad_u64_u32 v[34:35], null, v0, s14, 0
	v_mov_b32_e32 v27, v29
	v_mov_b32_e32 v29, v7
	;; [unrolled: 1-line block ×3, first 2 shown]
	v_cmp_gt_i64_e64 s10, s[14:15], v[6:7]
	v_or_b32_e32 v7, 48, v5
	v_or_b32_e32 v6, 56, v5
	s_delay_alu instid0(VALU_DEP_2) | instskip(NEXT) | instid1(VALU_DEP_2)
	v_mad_u64_u32 v[36:37], null, v7, s14, 0
	v_mad_u64_u32 v[41:42], null, v6, s14, 0
	v_cmp_gt_i64_e32 vcc_lo, s[14:15], v[7:8]
	v_mov_b32_e32 v8, v35
	s_and_b32 s44, s9, s10
	v_cmp_gt_i64_e64 s10, s[14:15], v[38:39]
	v_mov_b32_e32 v4, v37
	s_and_b32 s45, s9, vcc_lo
	v_cmp_gt_i64_e32 vcc_lo, s[14:15], v[0:1]
	v_mov_b32_e32 v1, v42
	s_delay_alu instid0(VALU_DEP_3) | instskip(SKIP_2) | instid1(VALU_DEP_4)
	v_mad_u64_u32 v[55:56], null, v7, s15, v[4:5]
	v_mad_u64_u32 v[56:57], null, v0, s15, v[8:9]
	v_mov_b32_e32 v0, v54
	v_mad_u64_u32 v[57:58], null, v6, s15, v[1:2]
	v_mov_b32_e32 v7, v3
	v_mov_b32_e32 v37, v55
	s_delay_alu instid0(VALU_DEP_4)
	v_mad_u64_u32 v[58:59], null, v38, s15, v[0:1]
	v_mov_b32_e32 v35, v56
	s_and_b32 s46, s9, vcc_lo
	v_mov_b32_e32 v42, v57
	v_cmp_gt_i64_e32 vcc_lo, s[14:15], v[6:7]
	v_lshlrev_b64 v[0:1], 2, v[9:10]
	v_lshlrev_b64 v[6:7], 2, v[11:12]
	v_mov_b32_e32 v54, v58
	v_lshlrev_b64 v[8:9], 2, v[14:15]
	v_lshlrev_b64 v[10:11], 2, v[16:17]
	;; [unrolled: 1-line block ×14, first 2 shown]
	v_dual_mov_b32 v53, 1 :: v_dual_mov_b32 v38, 0
	s_and_b32 s47, s9, vcc_lo
	s_and_b32 s48, s9, s10
	s_mov_b64 s[10:11], 0
	s_branch .LBB61_7
.LBB61_6:                               ;   in Loop: Header=BB61_7 Depth=1
	s_or_b32 exec_lo, exec_lo, s10
	s_waitcnt lgkmcnt(0)
	s_barrier
	buffer_gl0_inv
	ds_load_b64 v[38:39], v3
	s_add_i32 s22, s9, s22
	s_waitcnt lgkmcnt(0)
	s_barrier
	buffer_gl0_inv
	v_readfirstlane_b32 s10, v38
	v_readfirstlane_b32 s11, v39
	s_delay_alu instid0(VALU_DEP_1) | instskip(NEXT) | instid1(SALU_CYCLE_1)
	s_bfe_i64 s[10:11], s[10:11], 0x200000
	v_cmp_lt_i64_e64 s23, s[10:11], s[12:13]
	s_delay_alu instid0(VALU_DEP_1)
	s_and_b32 vcc_lo, exec_lo, s23
	s_cbranch_vccz .LBB61_69
.LBB61_7:                               ; =>This Loop Header: Depth=1
                                        ;     Child Loop BB61_10 Depth 2
	v_dual_mov_b32 v37, s13 :: v_dual_mov_b32 v4, v2
	v_dual_mov_b32 v36, s12 :: v_dual_add_nc_u32 v39, v40, v5
	s_mov_b32 s23, exec_lo
	ds_store_b8 v3, v3 offset:16384
	ds_store_2addr_b32 v52, v3, v3 offset1:4
	ds_store_2addr_b32 v52, v3, v3 offset0:8 offset1:12
	ds_store_2addr_b32 v52, v3, v3 offset0:16 offset1:20
	;; [unrolled: 1-line block ×7, first 2 shown]
	s_waitcnt lgkmcnt(0)
	s_barrier
	buffer_gl0_inv
	v_cmpx_lt_i32_e64 v39, v2
	s_cbranch_execz .LBB61_19
; %bb.8:                                ;   in Loop: Header=BB61_7 Depth=1
	v_dual_mov_b32 v37, s13 :: v_dual_mov_b32 v36, s12
	v_mov_b32_e32 v54, v2
	s_mul_i32 s50, s10, s14
	s_mov_b32 s49, 0
	s_branch .LBB61_10
.LBB61_9:                               ;   in Loop: Header=BB61_10 Depth=2
	s_or_b32 exec_lo, exec_lo, s24
	s_delay_alu instid0(VALU_DEP_1) | instskip(SKIP_1) | instid1(VALU_DEP_1)
	v_dual_mov_b32 v54, v4 :: v_dual_add_nc_u32 v39, 4, v39
	s_xor_b32 s24, vcc_lo, -1
	v_cmp_ge_i32_e64 s9, v39, v2
	s_delay_alu instid0(VALU_DEP_1) | instskip(NEXT) | instid1(SALU_CYCLE_1)
	s_or_b32 s9, s24, s9
	s_and_b32 s9, exec_lo, s9
	s_delay_alu instid0(SALU_CYCLE_1) | instskip(NEXT) | instid1(SALU_CYCLE_1)
	s_or_b32 s49, s9, s49
	s_and_not1_b32 exec_lo, exec_lo, s49
	s_cbranch_execz .LBB61_18
.LBB61_10:                              ;   Parent Loop BB61_7 Depth=1
                                        ; =>  This Inner Loop Header: Depth=2
	v_ashrrev_i32_e32 v40, 31, v39
	s_mov_b32 s9, exec_lo
	s_delay_alu instid0(VALU_DEP_1) | instskip(NEXT) | instid1(VALU_DEP_1)
	v_lshlrev_b64 v[41:42], 3, v[39:40]
	v_add_co_u32 v41, vcc_lo, s18, v41
	s_delay_alu instid0(VALU_DEP_2) | instskip(SKIP_4) | instid1(VALU_DEP_1)
	v_add_co_ci_u32_e32 v42, vcc_lo, s19, v42, vcc_lo
	global_load_b64 v[41:42], v[41:42], off
	s_waitcnt vmcnt(0)
	v_sub_co_u32 v55, vcc_lo, v41, s28
	v_subrev_co_ci_u32_e32 v56, vcc_lo, 0, v42, vcc_lo
                                        ; implicit-def: $vgpr41_vgpr42
	v_or_b32_e32 v4, s15, v56
	s_delay_alu instid0(VALU_DEP_1)
	v_cmpx_ne_u64_e32 0, v[3:4]
	s_xor_b32 s51, exec_lo, s9
	s_cbranch_execz .LBB61_12
; %bb.11:                               ;   in Loop: Header=BB61_10 Depth=2
	s_ashr_i32 s24, s15, 31
	s_delay_alu instid0(SALU_CYCLE_1) | instskip(SKIP_2) | instid1(SALU_CYCLE_1)
	s_add_u32 s26, s14, s24
	s_mov_b32 s25, s24
	s_addc_u32 s27, s15, s24
	s_xor_b64 s[26:27], s[26:27], s[24:25]
	s_delay_alu instid0(SALU_CYCLE_1) | instskip(SKIP_3) | instid1(VALU_DEP_1)
	v_cvt_f32_u32_e32 v4, s26
	v_cvt_f32_u32_e32 v41, s27
	s_sub_u32 s9, 0, s26
	s_subb_u32 s25, 0, s27
	v_fmac_f32_e32 v4, 0x4f800000, v41
	s_delay_alu instid0(VALU_DEP_1) | instskip(SKIP_2) | instid1(VALU_DEP_1)
	v_rcp_f32_e32 v4, v4
	s_waitcnt_depctr 0xfff
	v_mul_f32_e32 v4, 0x5f7ffffc, v4
	v_mul_f32_e32 v41, 0x2f800000, v4
	s_delay_alu instid0(VALU_DEP_1) | instskip(NEXT) | instid1(VALU_DEP_1)
	v_trunc_f32_e32 v41, v41
	v_fmac_f32_e32 v4, 0xcf800000, v41
	v_cvt_u32_f32_e32 v41, v41
	s_delay_alu instid0(VALU_DEP_2) | instskip(NEXT) | instid1(VALU_DEP_2)
	v_cvt_u32_f32_e32 v4, v4
	v_mul_lo_u32 v42, s9, v41
	s_delay_alu instid0(VALU_DEP_2) | instskip(SKIP_1) | instid1(VALU_DEP_2)
	v_mul_hi_u32 v57, s9, v4
	v_mul_lo_u32 v58, s25, v4
	v_add_nc_u32_e32 v42, v57, v42
	v_mul_lo_u32 v57, s9, v4
	s_delay_alu instid0(VALU_DEP_2) | instskip(NEXT) | instid1(VALU_DEP_2)
	v_add_nc_u32_e32 v42, v42, v58
	v_mul_hi_u32 v58, v4, v57
	s_delay_alu instid0(VALU_DEP_2)
	v_mul_lo_u32 v59, v4, v42
	v_mul_hi_u32 v60, v4, v42
	v_mul_hi_u32 v61, v41, v57
	v_mul_lo_u32 v57, v41, v57
	v_mul_hi_u32 v62, v41, v42
	v_mul_lo_u32 v42, v41, v42
	v_add_co_u32 v58, vcc_lo, v58, v59
	v_add_co_ci_u32_e32 v59, vcc_lo, 0, v60, vcc_lo
	s_delay_alu instid0(VALU_DEP_2) | instskip(NEXT) | instid1(VALU_DEP_2)
	v_add_co_u32 v57, vcc_lo, v58, v57
	v_add_co_ci_u32_e32 v57, vcc_lo, v59, v61, vcc_lo
	v_add_co_ci_u32_e32 v58, vcc_lo, 0, v62, vcc_lo
	v_ashrrev_i32_e32 v61, 31, v56
	s_delay_alu instid0(VALU_DEP_3) | instskip(NEXT) | instid1(VALU_DEP_3)
	v_add_co_u32 v42, vcc_lo, v57, v42
	v_add_co_ci_u32_e32 v57, vcc_lo, 0, v58, vcc_lo
	s_delay_alu instid0(VALU_DEP_2) | instskip(NEXT) | instid1(VALU_DEP_2)
	v_add_co_u32 v4, vcc_lo, v4, v42
	v_add_co_ci_u32_e32 v41, vcc_lo, v41, v57, vcc_lo
	s_delay_alu instid0(VALU_DEP_2) | instskip(SKIP_1) | instid1(VALU_DEP_3)
	v_mul_hi_u32 v42, s9, v4
	v_mul_lo_u32 v58, s25, v4
	v_mul_lo_u32 v57, s9, v41
	s_delay_alu instid0(VALU_DEP_1) | instskip(SKIP_1) | instid1(VALU_DEP_2)
	v_add_nc_u32_e32 v42, v42, v57
	v_mul_lo_u32 v57, s9, v4
	v_add_nc_u32_e32 v42, v42, v58
	s_delay_alu instid0(VALU_DEP_2) | instskip(NEXT) | instid1(VALU_DEP_2)
	v_mul_hi_u32 v58, v4, v57
	v_mul_lo_u32 v59, v4, v42
	v_mul_hi_u32 v60, v4, v42
	v_mul_hi_u32 v62, v41, v57
	v_mul_lo_u32 v57, v41, v57
	v_mul_hi_u32 v63, v41, v42
	v_mul_lo_u32 v42, v41, v42
	v_add_co_u32 v58, vcc_lo, v58, v59
	v_add_co_ci_u32_e32 v59, vcc_lo, 0, v60, vcc_lo
	s_delay_alu instid0(VALU_DEP_2) | instskip(NEXT) | instid1(VALU_DEP_2)
	v_add_co_u32 v57, vcc_lo, v58, v57
	v_add_co_ci_u32_e32 v57, vcc_lo, v59, v62, vcc_lo
	v_add_co_ci_u32_e32 v58, vcc_lo, 0, v63, vcc_lo
	v_add_co_u32 v59, vcc_lo, v55, v61
	v_add_co_ci_u32_e32 v56, vcc_lo, v56, v61, vcc_lo
	s_delay_alu instid0(VALU_DEP_4) | instskip(NEXT) | instid1(VALU_DEP_4)
	v_add_co_u32 v42, vcc_lo, v57, v42
	v_add_co_ci_u32_e32 v57, vcc_lo, 0, v58, vcc_lo
	s_delay_alu instid0(VALU_DEP_4) | instskip(NEXT) | instid1(VALU_DEP_3)
	v_xor_b32_e32 v60, v59, v61
	v_add_co_u32 v4, vcc_lo, v4, v42
	s_delay_alu instid0(VALU_DEP_3) | instskip(SKIP_1) | instid1(VALU_DEP_3)
	v_add_co_ci_u32_e32 v62, vcc_lo, v41, v57, vcc_lo
	v_xor_b32_e32 v63, v56, v61
	v_mul_hi_u32 v64, v60, v4
	s_delay_alu instid0(VALU_DEP_3) | instskip(NEXT) | instid1(VALU_DEP_3)
	v_mad_u64_u32 v[41:42], null, v60, v62, 0
	v_mad_u64_u32 v[56:57], null, v63, v4, 0
	;; [unrolled: 1-line block ×3, first 2 shown]
	s_delay_alu instid0(VALU_DEP_3) | instskip(NEXT) | instid1(VALU_DEP_4)
	v_add_co_u32 v4, vcc_lo, v64, v41
	v_add_co_ci_u32_e32 v41, vcc_lo, 0, v42, vcc_lo
	s_delay_alu instid0(VALU_DEP_2) | instskip(NEXT) | instid1(VALU_DEP_2)
	v_add_co_u32 v4, vcc_lo, v4, v56
	v_add_co_ci_u32_e32 v4, vcc_lo, v41, v57, vcc_lo
	v_add_co_ci_u32_e32 v41, vcc_lo, 0, v59, vcc_lo
	s_delay_alu instid0(VALU_DEP_2) | instskip(NEXT) | instid1(VALU_DEP_2)
	v_add_co_u32 v4, vcc_lo, v4, v58
	v_add_co_ci_u32_e32 v56, vcc_lo, 0, v41, vcc_lo
	s_delay_alu instid0(VALU_DEP_2) | instskip(SKIP_1) | instid1(VALU_DEP_3)
	v_mul_lo_u32 v57, s27, v4
	v_mad_u64_u32 v[41:42], null, s26, v4, 0
	v_mul_lo_u32 v58, s26, v56
	s_delay_alu instid0(VALU_DEP_2) | instskip(NEXT) | instid1(VALU_DEP_2)
	v_sub_co_u32 v41, vcc_lo, v60, v41
	v_add3_u32 v42, v42, v58, v57
	s_delay_alu instid0(VALU_DEP_1) | instskip(NEXT) | instid1(VALU_DEP_1)
	v_sub_nc_u32_e32 v57, v63, v42
	v_subrev_co_ci_u32_e64 v57, s9, s27, v57, vcc_lo
	v_add_co_u32 v58, s9, v4, 2
	s_delay_alu instid0(VALU_DEP_1) | instskip(SKIP_3) | instid1(VALU_DEP_3)
	v_add_co_ci_u32_e64 v59, s9, 0, v56, s9
	v_sub_co_u32 v60, s9, v41, s26
	v_sub_co_ci_u32_e32 v42, vcc_lo, v63, v42, vcc_lo
	v_subrev_co_ci_u32_e64 v57, s9, 0, v57, s9
	v_cmp_le_u32_e32 vcc_lo, s26, v60
	s_delay_alu instid0(VALU_DEP_3) | instskip(SKIP_1) | instid1(VALU_DEP_4)
	v_cmp_eq_u32_e64 s9, s27, v42
	v_cndmask_b32_e64 v60, 0, -1, vcc_lo
	v_cmp_le_u32_e32 vcc_lo, s27, v57
	v_cndmask_b32_e64 v62, 0, -1, vcc_lo
	v_cmp_le_u32_e32 vcc_lo, s26, v41
	;; [unrolled: 2-line block ×3, first 2 shown]
	v_cndmask_b32_e64 v63, 0, -1, vcc_lo
	v_cmp_eq_u32_e32 vcc_lo, s27, v57
	s_delay_alu instid0(VALU_DEP_2) | instskip(SKIP_3) | instid1(VALU_DEP_3)
	v_cndmask_b32_e64 v41, v63, v41, s9
	v_cndmask_b32_e32 v57, v62, v60, vcc_lo
	v_add_co_u32 v60, vcc_lo, v4, 1
	v_add_co_ci_u32_e32 v62, vcc_lo, 0, v56, vcc_lo
	v_cmp_ne_u32_e32 vcc_lo, 0, v57
	s_delay_alu instid0(VALU_DEP_2) | instskip(SKIP_2) | instid1(VALU_DEP_3)
	v_dual_cndmask_b32 v42, v62, v59 :: v_dual_cndmask_b32 v57, v60, v58
	v_cmp_ne_u32_e32 vcc_lo, 0, v41
	v_xor_b32_e32 v58, s24, v61
	v_cndmask_b32_e32 v41, v56, v42, vcc_lo
	s_delay_alu instid0(VALU_DEP_4) | instskip(NEXT) | instid1(VALU_DEP_2)
	v_cndmask_b32_e32 v4, v4, v57, vcc_lo
	v_xor_b32_e32 v42, v41, v58
	s_delay_alu instid0(VALU_DEP_2) | instskip(NEXT) | instid1(VALU_DEP_1)
	v_xor_b32_e32 v4, v4, v58
	v_sub_co_u32 v41, vcc_lo, v4, v58
	s_delay_alu instid0(VALU_DEP_3)
	v_sub_co_ci_u32_e32 v42, vcc_lo, v42, v58, vcc_lo
.LBB61_12:                              ;   in Loop: Header=BB61_10 Depth=2
	s_and_not1_saveexec_b32 s9, s51
	s_cbranch_execz .LBB61_14
; %bb.13:                               ;   in Loop: Header=BB61_10 Depth=2
	v_cvt_f32_u32_e32 v4, s14
	s_sub_i32 s24, 0, s14
	s_delay_alu instid0(VALU_DEP_1) | instskip(SKIP_2) | instid1(VALU_DEP_1)
	v_rcp_iflag_f32_e32 v4, v4
	s_waitcnt_depctr 0xfff
	v_mul_f32_e32 v4, 0x4f7ffffe, v4
	v_cvt_u32_f32_e32 v4, v4
	s_delay_alu instid0(VALU_DEP_1) | instskip(NEXT) | instid1(VALU_DEP_1)
	v_mul_lo_u32 v41, s24, v4
	v_mul_hi_u32 v41, v4, v41
	s_delay_alu instid0(VALU_DEP_1) | instskip(NEXT) | instid1(VALU_DEP_1)
	v_add_nc_u32_e32 v4, v4, v41
	v_mul_hi_u32 v4, v55, v4
	s_delay_alu instid0(VALU_DEP_1) | instskip(SKIP_1) | instid1(VALU_DEP_2)
	v_mul_lo_u32 v41, v4, s14
	v_add_nc_u32_e32 v42, 1, v4
	v_sub_nc_u32_e32 v41, v55, v41
	s_delay_alu instid0(VALU_DEP_1) | instskip(SKIP_1) | instid1(VALU_DEP_2)
	v_subrev_nc_u32_e32 v56, s14, v41
	v_cmp_le_u32_e32 vcc_lo, s14, v41
	v_dual_cndmask_b32 v41, v41, v56 :: v_dual_cndmask_b32 v4, v4, v42
	s_delay_alu instid0(VALU_DEP_1) | instskip(NEXT) | instid1(VALU_DEP_2)
	v_cmp_le_u32_e32 vcc_lo, s14, v41
	v_add_nc_u32_e32 v42, 1, v4
	s_delay_alu instid0(VALU_DEP_1)
	v_dual_cndmask_b32 v41, v4, v42 :: v_dual_mov_b32 v42, v3
.LBB61_14:                              ;   in Loop: Header=BB61_10 Depth=2
	s_or_b32 exec_lo, exec_lo, s9
	s_delay_alu instid0(VALU_DEP_1)
	v_cmp_eq_u64_e32 vcc_lo, s[10:11], v[41:42]
	s_mov_b32 s24, exec_lo
	v_cmpx_ne_u64_e64 s[10:11], v[41:42]
	s_xor_b32 s24, exec_lo, s24
; %bb.15:                               ;   in Loop: Header=BB61_10 Depth=2
	v_cmp_lt_i64_e64 s9, v[41:42], v[36:37]
                                        ; implicit-def: $vgpr55
                                        ; implicit-def: $vgpr54
	s_delay_alu instid0(VALU_DEP_1)
	v_cndmask_b32_e64 v37, v37, v42, s9
	v_cndmask_b32_e64 v36, v36, v41, s9
; %bb.16:                               ;   in Loop: Header=BB61_10 Depth=2
	s_or_saveexec_b32 s24, s24
	v_mov_b32_e32 v4, v39
	s_xor_b32 exec_lo, exec_lo, s24
	s_cbranch_execz .LBB61_9
; %bb.17:                               ;   in Loop: Header=BB61_10 Depth=2
	v_lshlrev_b64 v[40:41], 2, v[39:40]
	v_subrev_nc_u32_e32 v4, s50, v55
	s_delay_alu instid0(VALU_DEP_2) | instskip(NEXT) | instid1(VALU_DEP_1)
	v_add_co_u32 v40, s9, s20, v40
	v_add_co_ci_u32_e64 v41, s9, s21, v41, s9
	global_load_b32 v40, v[40:41], off
	v_add_lshl_u32 v41, v43, v4, 2
	v_mov_b32_e32 v4, v54
	ds_store_b8 v3, v53 offset:16384
	s_waitcnt vmcnt(0)
	ds_store_b32 v41, v40
	s_branch .LBB61_9
.LBB61_18:                              ;   in Loop: Header=BB61_7 Depth=1
	s_or_b32 exec_lo, exec_lo, s49
.LBB61_19:                              ;   in Loop: Header=BB61_7 Depth=1
	s_delay_alu instid0(SALU_CYCLE_1)
	s_or_b32 exec_lo, exec_lo, s23
	ds_bpermute_b32 v39, v45, v4
	s_waitcnt lgkmcnt(0)
	s_barrier
	buffer_gl0_inv
	ds_load_u8 v41, v3 offset:16384
	s_mov_b32 s9, 0
	v_min_i32_e32 v4, v39, v4
	s_waitcnt lgkmcnt(0)
	v_cmp_eq_u32_e32 vcc_lo, 0, v41
	ds_bpermute_b32 v39, v46, v4
	s_waitcnt lgkmcnt(0)
	v_min_i32_e32 v4, v39, v4
	ds_bpermute_b32 v40, v44, v4
	s_cbranch_vccnz .LBB61_38
; %bb.20:                               ;   in Loop: Header=BB61_7 Depth=1
	s_ashr_i32 s23, s22, 31
	s_mul_hi_u32 s9, s29, s22
	s_lshl_b64 s[10:11], s[22:23], 3
	s_mul_i32 s23, s29, s23
	s_add_u32 s10, s16, s10
	s_addc_u32 s11, s17, s11
	s_add_i32 s9, s9, s23
	s_mul_i32 s23, s31, s22
	s_mul_i32 s24, s29, s22
	s_add_i32 s25, s9, s23
	v_add_nc_u32_e32 v54, s30, v38
	s_lshl_b64 s[24:25], s[24:25], 2
	s_delay_alu instid0(SALU_CYCLE_1)
	v_add_co_u32 v4, vcc_lo, v47, s24
	v_add_co_ci_u32_e32 v38, vcc_lo, s25, v48, vcc_lo
	v_add_co_u32 v39, vcc_lo, v49, s24
	v_ashrrev_i32_e32 v55, 31, v54
	v_add_co_ci_u32_e32 v41, vcc_lo, s25, v50, vcc_lo
	global_store_b64 v3, v[54:55], s[10:11]
	s_and_saveexec_b32 s9, s33
	s_cbranch_execnz .LBB61_54
; %bb.21:                               ;   in Loop: Header=BB61_7 Depth=1
	s_or_b32 exec_lo, exec_lo, s9
	s_and_saveexec_b32 s9, s34
	s_cbranch_execnz .LBB61_55
.LBB61_22:                              ;   in Loop: Header=BB61_7 Depth=1
	s_or_b32 exec_lo, exec_lo, s9
	s_and_saveexec_b32 s9, s35
	s_cbranch_execnz .LBB61_56
.LBB61_23:                              ;   in Loop: Header=BB61_7 Depth=1
	s_or_b32 exec_lo, exec_lo, s9
	s_and_saveexec_b32 s9, s36
	s_cbranch_execnz .LBB61_57
.LBB61_24:                              ;   in Loop: Header=BB61_7 Depth=1
	s_or_b32 exec_lo, exec_lo, s9
	s_and_saveexec_b32 s9, s37
	s_cbranch_execnz .LBB61_58
.LBB61_25:                              ;   in Loop: Header=BB61_7 Depth=1
	s_or_b32 exec_lo, exec_lo, s9
	s_and_saveexec_b32 s9, s38
	s_cbranch_execnz .LBB61_59
.LBB61_26:                              ;   in Loop: Header=BB61_7 Depth=1
	s_or_b32 exec_lo, exec_lo, s9
	s_and_saveexec_b32 s9, s39
	s_cbranch_execnz .LBB61_60
.LBB61_27:                              ;   in Loop: Header=BB61_7 Depth=1
	s_or_b32 exec_lo, exec_lo, s9
	s_and_saveexec_b32 s9, s40
	s_cbranch_execnz .LBB61_61
.LBB61_28:                              ;   in Loop: Header=BB61_7 Depth=1
	s_or_b32 exec_lo, exec_lo, s9
	s_and_saveexec_b32 s9, s41
	s_cbranch_execnz .LBB61_62
.LBB61_29:                              ;   in Loop: Header=BB61_7 Depth=1
	s_or_b32 exec_lo, exec_lo, s9
	s_and_saveexec_b32 s9, s42
	s_cbranch_execnz .LBB61_63
.LBB61_30:                              ;   in Loop: Header=BB61_7 Depth=1
	s_or_b32 exec_lo, exec_lo, s9
	s_and_saveexec_b32 s9, s43
	s_cbranch_execnz .LBB61_64
.LBB61_31:                              ;   in Loop: Header=BB61_7 Depth=1
	s_or_b32 exec_lo, exec_lo, s9
	s_and_saveexec_b32 s9, s44
	s_cbranch_execnz .LBB61_65
.LBB61_32:                              ;   in Loop: Header=BB61_7 Depth=1
	s_or_b32 exec_lo, exec_lo, s9
	s_and_saveexec_b32 s9, s45
	s_cbranch_execnz .LBB61_66
.LBB61_33:                              ;   in Loop: Header=BB61_7 Depth=1
	s_or_b32 exec_lo, exec_lo, s9
	s_and_saveexec_b32 s9, s46
	s_cbranch_execnz .LBB61_67
.LBB61_34:                              ;   in Loop: Header=BB61_7 Depth=1
	s_or_b32 exec_lo, exec_lo, s9
	s_and_saveexec_b32 s9, s47
	s_cbranch_execnz .LBB61_68
.LBB61_35:                              ;   in Loop: Header=BB61_7 Depth=1
	s_or_b32 exec_lo, exec_lo, s9
	s_and_saveexec_b32 s9, s48
	s_cbranch_execz .LBB61_37
.LBB61_36:                              ;   in Loop: Header=BB61_7 Depth=1
	ds_load_b32 v42, v52 offset:240
	v_add_co_u32 v54, vcc_lo, 0xf0, v39
	v_add_co_ci_u32_e32 v39, vcc_lo, 0, v41, vcc_lo
	v_add_co_u32 v4, vcc_lo, v4, v34
	v_add_co_ci_u32_e32 v38, vcc_lo, v38, v35, vcc_lo
	s_delay_alu instid0(VALU_DEP_1) | instskip(NEXT) | instid1(VALU_DEP_3)
	v_cndmask_b32_e64 v39, v38, v39, s0
	v_cndmask_b32_e64 v38, v4, v54, s0
	s_waitcnt lgkmcnt(0)
	global_store_b32 v[38:39], v42, off
.LBB61_37:                              ;   in Loop: Header=BB61_7 Depth=1
	s_or_b32 exec_lo, exec_lo, s9
	s_mov_b32 s9, 1
.LBB61_38:                              ;   in Loop: Header=BB61_7 Depth=1
	s_waitcnt lgkmcnt(0)
	s_waitcnt_vscnt null, 0x0
	s_barrier
	buffer_gl0_inv
	ds_store_b64 v51, v[36:37]
	s_waitcnt lgkmcnt(0)
	s_barrier
	buffer_gl0_inv
	s_and_saveexec_b32 s10, s1
	s_cbranch_execz .LBB61_40
; %bb.39:                               ;   in Loop: Header=BB61_7 Depth=1
	ds_load_2addr_stride64_b64 v[36:39], v51 offset1:2
	s_waitcnt lgkmcnt(0)
	v_cmp_lt_i64_e32 vcc_lo, v[38:39], v[36:37]
	v_dual_cndmask_b32 v37, v37, v39 :: v_dual_cndmask_b32 v36, v36, v38
	ds_store_b64 v51, v[36:37]
.LBB61_40:                              ;   in Loop: Header=BB61_7 Depth=1
	s_or_b32 exec_lo, exec_lo, s10
	s_waitcnt lgkmcnt(0)
	s_barrier
	buffer_gl0_inv
	s_and_saveexec_b32 s10, s2
	s_cbranch_execz .LBB61_42
; %bb.41:                               ;   in Loop: Header=BB61_7 Depth=1
	ds_load_2addr_stride64_b64 v[36:39], v51 offset1:1
	s_waitcnt lgkmcnt(0)
	v_cmp_lt_i64_e32 vcc_lo, v[38:39], v[36:37]
	v_dual_cndmask_b32 v37, v37, v39 :: v_dual_cndmask_b32 v36, v36, v38
	ds_store_b64 v51, v[36:37]
.LBB61_42:                              ;   in Loop: Header=BB61_7 Depth=1
	s_or_b32 exec_lo, exec_lo, s10
	s_waitcnt lgkmcnt(0)
	s_barrier
	buffer_gl0_inv
	s_and_saveexec_b32 s10, s3
	s_cbranch_execz .LBB61_44
; %bb.43:                               ;   in Loop: Header=BB61_7 Depth=1
	ds_load_2addr_b64 v[36:39], v51 offset1:32
	s_waitcnt lgkmcnt(0)
	v_cmp_lt_i64_e32 vcc_lo, v[38:39], v[36:37]
	v_dual_cndmask_b32 v37, v37, v39 :: v_dual_cndmask_b32 v36, v36, v38
	ds_store_b64 v51, v[36:37]
.LBB61_44:                              ;   in Loop: Header=BB61_7 Depth=1
	s_or_b32 exec_lo, exec_lo, s10
	s_waitcnt lgkmcnt(0)
	s_barrier
	buffer_gl0_inv
	s_and_saveexec_b32 s10, s4
	s_cbranch_execz .LBB61_46
; %bb.45:                               ;   in Loop: Header=BB61_7 Depth=1
	ds_load_2addr_b64 v[36:39], v51 offset1:16
	s_waitcnt lgkmcnt(0)
	v_cmp_lt_i64_e32 vcc_lo, v[38:39], v[36:37]
	v_dual_cndmask_b32 v37, v37, v39 :: v_dual_cndmask_b32 v36, v36, v38
	ds_store_b64 v51, v[36:37]
.LBB61_46:                              ;   in Loop: Header=BB61_7 Depth=1
	;; [unrolled: 13-line block ×5, first 2 shown]
	s_or_b32 exec_lo, exec_lo, s10
	s_waitcnt lgkmcnt(0)
	s_barrier
	buffer_gl0_inv
	s_and_saveexec_b32 s10, s8
	s_cbranch_execz .LBB61_6
; %bb.53:                               ;   in Loop: Header=BB61_7 Depth=1
	ds_load_b128 v[36:39], v3
	s_waitcnt lgkmcnt(0)
	v_cmp_lt_i64_e32 vcc_lo, v[38:39], v[36:37]
	v_dual_cndmask_b32 v37, v37, v39 :: v_dual_cndmask_b32 v36, v36, v38
	ds_store_b64 v3, v[36:37]
	s_branch .LBB61_6
.LBB61_54:                              ;   in Loop: Header=BB61_7 Depth=1
	ds_load_b32 v42, v52
	v_add_co_u32 v54, vcc_lo, v4, v0
	v_add_co_ci_u32_e32 v55, vcc_lo, v38, v1, vcc_lo
	s_delay_alu instid0(VALU_DEP_2) | instskip(NEXT) | instid1(VALU_DEP_2)
	v_cndmask_b32_e64 v54, v54, v39, s0
	v_cndmask_b32_e64 v55, v55, v41, s0
	s_waitcnt lgkmcnt(0)
	global_store_b32 v[54:55], v42, off
	s_or_b32 exec_lo, exec_lo, s9
	s_and_saveexec_b32 s9, s34
	s_cbranch_execz .LBB61_22
.LBB61_55:                              ;   in Loop: Header=BB61_7 Depth=1
	ds_load_b32 v42, v52 offset:16
	v_add_co_u32 v54, vcc_lo, v39, 16
	v_add_co_ci_u32_e32 v55, vcc_lo, 0, v41, vcc_lo
	v_add_co_u32 v56, vcc_lo, v4, v6
	v_add_co_ci_u32_e32 v57, vcc_lo, v38, v7, vcc_lo
	s_delay_alu instid0(VALU_DEP_2) | instskip(NEXT) | instid1(VALU_DEP_2)
	v_cndmask_b32_e64 v54, v56, v54, s0
	v_cndmask_b32_e64 v55, v57, v55, s0
	s_waitcnt lgkmcnt(0)
	global_store_b32 v[54:55], v42, off
	s_or_b32 exec_lo, exec_lo, s9
	s_and_saveexec_b32 s9, s35
	s_cbranch_execz .LBB61_23
.LBB61_56:                              ;   in Loop: Header=BB61_7 Depth=1
	ds_load_b32 v42, v52 offset:32
	v_add_co_u32 v54, vcc_lo, v39, 32
	v_add_co_ci_u32_e32 v55, vcc_lo, 0, v41, vcc_lo
	v_add_co_u32 v56, vcc_lo, v4, v8
	v_add_co_ci_u32_e32 v57, vcc_lo, v38, v9, vcc_lo
	s_delay_alu instid0(VALU_DEP_2) | instskip(NEXT) | instid1(VALU_DEP_2)
	v_cndmask_b32_e64 v54, v56, v54, s0
	v_cndmask_b32_e64 v55, v57, v55, s0
	s_waitcnt lgkmcnt(0)
	global_store_b32 v[54:55], v42, off
	s_or_b32 exec_lo, exec_lo, s9
	s_and_saveexec_b32 s9, s36
	s_cbranch_execz .LBB61_24
.LBB61_57:                              ;   in Loop: Header=BB61_7 Depth=1
	ds_load_b32 v42, v52 offset:48
	v_add_co_u32 v54, vcc_lo, v39, 48
	v_add_co_ci_u32_e32 v55, vcc_lo, 0, v41, vcc_lo
	v_add_co_u32 v56, vcc_lo, v4, v10
	v_add_co_ci_u32_e32 v57, vcc_lo, v38, v11, vcc_lo
	s_delay_alu instid0(VALU_DEP_2) | instskip(NEXT) | instid1(VALU_DEP_2)
	v_cndmask_b32_e64 v54, v56, v54, s0
	v_cndmask_b32_e64 v55, v57, v55, s0
	s_waitcnt lgkmcnt(0)
	global_store_b32 v[54:55], v42, off
	s_or_b32 exec_lo, exec_lo, s9
	s_and_saveexec_b32 s9, s37
	s_cbranch_execz .LBB61_25
.LBB61_58:                              ;   in Loop: Header=BB61_7 Depth=1
	ds_load_b32 v42, v52 offset:64
	v_add_co_u32 v54, vcc_lo, v39, 64
	v_add_co_ci_u32_e32 v55, vcc_lo, 0, v41, vcc_lo
	v_add_co_u32 v56, vcc_lo, v4, v12
	v_add_co_ci_u32_e32 v57, vcc_lo, v38, v13, vcc_lo
	s_delay_alu instid0(VALU_DEP_2) | instskip(NEXT) | instid1(VALU_DEP_2)
	v_cndmask_b32_e64 v54, v56, v54, s0
	v_cndmask_b32_e64 v55, v57, v55, s0
	s_waitcnt lgkmcnt(0)
	global_store_b32 v[54:55], v42, off
	s_or_b32 exec_lo, exec_lo, s9
	s_and_saveexec_b32 s9, s38
	s_cbranch_execz .LBB61_26
.LBB61_59:                              ;   in Loop: Header=BB61_7 Depth=1
	ds_load_b32 v42, v52 offset:80
	v_add_co_u32 v54, vcc_lo, 0x50, v39
	v_add_co_ci_u32_e32 v55, vcc_lo, 0, v41, vcc_lo
	v_add_co_u32 v56, vcc_lo, v4, v14
	v_add_co_ci_u32_e32 v57, vcc_lo, v38, v15, vcc_lo
	s_delay_alu instid0(VALU_DEP_2) | instskip(NEXT) | instid1(VALU_DEP_2)
	v_cndmask_b32_e64 v54, v56, v54, s0
	v_cndmask_b32_e64 v55, v57, v55, s0
	s_waitcnt lgkmcnt(0)
	global_store_b32 v[54:55], v42, off
	s_or_b32 exec_lo, exec_lo, s9
	s_and_saveexec_b32 s9, s39
	s_cbranch_execz .LBB61_27
.LBB61_60:                              ;   in Loop: Header=BB61_7 Depth=1
	ds_load_b32 v42, v52 offset:96
	v_add_co_u32 v54, vcc_lo, 0x60, v39
	v_add_co_ci_u32_e32 v55, vcc_lo, 0, v41, vcc_lo
	v_add_co_u32 v56, vcc_lo, v4, v16
	v_add_co_ci_u32_e32 v57, vcc_lo, v38, v17, vcc_lo
	s_delay_alu instid0(VALU_DEP_2) | instskip(NEXT) | instid1(VALU_DEP_2)
	v_cndmask_b32_e64 v54, v56, v54, s0
	v_cndmask_b32_e64 v55, v57, v55, s0
	s_waitcnt lgkmcnt(0)
	global_store_b32 v[54:55], v42, off
	s_or_b32 exec_lo, exec_lo, s9
	s_and_saveexec_b32 s9, s40
	s_cbranch_execz .LBB61_28
.LBB61_61:                              ;   in Loop: Header=BB61_7 Depth=1
	ds_load_b32 v42, v52 offset:112
	v_add_co_u32 v54, vcc_lo, 0x70, v39
	v_add_co_ci_u32_e32 v55, vcc_lo, 0, v41, vcc_lo
	v_add_co_u32 v56, vcc_lo, v4, v18
	v_add_co_ci_u32_e32 v57, vcc_lo, v38, v19, vcc_lo
	s_delay_alu instid0(VALU_DEP_2) | instskip(NEXT) | instid1(VALU_DEP_2)
	v_cndmask_b32_e64 v54, v56, v54, s0
	v_cndmask_b32_e64 v55, v57, v55, s0
	s_waitcnt lgkmcnt(0)
	global_store_b32 v[54:55], v42, off
	s_or_b32 exec_lo, exec_lo, s9
	s_and_saveexec_b32 s9, s41
	s_cbranch_execz .LBB61_29
.LBB61_62:                              ;   in Loop: Header=BB61_7 Depth=1
	ds_load_b32 v42, v52 offset:128
	v_add_co_u32 v54, vcc_lo, 0x80, v39
	v_add_co_ci_u32_e32 v55, vcc_lo, 0, v41, vcc_lo
	v_add_co_u32 v56, vcc_lo, v4, v20
	v_add_co_ci_u32_e32 v57, vcc_lo, v38, v21, vcc_lo
	s_delay_alu instid0(VALU_DEP_2) | instskip(NEXT) | instid1(VALU_DEP_2)
	v_cndmask_b32_e64 v54, v56, v54, s0
	v_cndmask_b32_e64 v55, v57, v55, s0
	s_waitcnt lgkmcnt(0)
	global_store_b32 v[54:55], v42, off
	s_or_b32 exec_lo, exec_lo, s9
	s_and_saveexec_b32 s9, s42
	s_cbranch_execz .LBB61_30
.LBB61_63:                              ;   in Loop: Header=BB61_7 Depth=1
	ds_load_b32 v42, v52 offset:144
	v_add_co_u32 v54, vcc_lo, 0x90, v39
	v_add_co_ci_u32_e32 v55, vcc_lo, 0, v41, vcc_lo
	v_add_co_u32 v56, vcc_lo, v4, v22
	v_add_co_ci_u32_e32 v57, vcc_lo, v38, v23, vcc_lo
	s_delay_alu instid0(VALU_DEP_2) | instskip(NEXT) | instid1(VALU_DEP_2)
	v_cndmask_b32_e64 v54, v56, v54, s0
	v_cndmask_b32_e64 v55, v57, v55, s0
	s_waitcnt lgkmcnt(0)
	global_store_b32 v[54:55], v42, off
	s_or_b32 exec_lo, exec_lo, s9
	s_and_saveexec_b32 s9, s43
	s_cbranch_execz .LBB61_31
.LBB61_64:                              ;   in Loop: Header=BB61_7 Depth=1
	ds_load_b32 v42, v52 offset:160
	v_add_co_u32 v54, vcc_lo, 0xa0, v39
	v_add_co_ci_u32_e32 v55, vcc_lo, 0, v41, vcc_lo
	v_add_co_u32 v56, vcc_lo, v4, v24
	v_add_co_ci_u32_e32 v57, vcc_lo, v38, v25, vcc_lo
	s_delay_alu instid0(VALU_DEP_2) | instskip(NEXT) | instid1(VALU_DEP_2)
	v_cndmask_b32_e64 v54, v56, v54, s0
	v_cndmask_b32_e64 v55, v57, v55, s0
	s_waitcnt lgkmcnt(0)
	global_store_b32 v[54:55], v42, off
	s_or_b32 exec_lo, exec_lo, s9
	s_and_saveexec_b32 s9, s44
	s_cbranch_execz .LBB61_32
.LBB61_65:                              ;   in Loop: Header=BB61_7 Depth=1
	ds_load_b32 v42, v52 offset:176
	v_add_co_u32 v54, vcc_lo, 0xb0, v39
	v_add_co_ci_u32_e32 v55, vcc_lo, 0, v41, vcc_lo
	v_add_co_u32 v56, vcc_lo, v4, v26
	v_add_co_ci_u32_e32 v57, vcc_lo, v38, v27, vcc_lo
	s_delay_alu instid0(VALU_DEP_2) | instskip(NEXT) | instid1(VALU_DEP_2)
	v_cndmask_b32_e64 v54, v56, v54, s0
	v_cndmask_b32_e64 v55, v57, v55, s0
	s_waitcnt lgkmcnt(0)
	global_store_b32 v[54:55], v42, off
	s_or_b32 exec_lo, exec_lo, s9
	s_and_saveexec_b32 s9, s45
	s_cbranch_execz .LBB61_33
.LBB61_66:                              ;   in Loop: Header=BB61_7 Depth=1
	ds_load_b32 v42, v52 offset:192
	v_add_co_u32 v54, vcc_lo, 0xc0, v39
	v_add_co_ci_u32_e32 v55, vcc_lo, 0, v41, vcc_lo
	v_add_co_u32 v56, vcc_lo, v4, v28
	v_add_co_ci_u32_e32 v57, vcc_lo, v38, v29, vcc_lo
	s_delay_alu instid0(VALU_DEP_2) | instskip(NEXT) | instid1(VALU_DEP_2)
	v_cndmask_b32_e64 v54, v56, v54, s0
	v_cndmask_b32_e64 v55, v57, v55, s0
	s_waitcnt lgkmcnt(0)
	global_store_b32 v[54:55], v42, off
	s_or_b32 exec_lo, exec_lo, s9
	s_and_saveexec_b32 s9, s46
	s_cbranch_execz .LBB61_34
.LBB61_67:                              ;   in Loop: Header=BB61_7 Depth=1
	ds_load_b32 v42, v52 offset:208
	v_add_co_u32 v54, vcc_lo, 0xd0, v39
	v_add_co_ci_u32_e32 v55, vcc_lo, 0, v41, vcc_lo
	v_add_co_u32 v56, vcc_lo, v4, v30
	v_add_co_ci_u32_e32 v57, vcc_lo, v38, v31, vcc_lo
	s_delay_alu instid0(VALU_DEP_2) | instskip(NEXT) | instid1(VALU_DEP_2)
	v_cndmask_b32_e64 v54, v56, v54, s0
	v_cndmask_b32_e64 v55, v57, v55, s0
	s_waitcnt lgkmcnt(0)
	global_store_b32 v[54:55], v42, off
	s_or_b32 exec_lo, exec_lo, s9
	s_and_saveexec_b32 s9, s47
	s_cbranch_execz .LBB61_35
.LBB61_68:                              ;   in Loop: Header=BB61_7 Depth=1
	ds_load_b32 v42, v52 offset:224
	v_add_co_u32 v54, vcc_lo, 0xe0, v39
	v_add_co_ci_u32_e32 v55, vcc_lo, 0, v41, vcc_lo
	v_add_co_u32 v56, vcc_lo, v4, v32
	v_add_co_ci_u32_e32 v57, vcc_lo, v38, v33, vcc_lo
	s_delay_alu instid0(VALU_DEP_2) | instskip(NEXT) | instid1(VALU_DEP_2)
	v_cndmask_b32_e64 v54, v56, v54, s0
	v_cndmask_b32_e64 v55, v57, v55, s0
	s_waitcnt lgkmcnt(0)
	global_store_b32 v[54:55], v42, off
	s_or_b32 exec_lo, exec_lo, s9
	s_and_saveexec_b32 s9, s48
	s_cbranch_execnz .LBB61_36
	s_branch .LBB61_37
.LBB61_69:
	s_endpgm
	.section	.rodata,"a",@progbits
	.p2align	6, 0x0
	.amdhsa_kernel _ZN9rocsparseL38csr2bsr_block_per_row_multipass_kernelILj256ELj64EfilEEv20rocsparse_direction_T3_S2_S2_S2_S2_21rocsparse_index_base_PKT1_PKT2_PKS2_S3_PS4_PS7_PS2_
		.amdhsa_group_segment_fixed_size 16388
		.amdhsa_private_segment_fixed_size 0
		.amdhsa_kernarg_size 112
		.amdhsa_user_sgpr_count 15
		.amdhsa_user_sgpr_dispatch_ptr 0
		.amdhsa_user_sgpr_queue_ptr 0
		.amdhsa_user_sgpr_kernarg_segment_ptr 1
		.amdhsa_user_sgpr_dispatch_id 0
		.amdhsa_user_sgpr_private_segment_size 0
		.amdhsa_wavefront_size32 1
		.amdhsa_uses_dynamic_stack 0
		.amdhsa_enable_private_segment 0
		.amdhsa_system_sgpr_workgroup_id_x 1
		.amdhsa_system_sgpr_workgroup_id_y 0
		.amdhsa_system_sgpr_workgroup_id_z 0
		.amdhsa_system_sgpr_workgroup_info 0
		.amdhsa_system_vgpr_workitem_id 0
		.amdhsa_next_free_vgpr 65
		.amdhsa_next_free_sgpr 52
		.amdhsa_reserve_vcc 1
		.amdhsa_float_round_mode_32 0
		.amdhsa_float_round_mode_16_64 0
		.amdhsa_float_denorm_mode_32 3
		.amdhsa_float_denorm_mode_16_64 3
		.amdhsa_dx10_clamp 1
		.amdhsa_ieee_mode 1
		.amdhsa_fp16_overflow 0
		.amdhsa_workgroup_processor_mode 1
		.amdhsa_memory_ordered 1
		.amdhsa_forward_progress 0
		.amdhsa_shared_vgpr_count 0
		.amdhsa_exception_fp_ieee_invalid_op 0
		.amdhsa_exception_fp_denorm_src 0
		.amdhsa_exception_fp_ieee_div_zero 0
		.amdhsa_exception_fp_ieee_overflow 0
		.amdhsa_exception_fp_ieee_underflow 0
		.amdhsa_exception_fp_ieee_inexact 0
		.amdhsa_exception_int_div_zero 0
	.end_amdhsa_kernel
	.section	.text._ZN9rocsparseL38csr2bsr_block_per_row_multipass_kernelILj256ELj64EfilEEv20rocsparse_direction_T3_S2_S2_S2_S2_21rocsparse_index_base_PKT1_PKT2_PKS2_S3_PS4_PS7_PS2_,"axG",@progbits,_ZN9rocsparseL38csr2bsr_block_per_row_multipass_kernelILj256ELj64EfilEEv20rocsparse_direction_T3_S2_S2_S2_S2_21rocsparse_index_base_PKT1_PKT2_PKS2_S3_PS4_PS7_PS2_,comdat
.Lfunc_end61:
	.size	_ZN9rocsparseL38csr2bsr_block_per_row_multipass_kernelILj256ELj64EfilEEv20rocsparse_direction_T3_S2_S2_S2_S2_21rocsparse_index_base_PKT1_PKT2_PKS2_S3_PS4_PS7_PS2_, .Lfunc_end61-_ZN9rocsparseL38csr2bsr_block_per_row_multipass_kernelILj256ELj64EfilEEv20rocsparse_direction_T3_S2_S2_S2_S2_21rocsparse_index_base_PKT1_PKT2_PKS2_S3_PS4_PS7_PS2_
                                        ; -- End function
	.section	.AMDGPU.csdata,"",@progbits
; Kernel info:
; codeLenInByte = 5100
; NumSgprs: 54
; NumVgprs: 65
; ScratchSize: 0
; MemoryBound: 0
; FloatMode: 240
; IeeeMode: 1
; LDSByteSize: 16388 bytes/workgroup (compile time only)
; SGPRBlocks: 6
; VGPRBlocks: 8
; NumSGPRsForWavesPerEU: 54
; NumVGPRsForWavesPerEU: 65
; Occupancy: 14
; WaveLimiterHint : 1
; COMPUTE_PGM_RSRC2:SCRATCH_EN: 0
; COMPUTE_PGM_RSRC2:USER_SGPR: 15
; COMPUTE_PGM_RSRC2:TRAP_HANDLER: 0
; COMPUTE_PGM_RSRC2:TGID_X_EN: 1
; COMPUTE_PGM_RSRC2:TGID_Y_EN: 0
; COMPUTE_PGM_RSRC2:TGID_Z_EN: 0
; COMPUTE_PGM_RSRC2:TIDIG_COMP_CNT: 0
	.section	.text._ZN9rocsparseL21csr2bsr_65_inf_kernelILj32EfilEEv20rocsparse_direction_T2_S2_S2_S2_S2_S2_21rocsparse_index_base_PKT0_PKT1_PKS2_S3_PS4_PS7_PS2_SD_SE_SC_,"axG",@progbits,_ZN9rocsparseL21csr2bsr_65_inf_kernelILj32EfilEEv20rocsparse_direction_T2_S2_S2_S2_S2_S2_21rocsparse_index_base_PKT0_PKT1_PKS2_S3_PS4_PS7_PS2_SD_SE_SC_,comdat
	.globl	_ZN9rocsparseL21csr2bsr_65_inf_kernelILj32EfilEEv20rocsparse_direction_T2_S2_S2_S2_S2_S2_21rocsparse_index_base_PKT0_PKT1_PKS2_S3_PS4_PS7_PS2_SD_SE_SC_ ; -- Begin function _ZN9rocsparseL21csr2bsr_65_inf_kernelILj32EfilEEv20rocsparse_direction_T2_S2_S2_S2_S2_S2_21rocsparse_index_base_PKT0_PKT1_PKS2_S3_PS4_PS7_PS2_SD_SE_SC_
	.p2align	8
	.type	_ZN9rocsparseL21csr2bsr_65_inf_kernelILj32EfilEEv20rocsparse_direction_T2_S2_S2_S2_S2_S2_21rocsparse_index_base_PKT0_PKT1_PKS2_S3_PS4_PS7_PS2_SD_SE_SC_,@function
_ZN9rocsparseL21csr2bsr_65_inf_kernelILj32EfilEEv20rocsparse_direction_T2_S2_S2_S2_S2_S2_21rocsparse_index_base_PKT0_PKT1_PKS2_S3_PS4_PS7_PS2_SD_SE_SC_: ; @_ZN9rocsparseL21csr2bsr_65_inf_kernelILj32EfilEEv20rocsparse_direction_T2_S2_S2_S2_S2_S2_21rocsparse_index_base_PKT0_PKT1_PKS2_S3_PS4_PS7_PS2_SD_SE_SC_
; %bb.0:
	s_clause 0x3
	s_load_b64 s[8:9], s[0:1], 0x18
	s_load_b128 s[4:7], s[0:1], 0x8
	s_load_b64 s[2:3], s[0:1], 0x78
	s_load_b32 s24, s[0:1], 0x58
	s_mov_b32 s12, s15
	s_mov_b32 s13, 0
	s_mov_b64 s[14:15], 0
	s_waitcnt lgkmcnt(0)
	v_cmp_ge_i64_e64 s8, s[12:13], s[8:9]
	s_delay_alu instid0(VALU_DEP_1)
	s_and_b32 vcc_lo, exec_lo, s8
	s_cbranch_vccnz .LBB62_2
; %bb.1:
	s_load_b64 s[8:9], s[0:1], 0x68
	s_lshl_b64 s[10:11], s[12:13], 2
	s_waitcnt lgkmcnt(0)
	s_add_u32 s8, s8, s10
	s_addc_u32 s9, s9, s11
	s_load_b32 s8, s[8:9], 0x0
	s_waitcnt lgkmcnt(0)
	s_sub_i32 s14, s8, s24
	s_delay_alu instid0(SALU_CYCLE_1)
	s_ashr_i32 s15, s14, 31
.LBB62_2:
	s_clause 0x1
	s_load_b128 s[8:11], s[0:1], 0x28
	s_load_b32 s25, s[0:1], 0x38
	s_waitcnt lgkmcnt(0)
	v_mad_u64_u32 v[6:7], null, v0, s10, 0
	s_mul_i32 s13, s12, s11
	s_mul_hi_u32 s17, s12, s10
	s_mul_i32 s16, s12, s10
	s_add_i32 s17, s17, s13
	v_cmp_gt_i64_e64 s26, s[10:11], 0
	s_lshl_b64 s[16:17], s[16:17], 8
	s_delay_alu instid0(VALU_DEP_2)
	v_mov_b32_e32 v1, v7
	s_add_u32 s13, s2, s16
	s_addc_u32 s16, s3, s17
	s_lshl_b64 s[2:3], s[10:11], 7
	v_cmp_lt_i64_e64 s17, s[10:11], 1
	v_mad_u64_u32 v[2:3], null, v0, s11, v[1:2]
	s_add_u32 s2, s13, s2
	s_addc_u32 s3, s16, s3
	v_mov_b32_e32 v1, 0
	s_delay_alu instid0(VALU_DEP_2) | instskip(NEXT) | instid1(VALU_DEP_1)
	v_mov_b32_e32 v7, v2
	v_lshlrev_b64 v[8:9], 2, v[6:7]
	s_delay_alu instid0(VALU_DEP_1) | instskip(NEXT) | instid1(VALU_DEP_2)
	v_add_co_u32 v2, vcc_lo, s13, v8
	v_add_co_ci_u32_e32 v3, vcc_lo, s16, v9, vcc_lo
	v_add_co_u32 v4, vcc_lo, s2, v8
	v_add_co_ci_u32_e32 v5, vcc_lo, s3, v9, vcc_lo
	s_and_b32 vcc_lo, exec_lo, s17
	s_cbranch_vccnz .LBB62_7
; %bb.3:
	s_load_b64 s[16:17], s[0:1], 0x48
	s_mul_i32 s2, s12, s9
	s_mul_hi_u32 s13, s12, s8
	s_mul_i32 s3, s12, s8
	s_add_i32 s13, s13, s2
	v_add_co_u32 v10, s2, s3, v0
	s_delay_alu instid0(VALU_DEP_1) | instskip(SKIP_1) | instid1(VALU_DEP_2)
	v_add_co_ci_u32_e64 v11, null, s13, 0, s2
	v_dual_mov_b32 v17, v1 :: v_dual_mov_b32 v16, v0
	v_lshlrev_b64 v[12:13], 2, v[10:11]
	v_dual_mov_b32 v11, v5 :: v_dual_mov_b32 v10, v4
	s_waitcnt lgkmcnt(0)
	s_delay_alu instid0(VALU_DEP_2) | instskip(NEXT) | instid1(VALU_DEP_3)
	v_add_co_u32 v14, vcc_lo, v12, s16
	v_add_co_ci_u32_e32 v15, vcc_lo, s17, v13, vcc_lo
	v_dual_mov_b32 v13, v3 :: v_dual_mov_b32 v12, v2
	s_delay_alu instid0(VALU_DEP_3) | instskip(NEXT) | instid1(VALU_DEP_3)
	v_add_co_u32 v14, vcc_lo, v14, 4
	v_add_co_ci_u32_e32 v15, vcc_lo, 0, v15, vcc_lo
	s_mov_b64 s[16:17], s[10:11]
	s_set_inst_prefetch_distance 0x1
	s_branch .LBB62_5
	.p2align	6
.LBB62_4:                               ;   in Loop: Header=BB62_5 Depth=1
	s_or_b32 exec_lo, exec_lo, s2
	v_add_co_u32 v16, vcc_lo, v16, 32
	v_add_co_ci_u32_e32 v17, vcc_lo, 0, v17, vcc_lo
	v_add_co_u32 v12, vcc_lo, v12, 4
	v_add_co_ci_u32_e32 v13, vcc_lo, 0, v13, vcc_lo
	;; [unrolled: 2-line block ×3, first 2 shown]
	v_add_co_u32 v10, vcc_lo, v10, 4
	s_add_u32 s16, s16, -1
	v_add_co_ci_u32_e32 v11, vcc_lo, 0, v11, vcc_lo
	s_addc_u32 s17, s17, -1
	s_delay_alu instid0(SALU_CYCLE_1)
	s_cmp_eq_u64 s[16:17], 0
	s_cbranch_scc1 .LBB62_7
.LBB62_5:                               ; =>This Inner Loop Header: Depth=1
	v_add_co_u32 v18, vcc_lo, s3, v16
	v_add_co_ci_u32_e32 v19, vcc_lo, s13, v17, vcc_lo
	v_cmp_gt_i64_e64 s2, s[8:9], v[16:17]
	global_store_b32 v[12:13], v1, off
	global_store_b32 v[10:11], v1, off
	v_cmp_gt_i64_e32 vcc_lo, s[4:5], v[18:19]
	s_and_b32 s18, vcc_lo, s2
	s_delay_alu instid0(SALU_CYCLE_1)
	s_and_saveexec_b32 s2, s18
	s_cbranch_execz .LBB62_4
; %bb.6:                                ;   in Loop: Header=BB62_5 Depth=1
	global_load_b64 v[18:19], v[14:15], off offset:-4
	s_waitcnt vmcnt(0)
	v_subrev_nc_u32_e32 v18, s25, v18
	v_subrev_nc_u32_e32 v19, s25, v19
	global_store_b32 v[12:13], v18, off
	global_store_b32 v[10:11], v19, off
	s_branch .LBB62_4
.LBB62_7:
	s_set_inst_prefetch_distance 0x2
	v_cmp_lt_i64_e64 s2, s[6:7], 1
	s_delay_alu instid0(VALU_DEP_1)
	s_and_b32 vcc_lo, exec_lo, s2
	s_cbranch_vccnz .LBB62_52
; %bb.8:
	s_clause 0x1
	s_load_b128 s[16:19], s[0:1], 0x80
	s_load_b64 s[20:21], s[0:1], 0x70
	s_lshl_b64 s[2:3], s[10:11], 5
	v_lshlrev_b64 v[6:7], 3, v[6:7]
	s_mul_i32 s3, s3, s12
	s_mul_hi_u32 s4, s2, s12
	s_mul_i32 s2, s2, s12
	s_add_i32 s3, s4, s3
	v_mbcnt_lo_u32_b32 v10, -1, 0
	s_lshl_b64 s[4:5], s[2:3], 3
	v_mov_b32_e32 v18, 0
	s_mov_b32 s27, 0
	v_mov_b32_e32 v41, 0x7c
	v_xor_b32_e32 v11, 16, v10
	v_xor_b32_e32 v12, 8, v10
	;; [unrolled: 1-line block ×5, first 2 shown]
	v_mov_b32_e32 v19, 0
	v_mov_b32_e32 v16, v18
	s_waitcnt lgkmcnt(0)
	s_add_u32 s4, s16, s4
	s_addc_u32 s5, s17, s5
	s_lshl_b64 s[2:3], s[2:3], 2
	v_add_co_u32 v6, vcc_lo, s4, v6
	s_add_u32 s2, s18, s2
	v_add_co_ci_u32_e32 v7, vcc_lo, s5, v7, vcc_lo
	s_addc_u32 s3, s19, s3
	v_add_co_u32 v8, vcc_lo, s2, v8
	v_add_co_ci_u32_e32 v9, vcc_lo, s3, v9, vcc_lo
	v_cmp_gt_i32_e32 vcc_lo, 32, v11
	s_clause 0x3
	s_load_b64 s[2:3], s[0:1], 0x60
	s_load_b64 s[4:5], s[0:1], 0x50
	s_load_b64 s[12:13], s[0:1], 0x40
	s_load_b32 s1, s[0:1], 0x0
	s_lshl_b64 s[16:17], s[14:15], 3
	v_cmp_eq_u32_e64 s0, 31, v0
	s_add_u32 s28, s20, s16
	v_cndmask_b32_e32 v11, v10, v11, vcc_lo
	v_cmp_gt_i32_e32 vcc_lo, 32, v12
	s_addc_u32 s29, s21, s17
	v_dual_mov_b32 v17, v19 :: v_dual_cndmask_b32 v12, v10, v12
	v_cmp_gt_i32_e32 vcc_lo, 32, v13
	v_cndmask_b32_e32 v13, v10, v13, vcc_lo
	v_cmp_gt_i32_e32 vcc_lo, 32, v14
	s_waitcnt lgkmcnt(0)
	s_cmp_lg_u32 s1, 0
	s_delay_alu instid0(VALU_DEP_2)
	v_lshlrev_b32_e32 v38, 2, v13
	v_lshlrev_b32_e32 v36, 2, v11
	v_cndmask_b32_e32 v14, v10, v14, vcc_lo
	v_cmp_gt_i32_e32 vcc_lo, 32, v15
	s_cselect_b32 s30, -1, 0
	s_add_u32 s31, s14, -1
	s_addc_u32 s33, s15, -1
	v_lshlrev_b32_e32 v39, 2, v14
	v_dual_cndmask_b32 v10, v10, v15 :: v_dual_lshlrev_b32 v37, 2, v12
	v_mov_b32_e32 v14, v18
	v_dual_mov_b32 v12, 0 :: v_dual_mov_b32 v15, v19
	s_lshl_b64 s[14:15], s[8:9], 2
	s_delay_alu instid0(VALU_DEP_3) | instskip(SKIP_3) | instid1(VALU_DEP_1)
	v_lshlrev_b32_e32 v40, 2, v10
	v_lshlrev_b32_e32 v10, 2, v0
	s_lshl_b64 s[16:17], s[8:9], 7
	s_ashr_i32 s18, s9, 31
	v_add_co_u32 v10, s1, s2, v10
	s_delay_alu instid0(VALU_DEP_1)
	v_add_co_ci_u32_e64 v11, null, s3, 0, s1
	s_branch .LBB62_10
.LBB62_9:                               ;   in Loop: Header=BB62_10 Depth=1
	s_waitcnt lgkmcnt(3)
	v_add_co_u32 v18, vcc_lo, v34, 1
	s_waitcnt lgkmcnt(2)
	v_add_co_ci_u32_e32 v19, vcc_lo, 0, v35, vcc_lo
	s_delay_alu instid0(VALU_DEP_1) | instskip(SKIP_1) | instid1(SALU_CYCLE_1)
	v_cmp_le_i64_e32 vcc_lo, s[6:7], v[18:19]
	s_or_b32 s27, vcc_lo, s27
	s_and_not1_b32 exec_lo, exec_lo, s27
	s_cbranch_execz .LBB62_52
.LBB62_10:                              ; =>This Loop Header: Depth=1
                                        ;     Child Loop BB62_14 Depth 2
                                        ;       Child Loop BB62_17 Depth 3
                                        ;     Child Loop BB62_33 Depth 2
	v_dual_mov_b32 v21, s7 :: v_dual_mov_b32 v20, s6
	s_and_not1_b32 vcc_lo, exec_lo, s26
	s_cbranch_vccnz .LBB62_23
; %bb.11:                               ;   in Loop: Header=BB62_10 Depth=1
	v_dual_mov_b32 v21, s7 :: v_dual_mov_b32 v20, s6
	s_mov_b64 s[20:21], 0
	s_branch .LBB62_14
.LBB62_12:                              ;   in Loop: Header=BB62_14 Depth=2
	s_or_b32 exec_lo, exec_lo, s1
.LBB62_13:                              ;   in Loop: Header=BB62_14 Depth=2
	s_delay_alu instid0(SALU_CYCLE_1) | instskip(SKIP_2) | instid1(SALU_CYCLE_1)
	s_or_b32 exec_lo, exec_lo, s19
	s_add_u32 s20, s20, 1
	s_addc_u32 s21, s21, 0
	s_cmp_eq_u64 s[20:21], s[10:11]
	s_cbranch_scc1 .LBB62_23
.LBB62_14:                              ;   Parent Loop BB62_10 Depth=1
                                        ; =>  This Loop Header: Depth=2
                                        ;       Child Loop BB62_17 Depth 3
	s_lshl_b64 s[22:23], s[20:21], 2
	v_dual_mov_b32 v29, s7 :: v_dual_mov_b32 v28, s6
	v_add_co_u32 v22, vcc_lo, v2, s22
	v_add_co_ci_u32_e32 v23, vcc_lo, s23, v3, vcc_lo
	v_add_co_u32 v24, vcc_lo, v4, s22
	v_add_co_ci_u32_e32 v25, vcc_lo, s23, v5, vcc_lo
	s_clause 0x1
	global_load_b32 v32, v[22:23], off
	global_load_b32 v13, v[24:25], off
	v_add_co_u32 v24, vcc_lo, v8, s22
	v_add_co_ci_u32_e32 v25, vcc_lo, s23, v9, vcc_lo
	s_lshl_b64 s[22:23], s[20:21], 3
	s_mov_b32 s19, exec_lo
	v_add_co_u32 v26, vcc_lo, v6, s22
	v_add_co_ci_u32_e32 v27, vcc_lo, s23, v7, vcc_lo
	global_store_b32 v[24:25], v12, off
	global_store_b64 v[26:27], v[28:29], off
	s_waitcnt vmcnt(0)
	v_cmpx_lt_i32_e64 v32, v13
	s_cbranch_execz .LBB62_13
; %bb.15:                               ;   in Loop: Header=BB62_14 Depth=2
	v_ashrrev_i32_e32 v33, 31, v32
	s_mov_b32 s22, 0
                                        ; implicit-def: $sgpr23
                                        ; implicit-def: $sgpr35
                                        ; implicit-def: $sgpr34
	s_delay_alu instid0(VALU_DEP_1) | instskip(NEXT) | instid1(VALU_DEP_1)
	v_lshlrev_b64 v[28:29], 3, v[32:33]
	v_add_co_u32 v34, vcc_lo, s4, v28
	s_delay_alu instid0(VALU_DEP_2)
	v_add_co_ci_u32_e32 v35, vcc_lo, s5, v29, vcc_lo
	s_set_inst_prefetch_distance 0x1
	s_branch .LBB62_17
	.p2align	6
.LBB62_16:                              ;   in Loop: Header=BB62_17 Depth=3
	s_or_b32 exec_lo, exec_lo, s36
	s_delay_alu instid0(SALU_CYCLE_1) | instskip(NEXT) | instid1(SALU_CYCLE_1)
	s_and_b32 s1, exec_lo, s35
	s_or_b32 s22, s1, s22
	s_and_not1_b32 s1, s23, exec_lo
	s_and_b32 s23, s34, exec_lo
	s_delay_alu instid0(SALU_CYCLE_1)
	s_or_b32 s23, s1, s23
	s_and_not1_b32 exec_lo, exec_lo, s22
	s_cbranch_execz .LBB62_19
.LBB62_17:                              ;   Parent Loop BB62_10 Depth=1
                                        ;     Parent Loop BB62_14 Depth=2
                                        ; =>    This Inner Loop Header: Depth=3
	global_load_b64 v[28:29], v[34:35], off
	s_or_b32 s34, s34, exec_lo
	s_or_b32 s35, s35, exec_lo
	s_mov_b32 s36, exec_lo
	s_waitcnt vmcnt(0)
	v_sub_co_u32 v30, vcc_lo, v28, s25
	v_subrev_co_ci_u32_e32 v31, vcc_lo, 0, v29, vcc_lo
	v_dual_mov_b32 v28, v32 :: v_dual_mov_b32 v29, v33
                                        ; implicit-def: $vgpr32_vgpr33
	s_delay_alu instid0(VALU_DEP_2)
	v_cmpx_lt_i64_e64 v[30:31], v[18:19]
	s_cbranch_execz .LBB62_16
; %bb.18:                               ;   in Loop: Header=BB62_17 Depth=3
	s_delay_alu instid0(VALU_DEP_2) | instskip(NEXT) | instid1(VALU_DEP_3)
	v_add_co_u32 v32, vcc_lo, v28, 1
	v_add_co_ci_u32_e32 v33, vcc_lo, 0, v29, vcc_lo
	v_add_co_u32 v34, s1, v34, 8
	s_delay_alu instid0(VALU_DEP_3) | instskip(SKIP_4) | instid1(SALU_CYCLE_1)
	v_cmp_ge_i32_e32 vcc_lo, v32, v13
	v_add_co_ci_u32_e64 v35, s1, 0, v35, s1
	s_and_not1_b32 s1, s35, exec_lo
	s_and_not1_b32 s34, s34, exec_lo
	s_and_b32 s35, vcc_lo, exec_lo
	s_or_b32 s35, s1, s35
	s_branch .LBB62_16
.LBB62_19:                              ;   in Loop: Header=BB62_14 Depth=2
	s_set_inst_prefetch_distance 0x2
	s_or_b32 exec_lo, exec_lo, s22
	v_lshlrev_b64 v[32:33], 2, v[28:29]
	s_xor_b32 s1, s23, -1
	s_delay_alu instid0(SALU_CYCLE_1) | instskip(NEXT) | instid1(SALU_CYCLE_1)
	s_and_saveexec_b32 s22, s1
	s_xor_b32 s1, exec_lo, s22
	s_cbranch_execz .LBB62_21
; %bb.20:                               ;   in Loop: Header=BB62_14 Depth=2
	s_delay_alu instid0(VALU_DEP_1)
	v_add_co_u32 v22, vcc_lo, s12, v32
	v_add_co_ci_u32_e32 v23, vcc_lo, s13, v33, vcc_lo
                                        ; implicit-def: $vgpr32_vgpr33
	global_load_b32 v13, v[22:23], off
                                        ; implicit-def: $vgpr22_vgpr23
	s_waitcnt vmcnt(0)
	global_store_b32 v[24:25], v13, off
	global_store_b64 v[26:27], v[30:31], off
                                        ; implicit-def: $vgpr24_vgpr25
                                        ; implicit-def: $vgpr26_vgpr27
.LBB62_21:                              ;   in Loop: Header=BB62_14 Depth=2
	s_and_not1_saveexec_b32 s1, s1
	s_cbranch_execz .LBB62_12
; %bb.22:                               ;   in Loop: Header=BB62_14 Depth=2
	v_add_co_u32 v32, vcc_lo, s12, v32
	v_add_co_ci_u32_e32 v33, vcc_lo, s13, v33, vcc_lo
	v_cmp_lt_i64_e32 vcc_lo, v[30:31], v[20:21]
	global_load_b32 v13, v[32:33], off
	global_store_b64 v[26:27], v[30:31], off
	s_waitcnt vmcnt(0)
	global_store_b32 v[24:25], v13, off
	global_store_b32 v[22:23], v28, off
	v_dual_cndmask_b32 v21, v21, v31 :: v_dual_cndmask_b32 v20, v20, v30
	s_branch .LBB62_12
.LBB62_23:                              ;   in Loop: Header=BB62_10 Depth=1
	ds_bpermute_b32 v18, v36, v20
	ds_bpermute_b32 v19, v36, v21
	s_waitcnt lgkmcnt(0)
	v_cmp_lt_i64_e32 vcc_lo, v[18:19], v[20:21]
	v_dual_cndmask_b32 v19, v21, v19 :: v_dual_cndmask_b32 v18, v20, v18
	ds_bpermute_b32 v21, v37, v19
	ds_bpermute_b32 v20, v37, v18
	s_waitcnt lgkmcnt(0)
	v_cmp_lt_i64_e32 vcc_lo, v[20:21], v[18:19]
	v_dual_cndmask_b32 v19, v19, v21 :: v_dual_cndmask_b32 v18, v18, v20
	;; [unrolled: 5-line block ×5, first 2 shown]
	s_delay_alu instid0(VALU_DEP_1) | instskip(SKIP_1) | instid1(SALU_CYCLE_1)
	v_cmp_gt_i64_e32 vcc_lo, s[6:7], v[18:19]
	s_and_b32 s1, s0, vcc_lo
	s_and_saveexec_b32 s22, s1
	s_cbranch_execz .LBB62_29
; %bb.24:                               ;   in Loop: Header=BB62_10 Depth=1
	v_or_b32_e32 v13, s9, v19
                                        ; implicit-def: $vgpr20_vgpr21
	s_mov_b32 s1, exec_lo
	s_delay_alu instid0(VALU_DEP_1)
	v_cmpx_ne_u64_e32 0, v[12:13]
	s_xor_b32 s23, exec_lo, s1
	s_cbranch_execnz .LBB62_50
; %bb.25:                               ;   in Loop: Header=BB62_10 Depth=1
	s_and_not1_saveexec_b32 s1, s23
	s_cbranch_execnz .LBB62_51
.LBB62_26:                              ;   in Loop: Header=BB62_10 Depth=1
	s_or_b32 exec_lo, exec_lo, s1
	s_delay_alu instid0(SALU_CYCLE_1)
	s_mov_b32 s1, exec_lo
	v_cmpx_ge_i64_e64 v[20:21], v[16:17]
	s_cbranch_execz .LBB62_28
.LBB62_27:                              ;   in Loop: Header=BB62_10 Depth=1
	v_lshlrev_b64 v[16:17], 3, v[14:15]
	v_add_co_u32 v22, vcc_lo, v20, s24
	v_add_co_ci_u32_e32 v23, vcc_lo, 0, v21, vcc_lo
	s_delay_alu instid0(VALU_DEP_3) | instskip(NEXT) | instid1(VALU_DEP_4)
	v_add_co_u32 v24, vcc_lo, s28, v16
	v_add_co_ci_u32_e32 v25, vcc_lo, s29, v17, vcc_lo
	v_add_co_u32 v14, vcc_lo, v14, 1
	v_add_co_ci_u32_e32 v15, vcc_lo, 0, v15, vcc_lo
	;; [unrolled: 2-line block ×3, first 2 shown]
	global_store_b64 v[24:25], v[22:23], off
.LBB62_28:                              ;   in Loop: Header=BB62_10 Depth=1
	s_or_b32 exec_lo, exec_lo, s1
.LBB62_29:                              ;   in Loop: Header=BB62_10 Depth=1
	s_delay_alu instid0(SALU_CYCLE_1)
	s_or_b32 exec_lo, exec_lo, s22
	ds_bpermute_b32 v34, v41, v18
	ds_bpermute_b32 v35, v41, v19
	ds_bpermute_b32 v14, v41, v14
	ds_bpermute_b32 v15, v41, v15
	s_and_not1_b32 vcc_lo, exec_lo, s26
	s_cbranch_vccnz .LBB62_9
; %bb.30:                               ;   in Loop: Header=BB62_10 Depth=1
	v_add_co_u32 v13, vcc_lo, s31, 0
	s_waitcnt lgkmcnt(0)
	v_add_co_ci_u32_e32 v18, vcc_lo, s33, v15, vcc_lo
	v_dual_mov_b32 v25, v9 :: v_dual_mov_b32 v24, v8
	s_delay_alu instid0(VALU_DEP_3) | instskip(NEXT) | instid1(VALU_DEP_3)
	v_add_co_u32 v13, vcc_lo, v13, v14
	v_add_co_ci_u32_e32 v18, vcc_lo, 0, v18, vcc_lo
	s_mov_b64 s[20:21], s[10:11]
	s_delay_alu instid0(VALU_DEP_2) | instskip(SKIP_1) | instid1(VALU_DEP_3)
	v_mul_lo_u32 v19, s9, v13
	v_mad_u64_u32 v[22:23], null, s8, v13, v[0:1]
	v_mul_lo_u32 v18, s8, v18
	v_add_co_u32 v13, vcc_lo, s31, v14
	v_add_co_ci_u32_e32 v20, vcc_lo, s33, v15, vcc_lo
	s_delay_alu instid0(VALU_DEP_2) | instskip(NEXT) | instid1(VALU_DEP_4)
	v_mul_lo_u32 v27, v13, s9
	v_add3_u32 v23, v19, v23, v18
	s_delay_alu instid0(VALU_DEP_3)
	v_mul_lo_u32 v26, v20, s8
	v_mad_u64_u32 v[18:19], null, v13, s8, 0
	v_mul_lo_u32 v13, s15, v22
	v_mad_u64_u32 v[20:21], null, s14, v22, s[2:3]
	v_mul_lo_u32 v28, s14, v23
	v_dual_mov_b32 v23, v7 :: v_dual_mov_b32 v22, v6
	v_add3_u32 v19, v19, v27, v26
	v_dual_mov_b32 v27, v11 :: v_dual_mov_b32 v26, v10
	s_delay_alu instid0(VALU_DEP_4)
	v_add3_u32 v21, v13, v21, v28
	s_branch .LBB62_33
.LBB62_31:                              ;   in Loop: Header=BB62_33 Depth=2
	s_or_b32 exec_lo, exec_lo, s1
	global_load_b32 v13, v[24:25], off
	v_lshlrev_b64 v[28:29], 2, v[30:31]
	s_delay_alu instid0(VALU_DEP_1) | instskip(NEXT) | instid1(VALU_DEP_2)
	v_add_co_u32 v28, vcc_lo, v20, v28
	v_add_co_ci_u32_e32 v29, vcc_lo, v21, v29, vcc_lo
	s_waitcnt vmcnt(0)
	global_store_b32 v[28:29], v13, off
.LBB62_32:                              ;   in Loop: Header=BB62_33 Depth=2
	s_or_b32 exec_lo, exec_lo, s34
	v_add_co_u32 v20, vcc_lo, v20, s16
	v_add_co_ci_u32_e32 v21, vcc_lo, s17, v21, vcc_lo
	v_add_co_u32 v26, vcc_lo, 0x80, v26
	v_add_co_ci_u32_e32 v27, vcc_lo, 0, v27, vcc_lo
	;; [unrolled: 2-line block ×3, first 2 shown]
	v_add_co_u32 v22, vcc_lo, v22, 8
	s_add_u32 s20, s20, -1
	v_add_co_ci_u32_e32 v23, vcc_lo, 0, v23, vcc_lo
	s_addc_u32 s21, s21, -1
	s_delay_alu instid0(SALU_CYCLE_1)
	s_cmp_eq_u64 s[20:21], 0
	s_cbranch_scc1 .LBB62_9
.LBB62_33:                              ;   Parent Loop BB62_10 Depth=1
                                        ; =>  This Inner Loop Header: Depth=2
	global_load_b64 v[28:29], v[22:23], off
	s_mov_b32 s34, exec_lo
	s_waitcnt vmcnt(0)
	v_cmpx_gt_i64_e64 s[6:7], v[28:29]
	s_cbranch_execz .LBB62_32
; %bb.34:                               ;   in Loop: Header=BB62_33 Depth=2
	v_or_b32_e32 v42, s9, v29
                                        ; implicit-def: $vgpr30_vgpr31
	s_mov_b32 s1, exec_lo
	s_delay_alu instid0(VALU_DEP_1) | instskip(NEXT) | instid1(VALU_DEP_1)
	v_mov_b32_e32 v13, v42
	v_cmpx_ne_u64_e32 0, v[12:13]
	s_xor_b32 s35, exec_lo, s1
	s_cbranch_execz .LBB62_36
; %bb.35:                               ;   in Loop: Header=BB62_33 Depth=2
	s_add_u32 s22, s8, s18
	s_mov_b32 s19, s18
	s_addc_u32 s23, s9, s18
	s_delay_alu instid0(SALU_CYCLE_1) | instskip(NEXT) | instid1(SALU_CYCLE_1)
	s_xor_b64 s[22:23], s[22:23], s[18:19]
	v_cvt_f32_u32_e32 v13, s22
	v_cvt_f32_u32_e32 v30, s23
	s_sub_u32 s1, 0, s22
	s_subb_u32 s19, 0, s23
	s_delay_alu instid0(VALU_DEP_1) | instskip(NEXT) | instid1(VALU_DEP_1)
	v_fmac_f32_e32 v13, 0x4f800000, v30
	v_rcp_f32_e32 v13, v13
	s_waitcnt_depctr 0xfff
	v_mul_f32_e32 v13, 0x5f7ffffc, v13
	s_delay_alu instid0(VALU_DEP_1) | instskip(NEXT) | instid1(VALU_DEP_1)
	v_mul_f32_e32 v30, 0x2f800000, v13
	v_trunc_f32_e32 v30, v30
	s_delay_alu instid0(VALU_DEP_1) | instskip(SKIP_1) | instid1(VALU_DEP_2)
	v_fmac_f32_e32 v13, 0xcf800000, v30
	v_cvt_u32_f32_e32 v30, v30
	v_cvt_u32_f32_e32 v13, v13
	s_delay_alu instid0(VALU_DEP_2) | instskip(NEXT) | instid1(VALU_DEP_2)
	v_mul_lo_u32 v31, s1, v30
	v_mul_hi_u32 v32, s1, v13
	v_mul_lo_u32 v33, s19, v13
	s_delay_alu instid0(VALU_DEP_2) | instskip(SKIP_1) | instid1(VALU_DEP_2)
	v_add_nc_u32_e32 v31, v32, v31
	v_mul_lo_u32 v32, s1, v13
	v_add_nc_u32_e32 v31, v31, v33
	s_delay_alu instid0(VALU_DEP_2) | instskip(NEXT) | instid1(VALU_DEP_2)
	v_mul_hi_u32 v33, v13, v32
	v_mul_lo_u32 v43, v13, v31
	v_mul_hi_u32 v44, v13, v31
	v_mul_hi_u32 v45, v30, v32
	v_mul_lo_u32 v32, v30, v32
	v_mul_hi_u32 v46, v30, v31
	v_mul_lo_u32 v31, v30, v31
	v_add_co_u32 v33, vcc_lo, v33, v43
	v_add_co_ci_u32_e32 v43, vcc_lo, 0, v44, vcc_lo
	s_delay_alu instid0(VALU_DEP_2) | instskip(NEXT) | instid1(VALU_DEP_2)
	v_add_co_u32 v32, vcc_lo, v33, v32
	v_add_co_ci_u32_e32 v32, vcc_lo, v43, v45, vcc_lo
	v_add_co_ci_u32_e32 v33, vcc_lo, 0, v46, vcc_lo
	v_ashrrev_i32_e32 v45, 31, v29
	s_delay_alu instid0(VALU_DEP_3) | instskip(NEXT) | instid1(VALU_DEP_3)
	v_add_co_u32 v31, vcc_lo, v32, v31
	v_add_co_ci_u32_e32 v32, vcc_lo, 0, v33, vcc_lo
	s_delay_alu instid0(VALU_DEP_2) | instskip(NEXT) | instid1(VALU_DEP_2)
	v_add_co_u32 v13, vcc_lo, v13, v31
	v_add_co_ci_u32_e32 v30, vcc_lo, v30, v32, vcc_lo
	s_delay_alu instid0(VALU_DEP_2) | instskip(SKIP_1) | instid1(VALU_DEP_3)
	v_mul_hi_u32 v31, s1, v13
	v_mul_lo_u32 v33, s19, v13
	v_mul_lo_u32 v32, s1, v30
	s_delay_alu instid0(VALU_DEP_1) | instskip(SKIP_1) | instid1(VALU_DEP_2)
	v_add_nc_u32_e32 v31, v31, v32
	v_mul_lo_u32 v32, s1, v13
	v_add_nc_u32_e32 v31, v31, v33
	s_delay_alu instid0(VALU_DEP_2) | instskip(NEXT) | instid1(VALU_DEP_2)
	v_mul_hi_u32 v33, v13, v32
	v_mul_lo_u32 v43, v13, v31
	v_mul_hi_u32 v44, v13, v31
	v_mul_hi_u32 v46, v30, v32
	v_mul_lo_u32 v32, v30, v32
	v_mul_hi_u32 v47, v30, v31
	v_mul_lo_u32 v31, v30, v31
	v_add_co_u32 v33, vcc_lo, v33, v43
	v_add_co_ci_u32_e32 v43, vcc_lo, 0, v44, vcc_lo
	s_delay_alu instid0(VALU_DEP_2) | instskip(NEXT) | instid1(VALU_DEP_2)
	v_add_co_u32 v32, vcc_lo, v33, v32
	v_add_co_ci_u32_e32 v32, vcc_lo, v43, v46, vcc_lo
	v_add_co_ci_u32_e32 v33, vcc_lo, 0, v47, vcc_lo
	v_add_co_u32 v43, vcc_lo, v28, v45
	v_add_co_ci_u32_e32 v44, vcc_lo, v29, v45, vcc_lo
	s_delay_alu instid0(VALU_DEP_4) | instskip(NEXT) | instid1(VALU_DEP_4)
	v_add_co_u32 v31, vcc_lo, v32, v31
	v_add_co_ci_u32_e32 v32, vcc_lo, 0, v33, vcc_lo
	s_delay_alu instid0(VALU_DEP_4) | instskip(NEXT) | instid1(VALU_DEP_3)
	v_xor_b32_e32 v46, v43, v45
	v_add_co_u32 v13, vcc_lo, v13, v31
	s_delay_alu instid0(VALU_DEP_3) | instskip(SKIP_1) | instid1(VALU_DEP_3)
	v_add_co_ci_u32_e32 v47, vcc_lo, v30, v32, vcc_lo
	v_xor_b32_e32 v48, v44, v45
	v_mul_hi_u32 v49, v46, v13
	s_delay_alu instid0(VALU_DEP_3) | instskip(NEXT) | instid1(VALU_DEP_3)
	v_mad_u64_u32 v[30:31], null, v46, v47, 0
	v_mad_u64_u32 v[32:33], null, v48, v13, 0
	;; [unrolled: 1-line block ×3, first 2 shown]
	s_delay_alu instid0(VALU_DEP_3) | instskip(NEXT) | instid1(VALU_DEP_4)
	v_add_co_u32 v13, vcc_lo, v49, v30
	v_add_co_ci_u32_e32 v30, vcc_lo, 0, v31, vcc_lo
	s_delay_alu instid0(VALU_DEP_2) | instskip(NEXT) | instid1(VALU_DEP_2)
	v_add_co_u32 v13, vcc_lo, v13, v32
	v_add_co_ci_u32_e32 v13, vcc_lo, v30, v33, vcc_lo
	v_add_co_ci_u32_e32 v30, vcc_lo, 0, v44, vcc_lo
	s_delay_alu instid0(VALU_DEP_2) | instskip(NEXT) | instid1(VALU_DEP_2)
	v_add_co_u32 v13, vcc_lo, v13, v43
	v_add_co_ci_u32_e32 v32, vcc_lo, 0, v30, vcc_lo
	s_delay_alu instid0(VALU_DEP_2) | instskip(SKIP_1) | instid1(VALU_DEP_3)
	v_mul_lo_u32 v33, s23, v13
	v_mad_u64_u32 v[30:31], null, s22, v13, 0
	v_mul_lo_u32 v43, s22, v32
	s_delay_alu instid0(VALU_DEP_2) | instskip(NEXT) | instid1(VALU_DEP_2)
	v_sub_co_u32 v30, vcc_lo, v46, v30
	v_add3_u32 v31, v31, v43, v33
	s_delay_alu instid0(VALU_DEP_1) | instskip(NEXT) | instid1(VALU_DEP_1)
	v_sub_nc_u32_e32 v33, v48, v31
	v_subrev_co_ci_u32_e64 v33, s1, s23, v33, vcc_lo
	v_add_co_u32 v43, s1, v13, 2
	s_delay_alu instid0(VALU_DEP_1) | instskip(SKIP_3) | instid1(VALU_DEP_3)
	v_add_co_ci_u32_e64 v44, s1, 0, v32, s1
	v_sub_co_u32 v46, s1, v30, s22
	v_sub_co_ci_u32_e32 v31, vcc_lo, v48, v31, vcc_lo
	v_subrev_co_ci_u32_e64 v33, s1, 0, v33, s1
	v_cmp_le_u32_e32 vcc_lo, s22, v46
	s_delay_alu instid0(VALU_DEP_3) | instskip(SKIP_1) | instid1(VALU_DEP_4)
	v_cmp_eq_u32_e64 s1, s23, v31
	v_cndmask_b32_e64 v46, 0, -1, vcc_lo
	v_cmp_le_u32_e32 vcc_lo, s23, v33
	v_cndmask_b32_e64 v47, 0, -1, vcc_lo
	v_cmp_le_u32_e32 vcc_lo, s22, v30
	;; [unrolled: 2-line block ×3, first 2 shown]
	v_cndmask_b32_e64 v48, 0, -1, vcc_lo
	v_cmp_eq_u32_e32 vcc_lo, s23, v33
	s_delay_alu instid0(VALU_DEP_2) | instskip(SKIP_3) | instid1(VALU_DEP_3)
	v_cndmask_b32_e64 v30, v48, v30, s1
	v_cndmask_b32_e32 v33, v47, v46, vcc_lo
	v_add_co_u32 v46, vcc_lo, v13, 1
	v_add_co_ci_u32_e32 v47, vcc_lo, 0, v32, vcc_lo
	v_cmp_ne_u32_e32 vcc_lo, 0, v33
	s_delay_alu instid0(VALU_DEP_2) | instskip(NEXT) | instid1(VALU_DEP_4)
	v_cndmask_b32_e32 v31, v47, v44, vcc_lo
	v_cndmask_b32_e32 v33, v46, v43, vcc_lo
	v_cmp_ne_u32_e32 vcc_lo, 0, v30
	v_xor_b32_e32 v43, s18, v45
	s_delay_alu instid0(VALU_DEP_3) | instskip(NEXT) | instid1(VALU_DEP_1)
	v_dual_cndmask_b32 v13, v13, v33 :: v_dual_cndmask_b32 v30, v32, v31
	v_xor_b32_e32 v13, v13, v43
	s_delay_alu instid0(VALU_DEP_2) | instskip(NEXT) | instid1(VALU_DEP_2)
	v_xor_b32_e32 v31, v30, v43
	v_sub_co_u32 v30, vcc_lo, v13, v43
	s_delay_alu instid0(VALU_DEP_2)
	v_sub_co_ci_u32_e32 v31, vcc_lo, v31, v43, vcc_lo
.LBB62_36:                              ;   in Loop: Header=BB62_33 Depth=2
	s_and_not1_saveexec_b32 s1, s35
	s_cbranch_execz .LBB62_38
; %bb.37:                               ;   in Loop: Header=BB62_33 Depth=2
	v_cvt_f32_u32_e32 v13, s8
	s_sub_i32 s19, 0, s8
	s_delay_alu instid0(VALU_DEP_1) | instskip(SKIP_2) | instid1(VALU_DEP_1)
	v_rcp_iflag_f32_e32 v13, v13
	s_waitcnt_depctr 0xfff
	v_mul_f32_e32 v13, 0x4f7ffffe, v13
	v_cvt_u32_f32_e32 v13, v13
	s_delay_alu instid0(VALU_DEP_1) | instskip(NEXT) | instid1(VALU_DEP_1)
	v_mul_lo_u32 v30, s19, v13
	v_mul_hi_u32 v30, v13, v30
	s_delay_alu instid0(VALU_DEP_1) | instskip(NEXT) | instid1(VALU_DEP_1)
	v_add_nc_u32_e32 v13, v13, v30
	v_mul_hi_u32 v13, v28, v13
	s_delay_alu instid0(VALU_DEP_1) | instskip(SKIP_1) | instid1(VALU_DEP_2)
	v_mul_lo_u32 v30, v13, s8
	v_add_nc_u32_e32 v31, 1, v13
	v_sub_nc_u32_e32 v30, v28, v30
	s_delay_alu instid0(VALU_DEP_1) | instskip(SKIP_1) | instid1(VALU_DEP_2)
	v_subrev_nc_u32_e32 v32, s8, v30
	v_cmp_le_u32_e32 vcc_lo, s8, v30
	v_dual_cndmask_b32 v30, v30, v32 :: v_dual_cndmask_b32 v13, v13, v31
	s_delay_alu instid0(VALU_DEP_1) | instskip(NEXT) | instid1(VALU_DEP_2)
	v_cmp_le_u32_e32 vcc_lo, s8, v30
	v_add_nc_u32_e32 v31, 1, v13
	s_delay_alu instid0(VALU_DEP_1)
	v_dual_cndmask_b32 v30, v13, v31 :: v_dual_mov_b32 v31, v12
.LBB62_38:                              ;   in Loop: Header=BB62_33 Depth=2
	s_or_b32 exec_lo, exec_lo, s1
	v_or_b32_e32 v13, s9, v35
                                        ; implicit-def: $vgpr32_vgpr33
	s_mov_b32 s1, exec_lo
	s_delay_alu instid0(VALU_DEP_1)
	v_cmpx_ne_u64_e32 0, v[12:13]
	s_xor_b32 s35, exec_lo, s1
	s_cbranch_execnz .LBB62_41
; %bb.39:                               ;   in Loop: Header=BB62_33 Depth=2
	s_and_not1_saveexec_b32 s1, s35
	s_cbranch_execnz .LBB62_42
.LBB62_40:                              ;   in Loop: Header=BB62_33 Depth=2
	s_or_b32 exec_lo, exec_lo, s1
	s_delay_alu instid0(VALU_DEP_1)
	v_cmp_eq_u64_e32 vcc_lo, v[30:31], v[32:33]
	s_and_b32 exec_lo, exec_lo, vcc_lo
	s_cbranch_execz .LBB62_32
	s_branch .LBB62_43
.LBB62_41:                              ;   in Loop: Header=BB62_33 Depth=2
	s_add_u32 s22, s8, s18
	s_mov_b32 s19, s18
	s_addc_u32 s23, s9, s18
	s_delay_alu instid0(SALU_CYCLE_1) | instskip(NEXT) | instid1(SALU_CYCLE_1)
	s_xor_b64 s[22:23], s[22:23], s[18:19]
	v_cvt_f32_u32_e32 v13, s22
	v_cvt_f32_u32_e32 v32, s23
	s_sub_u32 s1, 0, s22
	s_subb_u32 s19, 0, s23
	s_delay_alu instid0(VALU_DEP_1) | instskip(NEXT) | instid1(VALU_DEP_1)
	v_fmac_f32_e32 v13, 0x4f800000, v32
	v_rcp_f32_e32 v13, v13
	s_waitcnt_depctr 0xfff
	v_mul_f32_e32 v13, 0x5f7ffffc, v13
	s_delay_alu instid0(VALU_DEP_1) | instskip(NEXT) | instid1(VALU_DEP_1)
	v_mul_f32_e32 v32, 0x2f800000, v13
	v_trunc_f32_e32 v32, v32
	s_delay_alu instid0(VALU_DEP_1) | instskip(SKIP_1) | instid1(VALU_DEP_2)
	v_fmac_f32_e32 v13, 0xcf800000, v32
	v_cvt_u32_f32_e32 v32, v32
	v_cvt_u32_f32_e32 v13, v13
	s_delay_alu instid0(VALU_DEP_2) | instskip(NEXT) | instid1(VALU_DEP_2)
	v_mul_lo_u32 v33, s1, v32
	v_mul_hi_u32 v43, s1, v13
	v_mul_lo_u32 v44, s19, v13
	s_delay_alu instid0(VALU_DEP_2) | instskip(SKIP_1) | instid1(VALU_DEP_2)
	v_add_nc_u32_e32 v33, v43, v33
	v_mul_lo_u32 v43, s1, v13
	v_add_nc_u32_e32 v33, v33, v44
	s_delay_alu instid0(VALU_DEP_2) | instskip(NEXT) | instid1(VALU_DEP_2)
	v_mul_hi_u32 v44, v13, v43
	v_mul_lo_u32 v45, v13, v33
	v_mul_hi_u32 v46, v13, v33
	v_mul_hi_u32 v47, v32, v43
	v_mul_lo_u32 v43, v32, v43
	v_mul_hi_u32 v48, v32, v33
	v_mul_lo_u32 v33, v32, v33
	v_add_co_u32 v44, vcc_lo, v44, v45
	v_add_co_ci_u32_e32 v45, vcc_lo, 0, v46, vcc_lo
	s_delay_alu instid0(VALU_DEP_2) | instskip(NEXT) | instid1(VALU_DEP_2)
	v_add_co_u32 v43, vcc_lo, v44, v43
	v_add_co_ci_u32_e32 v43, vcc_lo, v45, v47, vcc_lo
	v_add_co_ci_u32_e32 v44, vcc_lo, 0, v48, vcc_lo
	v_ashrrev_i32_e32 v47, 31, v35
	s_delay_alu instid0(VALU_DEP_3) | instskip(NEXT) | instid1(VALU_DEP_3)
	v_add_co_u32 v33, vcc_lo, v43, v33
	v_add_co_ci_u32_e32 v43, vcc_lo, 0, v44, vcc_lo
	s_delay_alu instid0(VALU_DEP_2) | instskip(NEXT) | instid1(VALU_DEP_2)
	v_add_co_u32 v13, vcc_lo, v13, v33
	v_add_co_ci_u32_e32 v32, vcc_lo, v32, v43, vcc_lo
	s_delay_alu instid0(VALU_DEP_2) | instskip(SKIP_1) | instid1(VALU_DEP_3)
	v_mul_hi_u32 v33, s1, v13
	v_mul_lo_u32 v44, s19, v13
	v_mul_lo_u32 v43, s1, v32
	s_delay_alu instid0(VALU_DEP_1) | instskip(SKIP_1) | instid1(VALU_DEP_2)
	v_add_nc_u32_e32 v33, v33, v43
	v_mul_lo_u32 v43, s1, v13
	v_add_nc_u32_e32 v33, v33, v44
	s_delay_alu instid0(VALU_DEP_2) | instskip(NEXT) | instid1(VALU_DEP_2)
	v_mul_hi_u32 v44, v13, v43
	v_mul_lo_u32 v45, v13, v33
	v_mul_hi_u32 v46, v13, v33
	v_mul_hi_u32 v48, v32, v43
	v_mul_lo_u32 v43, v32, v43
	v_mul_hi_u32 v49, v32, v33
	v_mul_lo_u32 v33, v32, v33
	v_add_co_u32 v44, vcc_lo, v44, v45
	v_add_co_ci_u32_e32 v45, vcc_lo, 0, v46, vcc_lo
	s_delay_alu instid0(VALU_DEP_2) | instskip(NEXT) | instid1(VALU_DEP_2)
	v_add_co_u32 v43, vcc_lo, v44, v43
	v_add_co_ci_u32_e32 v43, vcc_lo, v45, v48, vcc_lo
	v_add_co_ci_u32_e32 v44, vcc_lo, 0, v49, vcc_lo
	v_add_co_u32 v45, vcc_lo, v34, v47
	v_add_co_ci_u32_e32 v46, vcc_lo, v35, v47, vcc_lo
	s_delay_alu instid0(VALU_DEP_4) | instskip(NEXT) | instid1(VALU_DEP_4)
	v_add_co_u32 v33, vcc_lo, v43, v33
	v_add_co_ci_u32_e32 v43, vcc_lo, 0, v44, vcc_lo
	s_delay_alu instid0(VALU_DEP_4) | instskip(NEXT) | instid1(VALU_DEP_3)
	v_xor_b32_e32 v48, v45, v47
	v_add_co_u32 v13, vcc_lo, v13, v33
	s_delay_alu instid0(VALU_DEP_3) | instskip(SKIP_1) | instid1(VALU_DEP_3)
	v_add_co_ci_u32_e32 v49, vcc_lo, v32, v43, vcc_lo
	v_xor_b32_e32 v50, v46, v47
	v_mul_hi_u32 v51, v48, v13
	s_delay_alu instid0(VALU_DEP_3) | instskip(NEXT) | instid1(VALU_DEP_3)
	v_mad_u64_u32 v[32:33], null, v48, v49, 0
	v_mad_u64_u32 v[43:44], null, v50, v13, 0
	;; [unrolled: 1-line block ×3, first 2 shown]
	s_delay_alu instid0(VALU_DEP_3) | instskip(NEXT) | instid1(VALU_DEP_4)
	v_add_co_u32 v13, vcc_lo, v51, v32
	v_add_co_ci_u32_e32 v32, vcc_lo, 0, v33, vcc_lo
	s_delay_alu instid0(VALU_DEP_2) | instskip(NEXT) | instid1(VALU_DEP_2)
	v_add_co_u32 v13, vcc_lo, v13, v43
	v_add_co_ci_u32_e32 v13, vcc_lo, v32, v44, vcc_lo
	v_add_co_ci_u32_e32 v32, vcc_lo, 0, v46, vcc_lo
	s_delay_alu instid0(VALU_DEP_2) | instskip(NEXT) | instid1(VALU_DEP_2)
	v_add_co_u32 v13, vcc_lo, v13, v45
	v_add_co_ci_u32_e32 v43, vcc_lo, 0, v32, vcc_lo
	s_delay_alu instid0(VALU_DEP_2) | instskip(SKIP_1) | instid1(VALU_DEP_3)
	v_mul_lo_u32 v44, s23, v13
	v_mad_u64_u32 v[32:33], null, s22, v13, 0
	v_mul_lo_u32 v45, s22, v43
	s_delay_alu instid0(VALU_DEP_2) | instskip(NEXT) | instid1(VALU_DEP_2)
	v_sub_co_u32 v32, vcc_lo, v48, v32
	v_add3_u32 v33, v33, v45, v44
	s_delay_alu instid0(VALU_DEP_1) | instskip(NEXT) | instid1(VALU_DEP_1)
	v_sub_nc_u32_e32 v44, v50, v33
	v_subrev_co_ci_u32_e64 v44, s1, s23, v44, vcc_lo
	v_add_co_u32 v45, s1, v13, 2
	s_delay_alu instid0(VALU_DEP_1) | instskip(SKIP_3) | instid1(VALU_DEP_3)
	v_add_co_ci_u32_e64 v46, s1, 0, v43, s1
	v_sub_co_u32 v48, s1, v32, s22
	v_sub_co_ci_u32_e32 v33, vcc_lo, v50, v33, vcc_lo
	v_subrev_co_ci_u32_e64 v44, s1, 0, v44, s1
	v_cmp_le_u32_e32 vcc_lo, s22, v48
	s_delay_alu instid0(VALU_DEP_3) | instskip(SKIP_1) | instid1(VALU_DEP_4)
	v_cmp_eq_u32_e64 s1, s23, v33
	v_cndmask_b32_e64 v48, 0, -1, vcc_lo
	v_cmp_le_u32_e32 vcc_lo, s23, v44
	v_cndmask_b32_e64 v49, 0, -1, vcc_lo
	v_cmp_le_u32_e32 vcc_lo, s22, v32
	;; [unrolled: 2-line block ×3, first 2 shown]
	v_cndmask_b32_e64 v50, 0, -1, vcc_lo
	v_cmp_eq_u32_e32 vcc_lo, s23, v44
	s_delay_alu instid0(VALU_DEP_2) | instskip(SKIP_3) | instid1(VALU_DEP_3)
	v_cndmask_b32_e64 v32, v50, v32, s1
	v_cndmask_b32_e32 v44, v49, v48, vcc_lo
	v_add_co_u32 v48, vcc_lo, v13, 1
	v_add_co_ci_u32_e32 v49, vcc_lo, 0, v43, vcc_lo
	v_cmp_ne_u32_e32 vcc_lo, 0, v44
	s_delay_alu instid0(VALU_DEP_2) | instskip(SKIP_2) | instid1(VALU_DEP_3)
	v_dual_cndmask_b32 v33, v49, v46 :: v_dual_cndmask_b32 v44, v48, v45
	v_cmp_ne_u32_e32 vcc_lo, 0, v32
	v_xor_b32_e32 v45, s18, v47
	v_dual_cndmask_b32 v32, v43, v33 :: v_dual_cndmask_b32 v13, v13, v44
	s_delay_alu instid0(VALU_DEP_1) | instskip(NEXT) | instid1(VALU_DEP_2)
	v_xor_b32_e32 v33, v32, v45
	v_xor_b32_e32 v13, v13, v45
	s_delay_alu instid0(VALU_DEP_1) | instskip(NEXT) | instid1(VALU_DEP_3)
	v_sub_co_u32 v32, vcc_lo, v13, v45
	v_sub_co_ci_u32_e32 v33, vcc_lo, v33, v45, vcc_lo
	s_and_not1_saveexec_b32 s1, s35
	s_cbranch_execz .LBB62_40
.LBB62_42:                              ;   in Loop: Header=BB62_33 Depth=2
	v_cvt_f32_u32_e32 v13, s8
	s_sub_i32 s19, 0, s8
	s_delay_alu instid0(VALU_DEP_1) | instskip(SKIP_2) | instid1(VALU_DEP_1)
	v_rcp_iflag_f32_e32 v13, v13
	s_waitcnt_depctr 0xfff
	v_mul_f32_e32 v13, 0x4f7ffffe, v13
	v_cvt_u32_f32_e32 v13, v13
	s_delay_alu instid0(VALU_DEP_1) | instskip(NEXT) | instid1(VALU_DEP_1)
	v_mul_lo_u32 v32, s19, v13
	v_mul_hi_u32 v32, v13, v32
	s_delay_alu instid0(VALU_DEP_1) | instskip(NEXT) | instid1(VALU_DEP_1)
	v_add_nc_u32_e32 v13, v13, v32
	v_mul_hi_u32 v13, v34, v13
	s_delay_alu instid0(VALU_DEP_1) | instskip(SKIP_1) | instid1(VALU_DEP_2)
	v_mul_lo_u32 v32, v13, s8
	v_add_nc_u32_e32 v33, 1, v13
	v_sub_nc_u32_e32 v32, v34, v32
	s_delay_alu instid0(VALU_DEP_1) | instskip(SKIP_1) | instid1(VALU_DEP_2)
	v_subrev_nc_u32_e32 v43, s8, v32
	v_cmp_le_u32_e32 vcc_lo, s8, v32
	v_dual_cndmask_b32 v32, v32, v43 :: v_dual_cndmask_b32 v13, v13, v33
	s_delay_alu instid0(VALU_DEP_1) | instskip(NEXT) | instid1(VALU_DEP_2)
	v_cmp_le_u32_e32 vcc_lo, s8, v32
	v_add_nc_u32_e32 v33, 1, v13
	s_delay_alu instid0(VALU_DEP_1) | instskip(SKIP_1) | instid1(VALU_DEP_1)
	v_dual_cndmask_b32 v32, v13, v33 :: v_dual_mov_b32 v33, v12
	s_or_b32 exec_lo, exec_lo, s1
	v_cmp_eq_u64_e32 vcc_lo, v[30:31], v[32:33]
	s_and_b32 exec_lo, exec_lo, vcc_lo
	s_cbranch_execz .LBB62_32
.LBB62_43:                              ;   in Loop: Header=BB62_33 Depth=2
	s_and_b32 vcc_lo, exec_lo, s30
	s_cbranch_vccz .LBB62_45
; %bb.44:                               ;   in Loop: Header=BB62_33 Depth=2
	global_load_b32 v13, v[24:25], off
	v_mul_lo_u32 v33, v31, s8
	v_mul_lo_u32 v43, v30, s9
	v_mad_u64_u32 v[31:32], null, v30, s8, 0
	s_delay_alu instid0(VALU_DEP_1) | instskip(NEXT) | instid1(VALU_DEP_2)
	v_add3_u32 v30, v32, v43, v33
	v_sub_co_u32 v31, vcc_lo, v28, v31
	s_delay_alu instid0(VALU_DEP_2) | instskip(NEXT) | instid1(VALU_DEP_2)
	v_sub_co_ci_u32_e32 v30, vcc_lo, v29, v30, vcc_lo
	v_add_co_u32 v32, vcc_lo, v31, v18
	s_delay_alu instid0(VALU_DEP_2) | instskip(NEXT) | instid1(VALU_DEP_2)
	v_add_co_ci_u32_e32 v30, vcc_lo, v30, v19, vcc_lo
	v_mul_lo_u32 v43, s15, v32
	s_delay_alu instid0(VALU_DEP_2) | instskip(SKIP_1) | instid1(VALU_DEP_1)
	v_mul_lo_u32 v33, s14, v30
	v_mad_u64_u32 v[30:31], null, s14, v32, v[26:27]
	v_add3_u32 v31, v43, v31, v33
	s_waitcnt vmcnt(0)
	global_store_b32 v[30:31], v13, off
	s_cbranch_execnz .LBB62_32
	s_branch .LBB62_46
.LBB62_45:                              ;   in Loop: Header=BB62_33 Depth=2
.LBB62_46:                              ;   in Loop: Header=BB62_33 Depth=2
	v_mov_b32_e32 v13, v42
                                        ; implicit-def: $vgpr30_vgpr31
	s_mov_b32 s1, exec_lo
	s_delay_alu instid0(VALU_DEP_1)
	v_cmpx_ne_u64_e32 0, v[12:13]
	s_xor_b32 s35, exec_lo, s1
	s_cbranch_execz .LBB62_48
; %bb.47:                               ;   in Loop: Header=BB62_33 Depth=2
	s_add_u32 s22, s8, s18
	s_mov_b32 s19, s18
	s_addc_u32 s23, s9, s18
	s_delay_alu instid0(SALU_CYCLE_1) | instskip(NEXT) | instid1(SALU_CYCLE_1)
	s_xor_b64 s[22:23], s[22:23], s[18:19]
	v_cvt_f32_u32_e32 v13, s22
	v_cvt_f32_u32_e32 v30, s23
	s_sub_u32 s1, 0, s22
	s_subb_u32 s19, 0, s23
	s_delay_alu instid0(VALU_DEP_1) | instskip(NEXT) | instid1(VALU_DEP_1)
	v_fmac_f32_e32 v13, 0x4f800000, v30
	v_rcp_f32_e32 v13, v13
	s_waitcnt_depctr 0xfff
	v_mul_f32_e32 v13, 0x5f7ffffc, v13
	s_delay_alu instid0(VALU_DEP_1) | instskip(NEXT) | instid1(VALU_DEP_1)
	v_mul_f32_e32 v30, 0x2f800000, v13
	v_trunc_f32_e32 v30, v30
	s_delay_alu instid0(VALU_DEP_1) | instskip(SKIP_1) | instid1(VALU_DEP_2)
	v_fmac_f32_e32 v13, 0xcf800000, v30
	v_cvt_u32_f32_e32 v30, v30
	v_cvt_u32_f32_e32 v13, v13
	s_delay_alu instid0(VALU_DEP_2) | instskip(NEXT) | instid1(VALU_DEP_2)
	v_mul_lo_u32 v31, s1, v30
	v_mul_hi_u32 v32, s1, v13
	v_mul_lo_u32 v33, s19, v13
	s_delay_alu instid0(VALU_DEP_2) | instskip(SKIP_1) | instid1(VALU_DEP_2)
	v_add_nc_u32_e32 v31, v32, v31
	v_mul_lo_u32 v32, s1, v13
	v_add_nc_u32_e32 v31, v31, v33
	s_delay_alu instid0(VALU_DEP_2) | instskip(NEXT) | instid1(VALU_DEP_2)
	v_mul_hi_u32 v33, v13, v32
	v_mul_lo_u32 v42, v13, v31
	v_mul_hi_u32 v43, v13, v31
	v_mul_hi_u32 v44, v30, v32
	v_mul_lo_u32 v32, v30, v32
	v_mul_hi_u32 v45, v30, v31
	v_mul_lo_u32 v31, v30, v31
	v_add_co_u32 v33, vcc_lo, v33, v42
	v_add_co_ci_u32_e32 v42, vcc_lo, 0, v43, vcc_lo
	s_delay_alu instid0(VALU_DEP_2) | instskip(NEXT) | instid1(VALU_DEP_2)
	v_add_co_u32 v32, vcc_lo, v33, v32
	v_add_co_ci_u32_e32 v32, vcc_lo, v42, v44, vcc_lo
	v_add_co_ci_u32_e32 v33, vcc_lo, 0, v45, vcc_lo
	v_ashrrev_i32_e32 v44, 31, v29
	s_delay_alu instid0(VALU_DEP_3) | instskip(NEXT) | instid1(VALU_DEP_3)
	v_add_co_u32 v31, vcc_lo, v32, v31
	v_add_co_ci_u32_e32 v32, vcc_lo, 0, v33, vcc_lo
	s_delay_alu instid0(VALU_DEP_2) | instskip(NEXT) | instid1(VALU_DEP_2)
	v_add_co_u32 v13, vcc_lo, v13, v31
	v_add_co_ci_u32_e32 v30, vcc_lo, v30, v32, vcc_lo
	s_delay_alu instid0(VALU_DEP_2) | instskip(SKIP_1) | instid1(VALU_DEP_3)
	v_mul_hi_u32 v31, s1, v13
	v_mul_lo_u32 v33, s19, v13
	v_mul_lo_u32 v32, s1, v30
	s_delay_alu instid0(VALU_DEP_1) | instskip(SKIP_1) | instid1(VALU_DEP_2)
	v_add_nc_u32_e32 v31, v31, v32
	v_mul_lo_u32 v32, s1, v13
	v_add_nc_u32_e32 v31, v31, v33
	s_delay_alu instid0(VALU_DEP_2) | instskip(NEXT) | instid1(VALU_DEP_2)
	v_mul_hi_u32 v33, v13, v32
	v_mul_lo_u32 v42, v13, v31
	v_mul_hi_u32 v43, v13, v31
	v_mul_hi_u32 v45, v30, v32
	v_mul_lo_u32 v32, v30, v32
	v_mul_hi_u32 v46, v30, v31
	v_mul_lo_u32 v31, v30, v31
	v_add_co_u32 v33, vcc_lo, v33, v42
	v_add_co_ci_u32_e32 v42, vcc_lo, 0, v43, vcc_lo
	s_delay_alu instid0(VALU_DEP_2) | instskip(NEXT) | instid1(VALU_DEP_2)
	v_add_co_u32 v32, vcc_lo, v33, v32
	v_add_co_ci_u32_e32 v32, vcc_lo, v42, v45, vcc_lo
	v_add_co_ci_u32_e32 v33, vcc_lo, 0, v46, vcc_lo
	v_add_co_u32 v28, vcc_lo, v28, v44
	v_add_co_ci_u32_e32 v29, vcc_lo, v29, v44, vcc_lo
	s_delay_alu instid0(VALU_DEP_4) | instskip(NEXT) | instid1(VALU_DEP_4)
	v_add_co_u32 v31, vcc_lo, v32, v31
	v_add_co_ci_u32_e32 v32, vcc_lo, 0, v33, vcc_lo
	s_delay_alu instid0(VALU_DEP_4) | instskip(NEXT) | instid1(VALU_DEP_3)
	v_xor_b32_e32 v42, v28, v44
	v_add_co_u32 v13, vcc_lo, v13, v31
	s_delay_alu instid0(VALU_DEP_3) | instskip(SKIP_1) | instid1(VALU_DEP_3)
	v_add_co_ci_u32_e32 v43, vcc_lo, v30, v32, vcc_lo
	v_xor_b32_e32 v45, v29, v44
	v_mul_hi_u32 v46, v42, v13
	s_delay_alu instid0(VALU_DEP_3) | instskip(NEXT) | instid1(VALU_DEP_3)
	v_mad_u64_u32 v[28:29], null, v42, v43, 0
	v_mad_u64_u32 v[30:31], null, v45, v13, 0
	v_mad_u64_u32 v[32:33], null, v45, v43, 0
	s_delay_alu instid0(VALU_DEP_3) | instskip(NEXT) | instid1(VALU_DEP_4)
	v_add_co_u32 v13, vcc_lo, v46, v28
	v_add_co_ci_u32_e32 v28, vcc_lo, 0, v29, vcc_lo
	s_delay_alu instid0(VALU_DEP_2) | instskip(NEXT) | instid1(VALU_DEP_2)
	v_add_co_u32 v13, vcc_lo, v13, v30
	v_add_co_ci_u32_e32 v13, vcc_lo, v28, v31, vcc_lo
	v_add_co_ci_u32_e32 v28, vcc_lo, 0, v33, vcc_lo
	s_delay_alu instid0(VALU_DEP_2) | instskip(NEXT) | instid1(VALU_DEP_2)
	v_add_co_u32 v13, vcc_lo, v13, v32
	v_add_co_ci_u32_e32 v30, vcc_lo, 0, v28, vcc_lo
	s_delay_alu instid0(VALU_DEP_2) | instskip(SKIP_1) | instid1(VALU_DEP_3)
	v_mul_lo_u32 v31, s23, v13
	v_mad_u64_u32 v[28:29], null, s22, v13, 0
	v_mul_lo_u32 v13, s22, v30
	s_delay_alu instid0(VALU_DEP_2) | instskip(NEXT) | instid1(VALU_DEP_2)
	v_sub_co_u32 v28, vcc_lo, v42, v28
	v_add3_u32 v13, v29, v13, v31
	s_delay_alu instid0(VALU_DEP_1) | instskip(NEXT) | instid1(VALU_DEP_1)
	v_sub_nc_u32_e32 v29, v45, v13
	v_subrev_co_ci_u32_e64 v29, s1, s23, v29, vcc_lo
	v_sub_co_ci_u32_e32 v13, vcc_lo, v45, v13, vcc_lo
	v_sub_co_u32 v30, vcc_lo, v28, s22
	s_delay_alu instid0(VALU_DEP_1) | instskip(SKIP_3) | instid1(VALU_DEP_3)
	v_subrev_co_ci_u32_e64 v31, s1, 0, v29, vcc_lo
	v_cmp_le_u32_e64 s1, s22, v28
	v_subrev_co_ci_u32_e32 v29, vcc_lo, s23, v29, vcc_lo
	v_cmp_le_u32_e32 vcc_lo, s23, v13
	v_cndmask_b32_e64 v32, 0, -1, s1
	v_cmp_le_u32_e64 s1, s22, v30
	v_cndmask_b32_e64 v43, 0, -1, vcc_lo
	v_cmp_eq_u32_e32 vcc_lo, s23, v31
	s_delay_alu instid0(VALU_DEP_3) | instskip(SKIP_1) | instid1(VALU_DEP_1)
	v_cndmask_b32_e64 v33, 0, -1, s1
	v_cmp_le_u32_e64 s1, s23, v31
	v_cndmask_b32_e64 v42, 0, -1, s1
	v_cmp_eq_u32_e64 s1, s23, v13
	s_delay_alu instid0(VALU_DEP_2) | instskip(SKIP_2) | instid1(VALU_DEP_3)
	v_cndmask_b32_e32 v33, v42, v33, vcc_lo
	v_sub_co_u32 v42, vcc_lo, v30, s22
	v_subrev_co_ci_u32_e32 v29, vcc_lo, 0, v29, vcc_lo
	v_cmp_ne_u32_e32 vcc_lo, 0, v33
	v_cndmask_b32_e64 v32, v43, v32, s1
	s_delay_alu instid0(VALU_DEP_3) | instskip(NEXT) | instid1(VALU_DEP_2)
	v_dual_cndmask_b32 v29, v31, v29 :: v_dual_cndmask_b32 v30, v30, v42
	v_cmp_ne_u32_e32 vcc_lo, 0, v32
	s_delay_alu instid0(VALU_DEP_2) | instskip(NEXT) | instid1(VALU_DEP_1)
	v_dual_cndmask_b32 v28, v28, v30 :: v_dual_cndmask_b32 v13, v13, v29
	v_xor_b32_e32 v28, v28, v44
	s_delay_alu instid0(VALU_DEP_2) | instskip(NEXT) | instid1(VALU_DEP_2)
	v_xor_b32_e32 v13, v13, v44
	v_sub_co_u32 v30, vcc_lo, v28, v44
	s_delay_alu instid0(VALU_DEP_2)
	v_sub_co_ci_u32_e32 v31, vcc_lo, v13, v44, vcc_lo
                                        ; implicit-def: $vgpr28_vgpr29
.LBB62_48:                              ;   in Loop: Header=BB62_33 Depth=2
	s_and_not1_saveexec_b32 s1, s35
	s_cbranch_execz .LBB62_31
; %bb.49:                               ;   in Loop: Header=BB62_33 Depth=2
	v_cvt_f32_u32_e32 v13, s8
	s_sub_i32 s19, 0, s8
	v_mov_b32_e32 v31, v12
	s_delay_alu instid0(VALU_DEP_2) | instskip(SKIP_2) | instid1(VALU_DEP_1)
	v_rcp_iflag_f32_e32 v13, v13
	s_waitcnt_depctr 0xfff
	v_mul_f32_e32 v13, 0x4f7ffffe, v13
	v_cvt_u32_f32_e32 v13, v13
	s_delay_alu instid0(VALU_DEP_1) | instskip(NEXT) | instid1(VALU_DEP_1)
	v_mul_lo_u32 v29, s19, v13
	v_mul_hi_u32 v29, v13, v29
	s_delay_alu instid0(VALU_DEP_1) | instskip(NEXT) | instid1(VALU_DEP_1)
	v_add_nc_u32_e32 v13, v13, v29
	v_mul_hi_u32 v13, v28, v13
	s_delay_alu instid0(VALU_DEP_1) | instskip(NEXT) | instid1(VALU_DEP_1)
	v_mul_lo_u32 v13, v13, s8
	v_sub_nc_u32_e32 v13, v28, v13
	s_delay_alu instid0(VALU_DEP_1) | instskip(SKIP_1) | instid1(VALU_DEP_2)
	v_subrev_nc_u32_e32 v28, s8, v13
	v_cmp_le_u32_e32 vcc_lo, s8, v13
	v_cndmask_b32_e32 v13, v13, v28, vcc_lo
	s_delay_alu instid0(VALU_DEP_1) | instskip(SKIP_1) | instid1(VALU_DEP_2)
	v_subrev_nc_u32_e32 v28, s8, v13
	v_cmp_le_u32_e32 vcc_lo, s8, v13
	v_cndmask_b32_e32 v30, v13, v28, vcc_lo
	s_branch .LBB62_31
.LBB62_50:                              ;   in Loop: Header=BB62_10 Depth=1
	s_add_u32 s20, s8, s18
	s_mov_b32 s19, s18
	s_addc_u32 s21, s9, s18
	s_delay_alu instid0(SALU_CYCLE_1) | instskip(NEXT) | instid1(SALU_CYCLE_1)
	s_xor_b64 s[20:21], s[20:21], s[18:19]
	v_cvt_f32_u32_e32 v13, s20
	v_cvt_f32_u32_e32 v20, s21
	s_sub_u32 s1, 0, s20
	s_subb_u32 s19, 0, s21
	s_delay_alu instid0(VALU_DEP_1) | instskip(NEXT) | instid1(VALU_DEP_1)
	v_fmac_f32_e32 v13, 0x4f800000, v20
	v_rcp_f32_e32 v13, v13
	s_waitcnt_depctr 0xfff
	v_mul_f32_e32 v13, 0x5f7ffffc, v13
	s_delay_alu instid0(VALU_DEP_1) | instskip(NEXT) | instid1(VALU_DEP_1)
	v_mul_f32_e32 v20, 0x2f800000, v13
	v_trunc_f32_e32 v20, v20
	s_delay_alu instid0(VALU_DEP_1) | instskip(SKIP_1) | instid1(VALU_DEP_2)
	v_fmac_f32_e32 v13, 0xcf800000, v20
	v_cvt_u32_f32_e32 v20, v20
	v_cvt_u32_f32_e32 v13, v13
	s_delay_alu instid0(VALU_DEP_2) | instskip(NEXT) | instid1(VALU_DEP_2)
	v_mul_lo_u32 v21, s1, v20
	v_mul_hi_u32 v22, s1, v13
	v_mul_lo_u32 v23, s19, v13
	s_delay_alu instid0(VALU_DEP_2) | instskip(SKIP_1) | instid1(VALU_DEP_2)
	v_add_nc_u32_e32 v21, v22, v21
	v_mul_lo_u32 v22, s1, v13
	v_add_nc_u32_e32 v21, v21, v23
	s_delay_alu instid0(VALU_DEP_2) | instskip(NEXT) | instid1(VALU_DEP_2)
	v_mul_hi_u32 v23, v13, v22
	v_mul_lo_u32 v24, v13, v21
	v_mul_hi_u32 v25, v13, v21
	v_mul_hi_u32 v26, v20, v22
	v_mul_lo_u32 v22, v20, v22
	v_mul_hi_u32 v27, v20, v21
	v_mul_lo_u32 v21, v20, v21
	v_add_co_u32 v23, vcc_lo, v23, v24
	v_add_co_ci_u32_e32 v24, vcc_lo, 0, v25, vcc_lo
	s_delay_alu instid0(VALU_DEP_2) | instskip(NEXT) | instid1(VALU_DEP_2)
	v_add_co_u32 v22, vcc_lo, v23, v22
	v_add_co_ci_u32_e32 v22, vcc_lo, v24, v26, vcc_lo
	v_add_co_ci_u32_e32 v23, vcc_lo, 0, v27, vcc_lo
	v_ashrrev_i32_e32 v26, 31, v19
	s_delay_alu instid0(VALU_DEP_3) | instskip(NEXT) | instid1(VALU_DEP_3)
	v_add_co_u32 v21, vcc_lo, v22, v21
	v_add_co_ci_u32_e32 v22, vcc_lo, 0, v23, vcc_lo
	s_delay_alu instid0(VALU_DEP_2) | instskip(NEXT) | instid1(VALU_DEP_2)
	v_add_co_u32 v13, vcc_lo, v13, v21
	v_add_co_ci_u32_e32 v20, vcc_lo, v20, v22, vcc_lo
	s_delay_alu instid0(VALU_DEP_2) | instskip(SKIP_1) | instid1(VALU_DEP_3)
	v_mul_hi_u32 v21, s1, v13
	v_mul_lo_u32 v23, s19, v13
	v_mul_lo_u32 v22, s1, v20
	s_delay_alu instid0(VALU_DEP_1) | instskip(SKIP_1) | instid1(VALU_DEP_2)
	v_add_nc_u32_e32 v21, v21, v22
	v_mul_lo_u32 v22, s1, v13
	v_add_nc_u32_e32 v21, v21, v23
	s_delay_alu instid0(VALU_DEP_2) | instskip(NEXT) | instid1(VALU_DEP_2)
	v_mul_hi_u32 v23, v13, v22
	v_mul_lo_u32 v24, v13, v21
	v_mul_hi_u32 v25, v13, v21
	v_mul_hi_u32 v27, v20, v22
	v_mul_lo_u32 v22, v20, v22
	v_mul_hi_u32 v28, v20, v21
	v_mul_lo_u32 v21, v20, v21
	v_add_co_u32 v23, vcc_lo, v23, v24
	v_add_co_ci_u32_e32 v24, vcc_lo, 0, v25, vcc_lo
	s_delay_alu instid0(VALU_DEP_2) | instskip(NEXT) | instid1(VALU_DEP_2)
	v_add_co_u32 v22, vcc_lo, v23, v22
	v_add_co_ci_u32_e32 v22, vcc_lo, v24, v27, vcc_lo
	v_add_co_ci_u32_e32 v23, vcc_lo, 0, v28, vcc_lo
	v_add_co_u32 v24, vcc_lo, v18, v26
	v_add_co_ci_u32_e32 v25, vcc_lo, v19, v26, vcc_lo
	s_delay_alu instid0(VALU_DEP_4) | instskip(NEXT) | instid1(VALU_DEP_4)
	v_add_co_u32 v21, vcc_lo, v22, v21
	v_add_co_ci_u32_e32 v22, vcc_lo, 0, v23, vcc_lo
	s_delay_alu instid0(VALU_DEP_4) | instskip(NEXT) | instid1(VALU_DEP_3)
	v_xor_b32_e32 v27, v24, v26
	v_add_co_u32 v13, vcc_lo, v13, v21
	s_delay_alu instid0(VALU_DEP_3) | instskip(SKIP_1) | instid1(VALU_DEP_3)
	v_add_co_ci_u32_e32 v28, vcc_lo, v20, v22, vcc_lo
	v_xor_b32_e32 v29, v25, v26
	v_mul_hi_u32 v30, v27, v13
	s_delay_alu instid0(VALU_DEP_3) | instskip(NEXT) | instid1(VALU_DEP_3)
	v_mad_u64_u32 v[20:21], null, v27, v28, 0
	v_mad_u64_u32 v[22:23], null, v29, v13, 0
	;; [unrolled: 1-line block ×3, first 2 shown]
	s_delay_alu instid0(VALU_DEP_3) | instskip(NEXT) | instid1(VALU_DEP_4)
	v_add_co_u32 v13, vcc_lo, v30, v20
	v_add_co_ci_u32_e32 v20, vcc_lo, 0, v21, vcc_lo
	s_delay_alu instid0(VALU_DEP_2) | instskip(NEXT) | instid1(VALU_DEP_2)
	v_add_co_u32 v13, vcc_lo, v13, v22
	v_add_co_ci_u32_e32 v13, vcc_lo, v20, v23, vcc_lo
	v_add_co_ci_u32_e32 v20, vcc_lo, 0, v25, vcc_lo
	s_delay_alu instid0(VALU_DEP_2) | instskip(NEXT) | instid1(VALU_DEP_2)
	v_add_co_u32 v13, vcc_lo, v13, v24
	v_add_co_ci_u32_e32 v22, vcc_lo, 0, v20, vcc_lo
	s_delay_alu instid0(VALU_DEP_2) | instskip(SKIP_1) | instid1(VALU_DEP_3)
	v_mul_lo_u32 v23, s21, v13
	v_mad_u64_u32 v[20:21], null, s20, v13, 0
	v_mul_lo_u32 v24, s20, v22
	s_delay_alu instid0(VALU_DEP_2) | instskip(NEXT) | instid1(VALU_DEP_2)
	v_sub_co_u32 v20, vcc_lo, v27, v20
	v_add3_u32 v21, v21, v24, v23
	s_delay_alu instid0(VALU_DEP_1) | instskip(NEXT) | instid1(VALU_DEP_1)
	v_sub_nc_u32_e32 v23, v29, v21
	v_subrev_co_ci_u32_e64 v23, s1, s21, v23, vcc_lo
	v_add_co_u32 v24, s1, v13, 2
	s_delay_alu instid0(VALU_DEP_1) | instskip(SKIP_3) | instid1(VALU_DEP_3)
	v_add_co_ci_u32_e64 v25, s1, 0, v22, s1
	v_sub_co_u32 v27, s1, v20, s20
	v_sub_co_ci_u32_e32 v21, vcc_lo, v29, v21, vcc_lo
	v_subrev_co_ci_u32_e64 v23, s1, 0, v23, s1
	v_cmp_le_u32_e32 vcc_lo, s20, v27
	s_delay_alu instid0(VALU_DEP_3) | instskip(SKIP_1) | instid1(VALU_DEP_4)
	v_cmp_eq_u32_e64 s1, s21, v21
	v_cndmask_b32_e64 v27, 0, -1, vcc_lo
	v_cmp_le_u32_e32 vcc_lo, s21, v23
	v_cndmask_b32_e64 v28, 0, -1, vcc_lo
	v_cmp_le_u32_e32 vcc_lo, s20, v20
	;; [unrolled: 2-line block ×3, first 2 shown]
	v_cndmask_b32_e64 v29, 0, -1, vcc_lo
	v_cmp_eq_u32_e32 vcc_lo, s21, v23
	s_delay_alu instid0(VALU_DEP_2) | instskip(SKIP_3) | instid1(VALU_DEP_3)
	v_cndmask_b32_e64 v20, v29, v20, s1
	v_cndmask_b32_e32 v23, v28, v27, vcc_lo
	v_add_co_u32 v27, vcc_lo, v13, 1
	v_add_co_ci_u32_e32 v28, vcc_lo, 0, v22, vcc_lo
	v_cmp_ne_u32_e32 vcc_lo, 0, v23
	s_delay_alu instid0(VALU_DEP_2) | instskip(NEXT) | instid1(VALU_DEP_4)
	v_cndmask_b32_e32 v21, v28, v25, vcc_lo
	v_cndmask_b32_e32 v23, v27, v24, vcc_lo
	v_cmp_ne_u32_e32 vcc_lo, 0, v20
	v_xor_b32_e32 v24, s18, v26
	s_delay_alu instid0(VALU_DEP_3) | instskip(NEXT) | instid1(VALU_DEP_1)
	v_dual_cndmask_b32 v13, v13, v23 :: v_dual_cndmask_b32 v20, v22, v21
	v_xor_b32_e32 v13, v13, v24
	s_delay_alu instid0(VALU_DEP_2) | instskip(NEXT) | instid1(VALU_DEP_2)
	v_xor_b32_e32 v21, v20, v24
	v_sub_co_u32 v20, vcc_lo, v13, v24
	s_delay_alu instid0(VALU_DEP_2)
	v_sub_co_ci_u32_e32 v21, vcc_lo, v21, v24, vcc_lo
	s_and_not1_saveexec_b32 s1, s23
	s_cbranch_execz .LBB62_26
.LBB62_51:                              ;   in Loop: Header=BB62_10 Depth=1
	v_cvt_f32_u32_e32 v13, s8
	s_sub_i32 s19, 0, s8
	s_delay_alu instid0(VALU_DEP_1) | instskip(SKIP_2) | instid1(VALU_DEP_1)
	v_rcp_iflag_f32_e32 v13, v13
	s_waitcnt_depctr 0xfff
	v_mul_f32_e32 v13, 0x4f7ffffe, v13
	v_cvt_u32_f32_e32 v13, v13
	s_delay_alu instid0(VALU_DEP_1) | instskip(NEXT) | instid1(VALU_DEP_1)
	v_mul_lo_u32 v20, s19, v13
	v_mul_hi_u32 v20, v13, v20
	s_delay_alu instid0(VALU_DEP_1) | instskip(NEXT) | instid1(VALU_DEP_1)
	v_add_nc_u32_e32 v13, v13, v20
	v_mul_hi_u32 v13, v18, v13
	s_delay_alu instid0(VALU_DEP_1) | instskip(SKIP_1) | instid1(VALU_DEP_2)
	v_mul_lo_u32 v20, v13, s8
	v_add_nc_u32_e32 v21, 1, v13
	v_sub_nc_u32_e32 v20, v18, v20
	s_delay_alu instid0(VALU_DEP_1) | instskip(SKIP_1) | instid1(VALU_DEP_2)
	v_subrev_nc_u32_e32 v22, s8, v20
	v_cmp_le_u32_e32 vcc_lo, s8, v20
	v_dual_cndmask_b32 v20, v20, v22 :: v_dual_cndmask_b32 v13, v13, v21
	s_delay_alu instid0(VALU_DEP_1) | instskip(NEXT) | instid1(VALU_DEP_2)
	v_cmp_le_u32_e32 vcc_lo, s8, v20
	v_add_nc_u32_e32 v21, 1, v13
	s_delay_alu instid0(VALU_DEP_1) | instskip(SKIP_1) | instid1(SALU_CYCLE_1)
	v_dual_cndmask_b32 v20, v13, v21 :: v_dual_mov_b32 v21, v12
	s_or_b32 exec_lo, exec_lo, s1
	s_mov_b32 s1, exec_lo
	s_delay_alu instid0(VALU_DEP_1)
	v_cmpx_ge_i64_e64 v[20:21], v[16:17]
	s_cbranch_execnz .LBB62_27
	s_branch .LBB62_28
.LBB62_52:
	s_nop 0
	s_sendmsg sendmsg(MSG_DEALLOC_VGPRS)
	s_endpgm
	.section	.rodata,"a",@progbits
	.p2align	6, 0x0
	.amdhsa_kernel _ZN9rocsparseL21csr2bsr_65_inf_kernelILj32EfilEEv20rocsparse_direction_T2_S2_S2_S2_S2_S2_21rocsparse_index_base_PKT0_PKT1_PKS2_S3_PS4_PS7_PS2_SD_SE_SC_
		.amdhsa_group_segment_fixed_size 0
		.amdhsa_private_segment_fixed_size 0
		.amdhsa_kernarg_size 144
		.amdhsa_user_sgpr_count 15
		.amdhsa_user_sgpr_dispatch_ptr 0
		.amdhsa_user_sgpr_queue_ptr 0
		.amdhsa_user_sgpr_kernarg_segment_ptr 1
		.amdhsa_user_sgpr_dispatch_id 0
		.amdhsa_user_sgpr_private_segment_size 0
		.amdhsa_wavefront_size32 1
		.amdhsa_uses_dynamic_stack 0
		.amdhsa_enable_private_segment 0
		.amdhsa_system_sgpr_workgroup_id_x 1
		.amdhsa_system_sgpr_workgroup_id_y 0
		.amdhsa_system_sgpr_workgroup_id_z 0
		.amdhsa_system_sgpr_workgroup_info 0
		.amdhsa_system_vgpr_workitem_id 0
		.amdhsa_next_free_vgpr 52
		.amdhsa_next_free_sgpr 37
		.amdhsa_reserve_vcc 1
		.amdhsa_float_round_mode_32 0
		.amdhsa_float_round_mode_16_64 0
		.amdhsa_float_denorm_mode_32 3
		.amdhsa_float_denorm_mode_16_64 3
		.amdhsa_dx10_clamp 1
		.amdhsa_ieee_mode 1
		.amdhsa_fp16_overflow 0
		.amdhsa_workgroup_processor_mode 1
		.amdhsa_memory_ordered 1
		.amdhsa_forward_progress 0
		.amdhsa_shared_vgpr_count 0
		.amdhsa_exception_fp_ieee_invalid_op 0
		.amdhsa_exception_fp_denorm_src 0
		.amdhsa_exception_fp_ieee_div_zero 0
		.amdhsa_exception_fp_ieee_overflow 0
		.amdhsa_exception_fp_ieee_underflow 0
		.amdhsa_exception_fp_ieee_inexact 0
		.amdhsa_exception_int_div_zero 0
	.end_amdhsa_kernel
	.section	.text._ZN9rocsparseL21csr2bsr_65_inf_kernelILj32EfilEEv20rocsparse_direction_T2_S2_S2_S2_S2_S2_21rocsparse_index_base_PKT0_PKT1_PKS2_S3_PS4_PS7_PS2_SD_SE_SC_,"axG",@progbits,_ZN9rocsparseL21csr2bsr_65_inf_kernelILj32EfilEEv20rocsparse_direction_T2_S2_S2_S2_S2_S2_21rocsparse_index_base_PKT0_PKT1_PKS2_S3_PS4_PS7_PS2_SD_SE_SC_,comdat
.Lfunc_end62:
	.size	_ZN9rocsparseL21csr2bsr_65_inf_kernelILj32EfilEEv20rocsparse_direction_T2_S2_S2_S2_S2_S2_21rocsparse_index_base_PKT0_PKT1_PKS2_S3_PS4_PS7_PS2_SD_SE_SC_, .Lfunc_end62-_ZN9rocsparseL21csr2bsr_65_inf_kernelILj32EfilEEv20rocsparse_direction_T2_S2_S2_S2_S2_S2_21rocsparse_index_base_PKT0_PKT1_PKS2_S3_PS4_PS7_PS2_SD_SE_SC_
                                        ; -- End function
	.section	.AMDGPU.csdata,"",@progbits
; Kernel info:
; codeLenInByte = 6356
; NumSgprs: 39
; NumVgprs: 52
; ScratchSize: 0
; MemoryBound: 0
; FloatMode: 240
; IeeeMode: 1
; LDSByteSize: 0 bytes/workgroup (compile time only)
; SGPRBlocks: 4
; VGPRBlocks: 6
; NumSGPRsForWavesPerEU: 39
; NumVGPRsForWavesPerEU: 52
; Occupancy: 16
; WaveLimiterHint : 1
; COMPUTE_PGM_RSRC2:SCRATCH_EN: 0
; COMPUTE_PGM_RSRC2:USER_SGPR: 15
; COMPUTE_PGM_RSRC2:TRAP_HANDLER: 0
; COMPUTE_PGM_RSRC2:TGID_X_EN: 1
; COMPUTE_PGM_RSRC2:TGID_Y_EN: 0
; COMPUTE_PGM_RSRC2:TGID_Z_EN: 0
; COMPUTE_PGM_RSRC2:TIDIG_COMP_CNT: 0
	.section	.text._ZN9rocsparseL35csr2bsr_block_dim_equals_one_kernelILj256EfllEEvT2_S1_S1_S1_21rocsparse_index_base_PKT0_PKT1_PKS1_S2_PS3_PS6_PS1_,"axG",@progbits,_ZN9rocsparseL35csr2bsr_block_dim_equals_one_kernelILj256EfllEEvT2_S1_S1_S1_21rocsparse_index_base_PKT0_PKT1_PKS1_S2_PS3_PS6_PS1_,comdat
	.globl	_ZN9rocsparseL35csr2bsr_block_dim_equals_one_kernelILj256EfllEEvT2_S1_S1_S1_21rocsparse_index_base_PKT0_PKT1_PKS1_S2_PS3_PS6_PS1_ ; -- Begin function _ZN9rocsparseL35csr2bsr_block_dim_equals_one_kernelILj256EfllEEvT2_S1_S1_S1_21rocsparse_index_base_PKT0_PKT1_PKS1_S2_PS3_PS6_PS1_
	.p2align	8
	.type	_ZN9rocsparseL35csr2bsr_block_dim_equals_one_kernelILj256EfllEEvT2_S1_S1_S1_21rocsparse_index_base_PKT0_PKT1_PKS1_S2_PS3_PS6_PS1_,@function
_ZN9rocsparseL35csr2bsr_block_dim_equals_one_kernelILj256EfllEEvT2_S1_S1_S1_21rocsparse_index_base_PKT0_PKT1_PKS1_S2_PS3_PS6_PS1_: ; @_ZN9rocsparseL35csr2bsr_block_dim_equals_one_kernelILj256EfllEEvT2_S1_S1_S1_21rocsparse_index_base_PKT0_PKT1_PKS1_S2_PS3_PS6_PS1_
; %bb.0:
	s_clause 0x1
	s_load_b64 s[2:3], s[0:1], 0x0
	s_load_b128 s[4:7], s[0:1], 0x28
	v_lshl_or_b32 v0, s15, 8, v0
	v_mov_b32_e32 v1, 0
	s_waitcnt lgkmcnt(0)
	s_lshl_b64 s[2:3], s[2:3], 3
	s_delay_alu instid0(SALU_CYCLE_1)
	s_add_u32 s2, s6, s2
	s_addc_u32 s3, s7, s3
	s_clause 0x1
	s_load_b64 s[2:3], s[2:3], 0x0
	s_load_b64 s[6:7], s[6:7], 0x0
	s_waitcnt lgkmcnt(0)
	s_sub_u32 s2, s2, s6
	s_subb_u32 s3, s3, s7
	s_mov_b32 s6, exec_lo
	v_cmpx_gt_i64_e64 s[2:3], v[0:1]
	s_cbranch_execz .LBB63_3
; %bb.1:
	s_clause 0x5
	s_load_b32 s12, s[0:1], 0x40
	s_load_b64 s[6:7], s[0:1], 0x48
	s_load_b32 s14, s[0:1], 0x20
	s_load_b32 s15, s[0:1], 0x60
	s_load_b64 s[8:9], s[0:1], 0x38
	s_load_b64 s[10:11], s[0:1], 0x58
	v_lshlrev_b64 v[2:3], 2, v[0:1]
	v_lshlrev_b64 v[4:5], 3, v[0:1]
	s_mov_b32 s13, 0
	s_waitcnt lgkmcnt(0)
	s_sub_u32 s18, s12, s14
	s_subb_u32 s19, 0, 0
	s_lshl_b32 s12, s15, 8
	s_delay_alu instid0(SALU_CYCLE_1)
	s_lshl_b64 s[14:15], s[12:13], 2
	s_lshl_b64 s[16:17], s[12:13], 3
	s_set_inst_prefetch_distance 0x1
	.p2align	6
.LBB63_2:                               ; =>This Inner Loop Header: Depth=1
	v_add_co_u32 v6, vcc_lo, s8, v4
	v_add_co_ci_u32_e32 v7, vcc_lo, s9, v5, vcc_lo
	v_add_co_u32 v8, vcc_lo, s4, v2
	v_add_co_ci_u32_e32 v9, vcc_lo, s5, v3, vcc_lo
	global_load_b64 v[6:7], v[6:7], off
	global_load_b32 v12, v[8:9], off
	v_add_co_u32 v8, vcc_lo, s10, v4
	v_add_co_ci_u32_e32 v9, vcc_lo, s11, v5, vcc_lo
	v_add_co_u32 v10, vcc_lo, s6, v2
	v_add_co_ci_u32_e32 v11, vcc_lo, s7, v3, vcc_lo
	;; [unrolled: 2-line block ×4, first 2 shown]
	s_delay_alu instid0(VALU_DEP_3) | instskip(SKIP_2) | instid1(VALU_DEP_3)
	v_cmp_le_i64_e64 s0, s[2:3], v[0:1]
	v_add_co_u32 v4, vcc_lo, v4, s16
	v_add_co_ci_u32_e32 v5, vcc_lo, s17, v5, vcc_lo
	s_or_b32 s13, s0, s13
	s_waitcnt vmcnt(1)
	v_add_co_u32 v6, s1, s18, v6
	s_delay_alu instid0(VALU_DEP_1)
	v_add_co_ci_u32_e64 v7, s1, s19, v7, s1
	s_waitcnt vmcnt(0)
	global_store_b32 v[10:11], v12, off
	global_store_b64 v[8:9], v[6:7], off
	s_and_not1_b32 exec_lo, exec_lo, s13
	s_cbranch_execnz .LBB63_2
.LBB63_3:
	s_set_inst_prefetch_distance 0x2
	s_nop 0
	s_sendmsg sendmsg(MSG_DEALLOC_VGPRS)
	s_endpgm
	.section	.rodata,"a",@progbits
	.p2align	6, 0x0
	.amdhsa_kernel _ZN9rocsparseL35csr2bsr_block_dim_equals_one_kernelILj256EfllEEvT2_S1_S1_S1_21rocsparse_index_base_PKT0_PKT1_PKS1_S2_PS3_PS6_PS1_
		.amdhsa_group_segment_fixed_size 0
		.amdhsa_private_segment_fixed_size 0
		.amdhsa_kernarg_size 352
		.amdhsa_user_sgpr_count 15
		.amdhsa_user_sgpr_dispatch_ptr 0
		.amdhsa_user_sgpr_queue_ptr 0
		.amdhsa_user_sgpr_kernarg_segment_ptr 1
		.amdhsa_user_sgpr_dispatch_id 0
		.amdhsa_user_sgpr_private_segment_size 0
		.amdhsa_wavefront_size32 1
		.amdhsa_uses_dynamic_stack 0
		.amdhsa_enable_private_segment 0
		.amdhsa_system_sgpr_workgroup_id_x 1
		.amdhsa_system_sgpr_workgroup_id_y 0
		.amdhsa_system_sgpr_workgroup_id_z 0
		.amdhsa_system_sgpr_workgroup_info 0
		.amdhsa_system_vgpr_workitem_id 0
		.amdhsa_next_free_vgpr 13
		.amdhsa_next_free_sgpr 20
		.amdhsa_reserve_vcc 1
		.amdhsa_float_round_mode_32 0
		.amdhsa_float_round_mode_16_64 0
		.amdhsa_float_denorm_mode_32 3
		.amdhsa_float_denorm_mode_16_64 3
		.amdhsa_dx10_clamp 1
		.amdhsa_ieee_mode 1
		.amdhsa_fp16_overflow 0
		.amdhsa_workgroup_processor_mode 1
		.amdhsa_memory_ordered 1
		.amdhsa_forward_progress 0
		.amdhsa_shared_vgpr_count 0
		.amdhsa_exception_fp_ieee_invalid_op 0
		.amdhsa_exception_fp_denorm_src 0
		.amdhsa_exception_fp_ieee_div_zero 0
		.amdhsa_exception_fp_ieee_overflow 0
		.amdhsa_exception_fp_ieee_underflow 0
		.amdhsa_exception_fp_ieee_inexact 0
		.amdhsa_exception_int_div_zero 0
	.end_amdhsa_kernel
	.section	.text._ZN9rocsparseL35csr2bsr_block_dim_equals_one_kernelILj256EfllEEvT2_S1_S1_S1_21rocsparse_index_base_PKT0_PKT1_PKS1_S2_PS3_PS6_PS1_,"axG",@progbits,_ZN9rocsparseL35csr2bsr_block_dim_equals_one_kernelILj256EfllEEvT2_S1_S1_S1_21rocsparse_index_base_PKT0_PKT1_PKS1_S2_PS3_PS6_PS1_,comdat
.Lfunc_end63:
	.size	_ZN9rocsparseL35csr2bsr_block_dim_equals_one_kernelILj256EfllEEvT2_S1_S1_S1_21rocsparse_index_base_PKT0_PKT1_PKS1_S2_PS3_PS6_PS1_, .Lfunc_end63-_ZN9rocsparseL35csr2bsr_block_dim_equals_one_kernelILj256EfllEEvT2_S1_S1_S1_21rocsparse_index_base_PKT0_PKT1_PKS1_S2_PS3_PS6_PS1_
                                        ; -- End function
	.section	.AMDGPU.csdata,"",@progbits
; Kernel info:
; codeLenInByte = 388
; NumSgprs: 22
; NumVgprs: 13
; ScratchSize: 0
; MemoryBound: 0
; FloatMode: 240
; IeeeMode: 1
; LDSByteSize: 0 bytes/workgroup (compile time only)
; SGPRBlocks: 2
; VGPRBlocks: 1
; NumSGPRsForWavesPerEU: 22
; NumVGPRsForWavesPerEU: 13
; Occupancy: 16
; WaveLimiterHint : 0
; COMPUTE_PGM_RSRC2:SCRATCH_EN: 0
; COMPUTE_PGM_RSRC2:USER_SGPR: 15
; COMPUTE_PGM_RSRC2:TRAP_HANDLER: 0
; COMPUTE_PGM_RSRC2:TGID_X_EN: 1
; COMPUTE_PGM_RSRC2:TGID_Y_EN: 0
; COMPUTE_PGM_RSRC2:TGID_Z_EN: 0
; COMPUTE_PGM_RSRC2:TIDIG_COMP_CNT: 0
	.section	.text._ZN9rocsparseL42csr2bsr_wavefront_per_row_multipass_kernelILj256ELj16ELj4EfllEEv20rocsparse_direction_T4_S2_S2_S2_S2_21rocsparse_index_base_PKT2_PKT3_PKS2_S3_PS4_PS7_PS2_,"axG",@progbits,_ZN9rocsparseL42csr2bsr_wavefront_per_row_multipass_kernelILj256ELj16ELj4EfllEEv20rocsparse_direction_T4_S2_S2_S2_S2_21rocsparse_index_base_PKT2_PKT3_PKS2_S3_PS4_PS7_PS2_,comdat
	.globl	_ZN9rocsparseL42csr2bsr_wavefront_per_row_multipass_kernelILj256ELj16ELj4EfllEEv20rocsparse_direction_T4_S2_S2_S2_S2_21rocsparse_index_base_PKT2_PKT3_PKS2_S3_PS4_PS7_PS2_ ; -- Begin function _ZN9rocsparseL42csr2bsr_wavefront_per_row_multipass_kernelILj256ELj16ELj4EfllEEv20rocsparse_direction_T4_S2_S2_S2_S2_21rocsparse_index_base_PKT2_PKT3_PKS2_S3_PS4_PS7_PS2_
	.p2align	8
	.type	_ZN9rocsparseL42csr2bsr_wavefront_per_row_multipass_kernelILj256ELj16ELj4EfllEEv20rocsparse_direction_T4_S2_S2_S2_S2_21rocsparse_index_base_PKT2_PKT3_PKS2_S3_PS4_PS7_PS2_,@function
_ZN9rocsparseL42csr2bsr_wavefront_per_row_multipass_kernelILj256ELj16ELj4EfllEEv20rocsparse_direction_T4_S2_S2_S2_S2_21rocsparse_index_base_PKT2_PKT3_PKS2_S3_PS4_PS7_PS2_: ; @_ZN9rocsparseL42csr2bsr_wavefront_per_row_multipass_kernelILj256ELj16ELj4EfllEEv20rocsparse_direction_T4_S2_S2_S2_S2_21rocsparse_index_base_PKT2_PKT3_PKS2_S3_PS4_PS7_PS2_
; %bb.0:
	s_load_b64 s[8:9], s[0:1], 0x28
	v_lshrrev_b32_e32 v24, 4, v0
	s_mov_b32 s10, s15
	s_ashr_i32 s11, s15, 31
	s_clause 0x1
	s_load_b64 s[14:15], s[0:1], 0x8
	s_load_b128 s[4:7], s[0:1], 0x18
	s_lshl_b64 s[2:3], s[10:11], 4
	v_mov_b32_e32 v9, 0
	v_or_b32_e32 v1, s2, v24
	v_bfe_u32 v8, v0, 2, 2
	s_clause 0x1
	s_load_b32 s16, s[0:1], 0x30
	s_load_b64 s[12:13], s[0:1], 0x40
	s_waitcnt lgkmcnt(0)
	v_mul_lo_u32 v2, v1, s9
	v_mad_u64_u32 v[3:4], null, v1, s8, v[8:9]
	s_mul_i32 s2, s3, s8
	s_delay_alu instid0(VALU_DEP_1) | instid1(SALU_CYCLE_1)
	v_add3_u32 v4, s2, v4, v2
	v_mov_b32_e32 v1, 0
	v_mov_b32_e32 v2, 0
	v_cmp_gt_i64_e64 s2, s[8:9], v[8:9]
	s_delay_alu instid0(VALU_DEP_4) | instskip(NEXT) | instid1(VALU_DEP_3)
	v_cmp_gt_i64_e32 vcc_lo, s[14:15], v[3:4]
	v_dual_mov_b32 v14, v2 :: v_dual_mov_b32 v13, v1
	s_delay_alu instid0(VALU_DEP_3) | instskip(NEXT) | instid1(SALU_CYCLE_1)
	s_and_b32 s3, s2, vcc_lo
	s_and_saveexec_b32 s11, s3
	s_cbranch_execz .LBB64_2
; %bb.1:
	v_lshlrev_b64 v[5:6], 3, v[3:4]
	s_delay_alu instid0(VALU_DEP_1) | instskip(NEXT) | instid1(VALU_DEP_2)
	v_add_co_u32 v5, vcc_lo, s12, v5
	v_add_co_ci_u32_e32 v6, vcc_lo, s13, v6, vcc_lo
	global_load_b64 v[5:6], v[5:6], off
	s_waitcnt vmcnt(0)
	v_sub_co_u32 v13, vcc_lo, v5, s16
	v_subrev_co_ci_u32_e32 v14, vcc_lo, 0, v6, vcc_lo
.LBB64_2:
	s_or_b32 exec_lo, exec_lo, s11
	s_and_saveexec_b32 s11, s3
	s_cbranch_execz .LBB64_4
; %bb.3:
	v_lshlrev_b64 v[1:2], 3, v[3:4]
	s_delay_alu instid0(VALU_DEP_1) | instskip(NEXT) | instid1(VALU_DEP_2)
	v_add_co_u32 v1, vcc_lo, s12, v1
	v_add_co_ci_u32_e32 v2, vcc_lo, s13, v2, vcc_lo
	global_load_b64 v[1:2], v[1:2], off offset:8
	s_waitcnt vmcnt(0)
	v_sub_co_u32 v1, vcc_lo, v1, s16
	v_subrev_co_ci_u32_e32 v2, vcc_lo, 0, v2, vcc_lo
.LBB64_4:
	s_or_b32 exec_lo, exec_lo, s11
	s_load_b32 s17, s[0:1], 0x50
	v_dual_mov_b32 v6, 0 :: v_dual_mov_b32 v3, 0
	v_lshl_or_b32 v5, s10, 4, v24
	v_mov_b32_e32 v4, 0
	s_mov_b32 s3, exec_lo
	s_delay_alu instid0(VALU_DEP_2)
	v_cmpx_gt_i64_e64 s[4:5], v[5:6]
	s_cbranch_execz .LBB64_6
; %bb.5:
	s_load_b64 s[4:5], s[0:1], 0x60
	v_lshlrev_b64 v[3:4], 3, v[5:6]
	s_waitcnt lgkmcnt(0)
	s_delay_alu instid0(VALU_DEP_1) | instskip(NEXT) | instid1(VALU_DEP_2)
	v_add_co_u32 v3, vcc_lo, s4, v3
	v_add_co_ci_u32_e32 v4, vcc_lo, s5, v4, vcc_lo
	global_load_b64 v[3:4], v[3:4], off
	s_waitcnt vmcnt(0)
	v_sub_co_u32 v3, vcc_lo, v3, s17
	v_subrev_co_ci_u32_e32 v4, vcc_lo, 0, v4, vcc_lo
.LBB64_6:
	s_or_b32 exec_lo, exec_lo, s3
	v_cmp_lt_i64_e64 s3, s[6:7], 1
	s_delay_alu instid0(VALU_DEP_1)
	s_and_b32 vcc_lo, exec_lo, s3
	s_cbranch_vccnz .LBB64_25
; %bb.7:
	v_mbcnt_lo_u32_b32 v18, -1, 0
	s_clause 0x4
	s_load_b64 s[4:5], s[0:1], 0x68
	s_load_b64 s[14:15], s[0:1], 0x58
	;; [unrolled: 1-line block ×4, first 2 shown]
	s_load_b32 s0, s[0:1], 0x0
	s_mov_b32 s1, 0
	s_mul_i32 s20, s8, s8
	v_xor_b32_e32 v15, 2, v18
	v_xor_b32_e32 v19, 1, v18
	v_mov_b32_e32 v33, 1
	s_delay_alu instid0(VALU_DEP_3) | instskip(SKIP_1) | instid1(VALU_DEP_1)
	v_cmp_gt_i32_e32 vcc_lo, 32, v15
	v_and_b32_e32 v5, 3, v0
	v_mad_u64_u32 v[9:10], null, v5, s8, 0
	s_delay_alu instid0(VALU_DEP_1) | instskip(NEXT) | instid1(VALU_DEP_1)
	v_dual_mov_b32 v6, v10 :: v_dual_lshlrev_b32 v17, 2, v8
	v_and_or_b32 v0, 0x3f0, v0, v17
	v_dual_cndmask_b32 v10, v18, v15 :: v_dual_mov_b32 v7, 0
	v_cmp_gt_i32_e32 vcc_lo, 32, v19
	s_delay_alu instid0(VALU_DEP_3) | instskip(NEXT) | instid1(VALU_DEP_3)
	v_or_b32_e32 v11, v0, v5
	v_lshlrev_b32_e32 v26, 2, v10
	s_delay_alu instid0(VALU_DEP_4) | instskip(NEXT) | instid1(VALU_DEP_3)
	v_mad_u64_u32 v[15:16], null, v5, s9, v[6:7]
	v_dual_mov_b32 v6, v7 :: v_dual_lshlrev_b32 v25, 2, v11
	v_mad_u64_u32 v[11:12], null, v8, s8, 0
	v_cndmask_b32_e32 v19, v18, v19, vcc_lo
	s_delay_alu instid0(VALU_DEP_3) | instskip(SKIP_1) | instid1(VALU_DEP_4)
	v_cmp_gt_i64_e32 vcc_lo, s[8:9], v[5:6]
	v_mov_b32_e32 v10, v15
	v_mad_u64_u32 v[15:16], null, v8, s9, v[12:13]
	s_delay_alu instid0(VALU_DEP_2)
	v_lshlrev_b64 v[8:9], 2, v[9:10]
	s_and_b32 s18, s2, vcc_lo
	s_waitcnt lgkmcnt(0)
	s_cmp_eq_u32 s0, 0
	s_mul_i32 s0, s8, s9
	s_mul_hi_u32 s2, s8, s8
	s_delay_alu instid0(VALU_DEP_2) | instskip(SKIP_2) | instid1(VALU_DEP_3)
	v_mov_b32_e32 v12, v15
	v_add_co_u32 v10, vcc_lo, s14, v8
	v_add_co_ci_u32_e32 v15, vcc_lo, s15, v9, vcc_lo
	v_lshlrev_b64 v[8:9], 2, v[11:12]
	s_delay_alu instid0(VALU_DEP_3) | instskip(NEXT) | instid1(VALU_DEP_3)
	v_add_co_u32 v10, vcc_lo, v10, v17
	v_add_co_ci_u32_e32 v11, vcc_lo, 0, v15, vcc_lo
	v_lshlrev_b32_e32 v12, 2, v5
	s_delay_alu instid0(VALU_DEP_4) | instskip(SKIP_2) | instid1(VALU_DEP_3)
	v_add_co_u32 v8, vcc_lo, s14, v8
	v_add_co_ci_u32_e32 v9, vcc_lo, s15, v9, vcc_lo
	v_xor_b32_e32 v15, 8, v18
	v_add_co_u32 v8, vcc_lo, v8, v12
	s_delay_alu instid0(VALU_DEP_3) | instskip(SKIP_1) | instid1(VALU_DEP_4)
	v_add_co_ci_u32_e32 v9, vcc_lo, 0, v9, vcc_lo
	v_xor_b32_e32 v17, 4, v18
	v_cmp_gt_i32_e32 vcc_lo, 32, v15
	v_cndmask_b32_e32 v12, v18, v15, vcc_lo
	s_delay_alu instid0(VALU_DEP_3) | instskip(SKIP_1) | instid1(VALU_DEP_3)
	v_cmp_gt_i32_e32 vcc_lo, 32, v17
	v_lshlrev_b32_e32 v6, 2, v19
	v_dual_cndmask_b32 v15, v18, v17 :: v_dual_lshlrev_b32 v28, 2, v12
	s_cselect_b32 vcc_lo, -1, 0
	v_dual_cndmask_b32 v31, v11, v9 :: v_dual_lshlrev_b32 v16, 2, v18
	v_dual_cndmask_b32 v32, v10, v8 :: v_dual_mov_b32 v9, 0
	s_delay_alu instid0(VALU_DEP_3) | instskip(NEXT) | instid1(VALU_DEP_3)
	v_lshlrev_b32_e32 v29, 2, v15
	v_or_b32_e32 v27, 12, v16
	v_or_b32_e32 v30, 60, v16
	v_mov_b32_e32 v10, 0
	s_add_i32 s2, s2, s0
	s_sub_i32 s21, 0, s8
	s_add_i32 s19, s2, s0
	s_ashr_i32 s2, s9, 31
	s_branch .LBB64_10
.LBB64_8:                               ;   in Loop: Header=BB64_10 Depth=1
	s_or_b32 exec_lo, exec_lo, s3
	v_mov_b32_e32 v15, 1
	v_mov_b32_e32 v16, 0
.LBB64_9:                               ;   in Loop: Header=BB64_10 Depth=1
	s_or_b32 exec_lo, exec_lo, s0
	ds_bpermute_b32 v8, v28, v11
	ds_bpermute_b32 v9, v28, v12
	v_add_co_u32 v3, s0, v15, v3
	s_delay_alu instid0(VALU_DEP_1)
	v_add_co_ci_u32_e64 v4, s0, v16, v4, s0
	s_waitcnt lgkmcnt(0)
	s_waitcnt_vscnt null, 0x0
	buffer_gl0_inv
	buffer_gl0_inv
	v_cmp_lt_i64_e32 vcc_lo, v[8:9], v[11:12]
	v_dual_cndmask_b32 v9, v12, v9 :: v_dual_cndmask_b32 v8, v11, v8
	ds_bpermute_b32 v11, v29, v9
	ds_bpermute_b32 v10, v29, v8
	s_waitcnt lgkmcnt(0)
	v_cmp_lt_i64_e32 vcc_lo, v[10:11], v[8:9]
	v_dual_cndmask_b32 v9, v9, v11 :: v_dual_cndmask_b32 v8, v8, v10
	ds_bpermute_b32 v11, v26, v9
	ds_bpermute_b32 v10, v26, v8
	s_waitcnt lgkmcnt(0)
	;; [unrolled: 5-line block ×4, first 2 shown]
	v_cmp_le_i64_e32 vcc_lo, s[6:7], v[9:10]
	s_or_b32 s1, vcc_lo, s1
	s_delay_alu instid0(SALU_CYCLE_1)
	s_and_not1_b32 exec_lo, exec_lo, s1
	s_cbranch_execz .LBB64_25
.LBB64_10:                              ; =>This Loop Header: Depth=1
                                        ;     Child Loop BB64_13 Depth 2
	v_add_co_u32 v13, vcc_lo, v13, v5
	v_add_co_ci_u32_e32 v14, vcc_lo, 0, v14, vcc_lo
	v_dual_mov_b32 v12, s7 :: v_dual_mov_b32 v11, s6
	v_dual_mov_b32 v23, v2 :: v_dual_mov_b32 v22, v1
	s_mov_b32 s22, exec_lo
	ds_store_b8 v24, v7 offset:1024
	ds_store_b32 v25, v7
	s_waitcnt lgkmcnt(0)
	buffer_gl0_inv
	v_cmpx_lt_i64_e64 v[13:14], v[1:2]
	s_cbranch_execz .LBB64_22
; %bb.11:                               ;   in Loop: Header=BB64_10 Depth=1
	v_lshlrev_b64 v[11:12], 2, v[13:14]
	v_lshlrev_b64 v[18:19], 3, v[13:14]
	v_mad_u64_u32 v[15:16], null, v9, s8, 0
	v_dual_mov_b32 v21, v2 :: v_dual_mov_b32 v20, v1
	s_delay_alu instid0(VALU_DEP_4)
	v_add_co_u32 v16, vcc_lo, s12, v11
	v_add_co_ci_u32_e32 v17, vcc_lo, s13, v12, vcc_lo
	v_add_co_u32 v18, vcc_lo, s10, v18
	v_add_co_ci_u32_e32 v19, vcc_lo, s11, v19, vcc_lo
	v_dual_mov_b32 v12, s7 :: v_dual_mov_b32 v11, s6
	s_mov_b32 s23, 0
	s_branch .LBB64_13
.LBB64_12:                              ;   in Loop: Header=BB64_13 Depth=2
	s_or_b32 exec_lo, exec_lo, s0
	v_add_co_u32 v13, s0, v13, 4
	s_delay_alu instid0(VALU_DEP_1) | instskip(SKIP_2) | instid1(VALU_DEP_2)
	v_add_co_ci_u32_e64 v14, s0, 0, v14, s0
	s_xor_b32 s3, vcc_lo, -1
	v_add_co_u32 v16, vcc_lo, v16, 16
	v_cmp_ge_i64_e64 s0, v[13:14], v[1:2]
	v_add_co_ci_u32_e32 v17, vcc_lo, 0, v17, vcc_lo
	v_add_co_u32 v18, vcc_lo, v18, 32
	v_add_co_ci_u32_e32 v19, vcc_lo, 0, v19, vcc_lo
	s_delay_alu instid0(VALU_DEP_4) | instskip(SKIP_2) | instid1(SALU_CYCLE_1)
	s_or_b32 s0, s3, s0
	v_dual_mov_b32 v20, v22 :: v_dual_mov_b32 v21, v23
	s_and_b32 s0, exec_lo, s0
	s_or_b32 s23, s0, s23
	s_delay_alu instid0(SALU_CYCLE_1)
	s_and_not1_b32 exec_lo, exec_lo, s23
	s_cbranch_execz .LBB64_21
.LBB64_13:                              ;   Parent Loop BB64_10 Depth=1
                                        ; =>  This Inner Loop Header: Depth=2
	global_load_b64 v[22:23], v[18:19], off
	s_mov_b32 s0, exec_lo
	s_waitcnt vmcnt(0)
	v_sub_co_u32 v34, vcc_lo, v22, s16
	v_subrev_co_ci_u32_e32 v35, vcc_lo, 0, v23, vcc_lo
                                        ; implicit-def: $vgpr22_vgpr23
	s_delay_alu instid0(VALU_DEP_1) | instskip(NEXT) | instid1(VALU_DEP_1)
	v_or_b32_e32 v8, s9, v35
	v_cmpx_ne_u64_e32 0, v[7:8]
	s_xor_b32 s24, exec_lo, s0
	s_cbranch_execz .LBB64_15
; %bb.14:                               ;   in Loop: Header=BB64_13 Depth=2
	s_add_u32 s14, s8, s2
	s_mov_b32 s3, s2
	s_addc_u32 s15, s9, s2
	s_delay_alu instid0(SALU_CYCLE_1) | instskip(NEXT) | instid1(SALU_CYCLE_1)
	s_xor_b64 s[14:15], s[14:15], s[2:3]
	v_cvt_f32_u32_e32 v8, s14
	v_cvt_f32_u32_e32 v22, s15
	s_sub_u32 s0, 0, s14
	s_subb_u32 s3, 0, s15
	s_delay_alu instid0(VALU_DEP_1) | instskip(NEXT) | instid1(VALU_DEP_1)
	v_fmac_f32_e32 v8, 0x4f800000, v22
	v_rcp_f32_e32 v8, v8
	s_waitcnt_depctr 0xfff
	v_mul_f32_e32 v8, 0x5f7ffffc, v8
	s_delay_alu instid0(VALU_DEP_1) | instskip(NEXT) | instid1(VALU_DEP_1)
	v_mul_f32_e32 v22, 0x2f800000, v8
	v_trunc_f32_e32 v22, v22
	s_delay_alu instid0(VALU_DEP_1) | instskip(SKIP_1) | instid1(VALU_DEP_2)
	v_fmac_f32_e32 v8, 0xcf800000, v22
	v_cvt_u32_f32_e32 v22, v22
	v_cvt_u32_f32_e32 v8, v8
	s_delay_alu instid0(VALU_DEP_2) | instskip(NEXT) | instid1(VALU_DEP_2)
	v_mul_lo_u32 v23, s0, v22
	v_mul_hi_u32 v36, s0, v8
	v_mul_lo_u32 v37, s3, v8
	s_delay_alu instid0(VALU_DEP_2) | instskip(SKIP_1) | instid1(VALU_DEP_2)
	v_add_nc_u32_e32 v23, v36, v23
	v_mul_lo_u32 v36, s0, v8
	v_add_nc_u32_e32 v23, v23, v37
	s_delay_alu instid0(VALU_DEP_2) | instskip(NEXT) | instid1(VALU_DEP_2)
	v_mul_hi_u32 v37, v8, v36
	v_mul_lo_u32 v38, v8, v23
	v_mul_hi_u32 v39, v8, v23
	v_mul_hi_u32 v40, v22, v36
	v_mul_lo_u32 v36, v22, v36
	v_mul_hi_u32 v41, v22, v23
	v_mul_lo_u32 v23, v22, v23
	v_add_co_u32 v37, vcc_lo, v37, v38
	v_add_co_ci_u32_e32 v38, vcc_lo, 0, v39, vcc_lo
	s_delay_alu instid0(VALU_DEP_2) | instskip(NEXT) | instid1(VALU_DEP_2)
	v_add_co_u32 v36, vcc_lo, v37, v36
	v_add_co_ci_u32_e32 v36, vcc_lo, v38, v40, vcc_lo
	v_add_co_ci_u32_e32 v37, vcc_lo, 0, v41, vcc_lo
	v_ashrrev_i32_e32 v40, 31, v35
	s_delay_alu instid0(VALU_DEP_3) | instskip(NEXT) | instid1(VALU_DEP_3)
	v_add_co_u32 v23, vcc_lo, v36, v23
	v_add_co_ci_u32_e32 v36, vcc_lo, 0, v37, vcc_lo
	s_delay_alu instid0(VALU_DEP_2) | instskip(NEXT) | instid1(VALU_DEP_2)
	v_add_co_u32 v8, vcc_lo, v8, v23
	v_add_co_ci_u32_e32 v22, vcc_lo, v22, v36, vcc_lo
	s_delay_alu instid0(VALU_DEP_2) | instskip(SKIP_1) | instid1(VALU_DEP_3)
	v_mul_hi_u32 v23, s0, v8
	v_mul_lo_u32 v37, s3, v8
	v_mul_lo_u32 v36, s0, v22
	s_delay_alu instid0(VALU_DEP_1) | instskip(SKIP_1) | instid1(VALU_DEP_2)
	v_add_nc_u32_e32 v23, v23, v36
	v_mul_lo_u32 v36, s0, v8
	v_add_nc_u32_e32 v23, v23, v37
	s_delay_alu instid0(VALU_DEP_2) | instskip(NEXT) | instid1(VALU_DEP_2)
	v_mul_hi_u32 v37, v8, v36
	v_mul_lo_u32 v38, v8, v23
	v_mul_hi_u32 v39, v8, v23
	v_mul_hi_u32 v41, v22, v36
	v_mul_lo_u32 v36, v22, v36
	v_mul_hi_u32 v42, v22, v23
	v_mul_lo_u32 v23, v22, v23
	v_add_co_u32 v37, vcc_lo, v37, v38
	v_add_co_ci_u32_e32 v38, vcc_lo, 0, v39, vcc_lo
	s_delay_alu instid0(VALU_DEP_2) | instskip(NEXT) | instid1(VALU_DEP_2)
	v_add_co_u32 v36, vcc_lo, v37, v36
	v_add_co_ci_u32_e32 v36, vcc_lo, v38, v41, vcc_lo
	v_add_co_ci_u32_e32 v37, vcc_lo, 0, v42, vcc_lo
	v_add_co_u32 v38, vcc_lo, v34, v40
	v_add_co_ci_u32_e32 v35, vcc_lo, v35, v40, vcc_lo
	s_delay_alu instid0(VALU_DEP_4) | instskip(NEXT) | instid1(VALU_DEP_4)
	v_add_co_u32 v23, vcc_lo, v36, v23
	v_add_co_ci_u32_e32 v36, vcc_lo, 0, v37, vcc_lo
	s_delay_alu instid0(VALU_DEP_4) | instskip(NEXT) | instid1(VALU_DEP_3)
	v_xor_b32_e32 v39, v38, v40
	v_add_co_u32 v8, vcc_lo, v8, v23
	s_delay_alu instid0(VALU_DEP_3) | instskip(SKIP_1) | instid1(VALU_DEP_3)
	v_add_co_ci_u32_e32 v41, vcc_lo, v22, v36, vcc_lo
	v_xor_b32_e32 v42, v35, v40
	v_mul_hi_u32 v43, v39, v8
	s_delay_alu instid0(VALU_DEP_3) | instskip(NEXT) | instid1(VALU_DEP_3)
	v_mad_u64_u32 v[22:23], null, v39, v41, 0
	v_mad_u64_u32 v[35:36], null, v42, v8, 0
	;; [unrolled: 1-line block ×3, first 2 shown]
	s_delay_alu instid0(VALU_DEP_3) | instskip(NEXT) | instid1(VALU_DEP_4)
	v_add_co_u32 v8, vcc_lo, v43, v22
	v_add_co_ci_u32_e32 v22, vcc_lo, 0, v23, vcc_lo
	s_delay_alu instid0(VALU_DEP_2) | instskip(NEXT) | instid1(VALU_DEP_2)
	v_add_co_u32 v8, vcc_lo, v8, v35
	v_add_co_ci_u32_e32 v8, vcc_lo, v22, v36, vcc_lo
	v_add_co_ci_u32_e32 v22, vcc_lo, 0, v38, vcc_lo
	s_delay_alu instid0(VALU_DEP_2) | instskip(NEXT) | instid1(VALU_DEP_2)
	v_add_co_u32 v8, vcc_lo, v8, v37
	v_add_co_ci_u32_e32 v35, vcc_lo, 0, v22, vcc_lo
	s_delay_alu instid0(VALU_DEP_2) | instskip(SKIP_1) | instid1(VALU_DEP_3)
	v_mul_lo_u32 v36, s15, v8
	v_mad_u64_u32 v[22:23], null, s14, v8, 0
	v_mul_lo_u32 v37, s14, v35
	s_delay_alu instid0(VALU_DEP_2) | instskip(NEXT) | instid1(VALU_DEP_2)
	v_sub_co_u32 v22, vcc_lo, v39, v22
	v_add3_u32 v23, v23, v37, v36
	s_delay_alu instid0(VALU_DEP_1) | instskip(NEXT) | instid1(VALU_DEP_1)
	v_sub_nc_u32_e32 v36, v42, v23
	v_subrev_co_ci_u32_e64 v36, s0, s15, v36, vcc_lo
	v_add_co_u32 v37, s0, v8, 2
	s_delay_alu instid0(VALU_DEP_1) | instskip(SKIP_3) | instid1(VALU_DEP_3)
	v_add_co_ci_u32_e64 v38, s0, 0, v35, s0
	v_sub_co_u32 v39, s0, v22, s14
	v_sub_co_ci_u32_e32 v23, vcc_lo, v42, v23, vcc_lo
	v_subrev_co_ci_u32_e64 v36, s0, 0, v36, s0
	v_cmp_le_u32_e32 vcc_lo, s14, v39
	s_delay_alu instid0(VALU_DEP_3) | instskip(SKIP_1) | instid1(VALU_DEP_4)
	v_cmp_eq_u32_e64 s0, s15, v23
	v_cndmask_b32_e64 v39, 0, -1, vcc_lo
	v_cmp_le_u32_e32 vcc_lo, s15, v36
	v_cndmask_b32_e64 v41, 0, -1, vcc_lo
	v_cmp_le_u32_e32 vcc_lo, s14, v22
	;; [unrolled: 2-line block ×3, first 2 shown]
	v_cndmask_b32_e64 v42, 0, -1, vcc_lo
	v_cmp_eq_u32_e32 vcc_lo, s15, v36
	s_delay_alu instid0(VALU_DEP_2) | instskip(SKIP_3) | instid1(VALU_DEP_3)
	v_cndmask_b32_e64 v22, v42, v22, s0
	v_cndmask_b32_e32 v36, v41, v39, vcc_lo
	v_add_co_u32 v39, vcc_lo, v8, 1
	v_add_co_ci_u32_e32 v41, vcc_lo, 0, v35, vcc_lo
	v_cmp_ne_u32_e32 vcc_lo, 0, v36
	s_delay_alu instid0(VALU_DEP_2) | instskip(SKIP_2) | instid1(VALU_DEP_3)
	v_dual_cndmask_b32 v23, v41, v38 :: v_dual_cndmask_b32 v36, v39, v37
	v_cmp_ne_u32_e32 vcc_lo, 0, v22
	v_xor_b32_e32 v37, s2, v40
	v_cndmask_b32_e32 v8, v8, v36, vcc_lo
	s_delay_alu instid0(VALU_DEP_4) | instskip(NEXT) | instid1(VALU_DEP_2)
	v_cndmask_b32_e32 v22, v35, v23, vcc_lo
	v_xor_b32_e32 v8, v8, v37
	s_delay_alu instid0(VALU_DEP_2) | instskip(NEXT) | instid1(VALU_DEP_2)
	v_xor_b32_e32 v23, v22, v37
	v_sub_co_u32 v22, vcc_lo, v8, v37
	s_delay_alu instid0(VALU_DEP_2)
	v_sub_co_ci_u32_e32 v23, vcc_lo, v23, v37, vcc_lo
.LBB64_15:                              ;   in Loop: Header=BB64_13 Depth=2
	s_and_not1_saveexec_b32 s0, s24
	s_cbranch_execz .LBB64_17
; %bb.16:                               ;   in Loop: Header=BB64_13 Depth=2
	v_cvt_f32_u32_e32 v8, s8
	s_delay_alu instid0(VALU_DEP_1) | instskip(SKIP_2) | instid1(VALU_DEP_1)
	v_rcp_iflag_f32_e32 v8, v8
	s_waitcnt_depctr 0xfff
	v_mul_f32_e32 v8, 0x4f7ffffe, v8
	v_cvt_u32_f32_e32 v8, v8
	s_delay_alu instid0(VALU_DEP_1) | instskip(NEXT) | instid1(VALU_DEP_1)
	v_mul_lo_u32 v22, s21, v8
	v_mul_hi_u32 v22, v8, v22
	s_delay_alu instid0(VALU_DEP_1) | instskip(NEXT) | instid1(VALU_DEP_1)
	v_add_nc_u32_e32 v8, v8, v22
	v_mul_hi_u32 v8, v34, v8
	s_delay_alu instid0(VALU_DEP_1) | instskip(NEXT) | instid1(VALU_DEP_1)
	v_mul_lo_u32 v22, v8, s8
	v_sub_nc_u32_e32 v22, v34, v22
	s_delay_alu instid0(VALU_DEP_1) | instskip(SKIP_1) | instid1(VALU_DEP_2)
	v_subrev_nc_u32_e32 v35, s8, v22
	v_cmp_le_u32_e32 vcc_lo, s8, v22
	v_dual_cndmask_b32 v22, v22, v35 :: v_dual_add_nc_u32 v23, 1, v8
	s_delay_alu instid0(VALU_DEP_1) | instskip(NEXT) | instid1(VALU_DEP_2)
	v_cndmask_b32_e32 v8, v8, v23, vcc_lo
	v_cmp_le_u32_e32 vcc_lo, s8, v22
	s_delay_alu instid0(VALU_DEP_2) | instskip(NEXT) | instid1(VALU_DEP_1)
	v_add_nc_u32_e32 v23, 1, v8
	v_dual_cndmask_b32 v22, v8, v23 :: v_dual_mov_b32 v23, v7
.LBB64_17:                              ;   in Loop: Header=BB64_13 Depth=2
	s_or_b32 exec_lo, exec_lo, s0
	s_delay_alu instid0(VALU_DEP_1)
	v_cmp_eq_u64_e32 vcc_lo, v[22:23], v[9:10]
	s_mov_b32 s3, exec_lo
	v_cmpx_ne_u64_e64 v[22:23], v[9:10]
	s_xor_b32 s3, exec_lo, s3
; %bb.18:                               ;   in Loop: Header=BB64_13 Depth=2
	v_cmp_lt_i64_e64 s0, v[22:23], v[11:12]
                                        ; implicit-def: $vgpr34
                                        ; implicit-def: $vgpr20_vgpr21
	s_delay_alu instid0(VALU_DEP_1)
	v_cndmask_b32_e64 v12, v12, v23, s0
	v_cndmask_b32_e64 v11, v11, v22, s0
; %bb.19:                               ;   in Loop: Header=BB64_13 Depth=2
	s_or_saveexec_b32 s0, s3
	v_dual_mov_b32 v23, v14 :: v_dual_mov_b32 v22, v13
	s_xor_b32 exec_lo, exec_lo, s0
	s_cbranch_execz .LBB64_12
; %bb.20:                               ;   in Loop: Header=BB64_13 Depth=2
	global_load_b32 v8, v[16:17], off
	v_sub_nc_u32_e32 v22, v34, v15
	s_delay_alu instid0(VALU_DEP_1)
	v_add_lshl_u32 v34, v0, v22, 2
	v_dual_mov_b32 v23, v21 :: v_dual_mov_b32 v22, v20
	ds_store_b8 v24, v33 offset:1024
	s_waitcnt vmcnt(0)
	ds_store_b32 v34, v8
	s_branch .LBB64_12
.LBB64_21:                              ;   in Loop: Header=BB64_10 Depth=1
	s_or_b32 exec_lo, exec_lo, s23
.LBB64_22:                              ;   in Loop: Header=BB64_10 Depth=1
	s_delay_alu instid0(SALU_CYCLE_1)
	s_or_b32 exec_lo, exec_lo, s22
	ds_bpermute_b32 v13, v26, v22
	ds_bpermute_b32 v14, v26, v23
	s_waitcnt lgkmcnt(0)
	buffer_gl0_inv
	ds_load_u8 v8, v24 offset:1024
	s_mov_b32 s0, exec_lo
	v_cmp_lt_i64_e32 vcc_lo, v[13:14], v[22:23]
	s_waitcnt lgkmcnt(0)
	v_and_b32_e32 v8, 1, v8
	v_dual_cndmask_b32 v14, v23, v14 :: v_dual_cndmask_b32 v13, v22, v13
	ds_bpermute_b32 v16, v6, v14
	ds_bpermute_b32 v15, v6, v13
	s_waitcnt lgkmcnt(0)
	v_cmp_lt_i64_e32 vcc_lo, v[15:16], v[13:14]
	v_dual_cndmask_b32 v14, v14, v16 :: v_dual_cndmask_b32 v13, v13, v15
	v_mov_b32_e32 v15, 0
	v_mov_b32_e32 v16, 0
	ds_bpermute_b32 v14, v27, v14
	ds_bpermute_b32 v13, v27, v13
	v_cmpx_eq_u32_e32 1, v8
	s_cbranch_execz .LBB64_9
; %bb.23:                               ;   in Loop: Header=BB64_10 Depth=1
	v_lshlrev_b64 v[15:16], 3, v[3:4]
	v_add_co_u32 v8, vcc_lo, v9, s17
	v_add_co_ci_u32_e32 v9, vcc_lo, 0, v10, vcc_lo
	s_delay_alu instid0(VALU_DEP_3) | instskip(NEXT) | instid1(VALU_DEP_4)
	v_add_co_u32 v15, vcc_lo, s4, v15
	v_add_co_ci_u32_e32 v16, vcc_lo, s5, v16, vcc_lo
	global_store_b64 v[15:16], v[8:9], off
	s_and_saveexec_b32 s3, s18
	s_cbranch_execz .LBB64_8
; %bb.24:                               ;   in Loop: Header=BB64_10 Depth=1
	v_mul_lo_u32 v10, s19, v3
	v_mul_lo_u32 v15, s20, v4
	v_mad_u64_u32 v[8:9], null, s20, v3, 0
	ds_load_b32 v16, v25
	v_add3_u32 v9, v9, v15, v10
	s_delay_alu instid0(VALU_DEP_1) | instskip(NEXT) | instid1(VALU_DEP_1)
	v_lshlrev_b64 v[8:9], 2, v[8:9]
	v_add_co_u32 v8, vcc_lo, v32, v8
	s_delay_alu instid0(VALU_DEP_2)
	v_add_co_ci_u32_e32 v9, vcc_lo, v31, v9, vcc_lo
	s_waitcnt lgkmcnt(0)
	global_store_b32 v[8:9], v16, off
	s_branch .LBB64_8
.LBB64_25:
	s_endpgm
	.section	.rodata,"a",@progbits
	.p2align	6, 0x0
	.amdhsa_kernel _ZN9rocsparseL42csr2bsr_wavefront_per_row_multipass_kernelILj256ELj16ELj4EfllEEv20rocsparse_direction_T4_S2_S2_S2_S2_21rocsparse_index_base_PKT2_PKT3_PKS2_S3_PS4_PS7_PS2_
		.amdhsa_group_segment_fixed_size 1040
		.amdhsa_private_segment_fixed_size 0
		.amdhsa_kernarg_size 112
		.amdhsa_user_sgpr_count 15
		.amdhsa_user_sgpr_dispatch_ptr 0
		.amdhsa_user_sgpr_queue_ptr 0
		.amdhsa_user_sgpr_kernarg_segment_ptr 1
		.amdhsa_user_sgpr_dispatch_id 0
		.amdhsa_user_sgpr_private_segment_size 0
		.amdhsa_wavefront_size32 1
		.amdhsa_uses_dynamic_stack 0
		.amdhsa_enable_private_segment 0
		.amdhsa_system_sgpr_workgroup_id_x 1
		.amdhsa_system_sgpr_workgroup_id_y 0
		.amdhsa_system_sgpr_workgroup_id_z 0
		.amdhsa_system_sgpr_workgroup_info 0
		.amdhsa_system_vgpr_workitem_id 0
		.amdhsa_next_free_vgpr 44
		.amdhsa_next_free_sgpr 25
		.amdhsa_reserve_vcc 1
		.amdhsa_float_round_mode_32 0
		.amdhsa_float_round_mode_16_64 0
		.amdhsa_float_denorm_mode_32 3
		.amdhsa_float_denorm_mode_16_64 3
		.amdhsa_dx10_clamp 1
		.amdhsa_ieee_mode 1
		.amdhsa_fp16_overflow 0
		.amdhsa_workgroup_processor_mode 1
		.amdhsa_memory_ordered 1
		.amdhsa_forward_progress 0
		.amdhsa_shared_vgpr_count 0
		.amdhsa_exception_fp_ieee_invalid_op 0
		.amdhsa_exception_fp_denorm_src 0
		.amdhsa_exception_fp_ieee_div_zero 0
		.amdhsa_exception_fp_ieee_overflow 0
		.amdhsa_exception_fp_ieee_underflow 0
		.amdhsa_exception_fp_ieee_inexact 0
		.amdhsa_exception_int_div_zero 0
	.end_amdhsa_kernel
	.section	.text._ZN9rocsparseL42csr2bsr_wavefront_per_row_multipass_kernelILj256ELj16ELj4EfllEEv20rocsparse_direction_T4_S2_S2_S2_S2_21rocsparse_index_base_PKT2_PKT3_PKS2_S3_PS4_PS7_PS2_,"axG",@progbits,_ZN9rocsparseL42csr2bsr_wavefront_per_row_multipass_kernelILj256ELj16ELj4EfllEEv20rocsparse_direction_T4_S2_S2_S2_S2_21rocsparse_index_base_PKT2_PKT3_PKS2_S3_PS4_PS7_PS2_,comdat
.Lfunc_end64:
	.size	_ZN9rocsparseL42csr2bsr_wavefront_per_row_multipass_kernelILj256ELj16ELj4EfllEEv20rocsparse_direction_T4_S2_S2_S2_S2_21rocsparse_index_base_PKT2_PKT3_PKS2_S3_PS4_PS7_PS2_, .Lfunc_end64-_ZN9rocsparseL42csr2bsr_wavefront_per_row_multipass_kernelILj256ELj16ELj4EfllEEv20rocsparse_direction_T4_S2_S2_S2_S2_21rocsparse_index_base_PKT2_PKT3_PKS2_S3_PS4_PS7_PS2_
                                        ; -- End function
	.section	.AMDGPU.csdata,"",@progbits
; Kernel info:
; codeLenInByte = 2688
; NumSgprs: 27
; NumVgprs: 44
; ScratchSize: 0
; MemoryBound: 0
; FloatMode: 240
; IeeeMode: 1
; LDSByteSize: 1040 bytes/workgroup (compile time only)
; SGPRBlocks: 3
; VGPRBlocks: 5
; NumSGPRsForWavesPerEU: 27
; NumVGPRsForWavesPerEU: 44
; Occupancy: 16
; WaveLimiterHint : 0
; COMPUTE_PGM_RSRC2:SCRATCH_EN: 0
; COMPUTE_PGM_RSRC2:USER_SGPR: 15
; COMPUTE_PGM_RSRC2:TRAP_HANDLER: 0
; COMPUTE_PGM_RSRC2:TGID_X_EN: 1
; COMPUTE_PGM_RSRC2:TGID_Y_EN: 0
; COMPUTE_PGM_RSRC2:TGID_Z_EN: 0
; COMPUTE_PGM_RSRC2:TIDIG_COMP_CNT: 0
	.section	.text._ZN9rocsparseL42csr2bsr_wavefront_per_row_multipass_kernelILj256ELj64ELj8EfllEEv20rocsparse_direction_T4_S2_S2_S2_S2_21rocsparse_index_base_PKT2_PKT3_PKS2_S3_PS4_PS7_PS2_,"axG",@progbits,_ZN9rocsparseL42csr2bsr_wavefront_per_row_multipass_kernelILj256ELj64ELj8EfllEEv20rocsparse_direction_T4_S2_S2_S2_S2_21rocsparse_index_base_PKT2_PKT3_PKS2_S3_PS4_PS7_PS2_,comdat
	.globl	_ZN9rocsparseL42csr2bsr_wavefront_per_row_multipass_kernelILj256ELj64ELj8EfllEEv20rocsparse_direction_T4_S2_S2_S2_S2_21rocsparse_index_base_PKT2_PKT3_PKS2_S3_PS4_PS7_PS2_ ; -- Begin function _ZN9rocsparseL42csr2bsr_wavefront_per_row_multipass_kernelILj256ELj64ELj8EfllEEv20rocsparse_direction_T4_S2_S2_S2_S2_21rocsparse_index_base_PKT2_PKT3_PKS2_S3_PS4_PS7_PS2_
	.p2align	8
	.type	_ZN9rocsparseL42csr2bsr_wavefront_per_row_multipass_kernelILj256ELj64ELj8EfllEEv20rocsparse_direction_T4_S2_S2_S2_S2_21rocsparse_index_base_PKT2_PKT3_PKS2_S3_PS4_PS7_PS2_,@function
_ZN9rocsparseL42csr2bsr_wavefront_per_row_multipass_kernelILj256ELj64ELj8EfllEEv20rocsparse_direction_T4_S2_S2_S2_S2_21rocsparse_index_base_PKT2_PKT3_PKS2_S3_PS4_PS7_PS2_: ; @_ZN9rocsparseL42csr2bsr_wavefront_per_row_multipass_kernelILj256ELj64ELj8EfllEEv20rocsparse_direction_T4_S2_S2_S2_S2_21rocsparse_index_base_PKT2_PKT3_PKS2_S3_PS4_PS7_PS2_
; %bb.0:
	s_load_b64 s[8:9], s[0:1], 0x28
	v_lshrrev_b32_e32 v24, 6, v0
	s_mov_b32 s10, s15
	s_ashr_i32 s11, s15, 31
	s_clause 0x1
	s_load_b64 s[14:15], s[0:1], 0x8
	s_load_b128 s[4:7], s[0:1], 0x18
	s_lshl_b64 s[2:3], s[10:11], 2
	v_mov_b32_e32 v9, 0
	v_or_b32_e32 v1, s2, v24
	v_bfe_u32 v8, v0, 3, 3
	s_clause 0x1
	s_load_b32 s16, s[0:1], 0x30
	s_load_b64 s[12:13], s[0:1], 0x40
	s_waitcnt lgkmcnt(0)
	v_mul_lo_u32 v2, v1, s9
	v_mad_u64_u32 v[3:4], null, v1, s8, v[8:9]
	s_mul_i32 s2, s3, s8
	s_delay_alu instid0(VALU_DEP_1) | instid1(SALU_CYCLE_1)
	v_add3_u32 v4, s2, v4, v2
	v_mov_b32_e32 v1, 0
	v_mov_b32_e32 v2, 0
	v_cmp_gt_i64_e64 s2, s[8:9], v[8:9]
	s_delay_alu instid0(VALU_DEP_4) | instskip(NEXT) | instid1(VALU_DEP_3)
	v_cmp_gt_i64_e32 vcc_lo, s[14:15], v[3:4]
	v_dual_mov_b32 v14, v2 :: v_dual_mov_b32 v13, v1
	s_delay_alu instid0(VALU_DEP_3) | instskip(NEXT) | instid1(SALU_CYCLE_1)
	s_and_b32 s3, s2, vcc_lo
	s_and_saveexec_b32 s11, s3
	s_cbranch_execz .LBB65_2
; %bb.1:
	v_lshlrev_b64 v[5:6], 3, v[3:4]
	s_delay_alu instid0(VALU_DEP_1) | instskip(NEXT) | instid1(VALU_DEP_2)
	v_add_co_u32 v5, vcc_lo, s12, v5
	v_add_co_ci_u32_e32 v6, vcc_lo, s13, v6, vcc_lo
	global_load_b64 v[5:6], v[5:6], off
	s_waitcnt vmcnt(0)
	v_sub_co_u32 v13, vcc_lo, v5, s16
	v_subrev_co_ci_u32_e32 v14, vcc_lo, 0, v6, vcc_lo
.LBB65_2:
	s_or_b32 exec_lo, exec_lo, s11
	s_and_saveexec_b32 s11, s3
	s_cbranch_execz .LBB65_4
; %bb.3:
	v_lshlrev_b64 v[1:2], 3, v[3:4]
	s_delay_alu instid0(VALU_DEP_1) | instskip(NEXT) | instid1(VALU_DEP_2)
	v_add_co_u32 v1, vcc_lo, s12, v1
	v_add_co_ci_u32_e32 v2, vcc_lo, s13, v2, vcc_lo
	global_load_b64 v[1:2], v[1:2], off offset:8
	s_waitcnt vmcnt(0)
	v_sub_co_u32 v1, vcc_lo, v1, s16
	v_subrev_co_ci_u32_e32 v2, vcc_lo, 0, v2, vcc_lo
.LBB65_4:
	s_or_b32 exec_lo, exec_lo, s11
	s_load_b32 s17, s[0:1], 0x50
	v_dual_mov_b32 v6, 0 :: v_dual_mov_b32 v3, 0
	v_lshl_or_b32 v5, s10, 2, v24
	v_mov_b32_e32 v4, 0
	s_mov_b32 s3, exec_lo
	s_delay_alu instid0(VALU_DEP_2)
	v_cmpx_gt_i64_e64 s[4:5], v[5:6]
	s_cbranch_execz .LBB65_6
; %bb.5:
	s_load_b64 s[4:5], s[0:1], 0x60
	v_lshlrev_b64 v[3:4], 3, v[5:6]
	s_waitcnt lgkmcnt(0)
	s_delay_alu instid0(VALU_DEP_1) | instskip(NEXT) | instid1(VALU_DEP_2)
	v_add_co_u32 v3, vcc_lo, s4, v3
	v_add_co_ci_u32_e32 v4, vcc_lo, s5, v4, vcc_lo
	global_load_b64 v[3:4], v[3:4], off
	s_waitcnt vmcnt(0)
	v_sub_co_u32 v3, vcc_lo, v3, s17
	v_subrev_co_ci_u32_e32 v4, vcc_lo, 0, v4, vcc_lo
.LBB65_6:
	s_or_b32 exec_lo, exec_lo, s3
	v_cmp_lt_i64_e64 s3, s[6:7], 1
	s_delay_alu instid0(VALU_DEP_1)
	s_and_b32 vcc_lo, exec_lo, s3
	s_cbranch_vccnz .LBB65_25
; %bb.7:
	v_dual_mov_b32 v7, 0 :: v_dual_and_b32 v6, 0x3c0, v0
	v_mbcnt_lo_u32_b32 v18, -1, 0
	v_and_b32_e32 v5, 7, v0
	v_mad_u64_u32 v[11:12], null, v8, s8, 0
	s_delay_alu instid0(VALU_DEP_4) | instskip(NEXT) | instid1(VALU_DEP_4)
	v_lshl_or_b32 v0, v8, 3, v6
	v_xor_b32_e32 v15, 4, v18
	v_xor_b32_e32 v20, 2, v18
	s_clause 0x4
	s_load_b64 s[4:5], s[0:1], 0x68
	s_load_b64 s[14:15], s[0:1], 0x58
	;; [unrolled: 1-line block ×4, first 2 shown]
	s_load_b32 s0, s[0:1], 0x0
	v_or_b32_e32 v6, v0, v5
	v_cmp_gt_i32_e32 vcc_lo, 32, v15
	v_lshl_or_b32 v28, v18, 2, 28
	v_bfrev_b32_e32 v32, 0.5
	s_mov_b32 s1, 0
	s_mul_i32 s20, s8, s8
	v_cndmask_b32_e32 v19, v18, v15, vcc_lo
	v_cmp_gt_i32_e32 vcc_lo, 32, v20
	v_dual_mov_b32 v6, v7 :: v_dual_lshlrev_b32 v25, 2, v6
	v_mad_u64_u32 v[9:10], null, v5, s8, 0
	v_mov_b32_e32 v35, 1
	s_delay_alu instid0(VALU_DEP_2) | instskip(SKIP_4) | instid1(VALU_DEP_4)
	v_mad_u64_u32 v[15:16], null, v5, s9, v[10:11]
	v_xor_b32_e32 v10, 1, v18
	v_mad_u64_u32 v[16:17], null, v8, s9, v[12:13]
	v_cndmask_b32_e32 v12, v18, v20, vcc_lo
	v_lshlrev_b32_e32 v8, 2, v8
	v_cmp_gt_i32_e32 vcc_lo, 32, v10
	s_delay_alu instid0(VALU_DEP_3) | instskip(SKIP_3) | instid1(VALU_DEP_4)
	v_dual_cndmask_b32 v17, v18, v10 :: v_dual_lshlrev_b32 v26, 2, v12
	v_mov_b32_e32 v10, v15
	v_cmp_gt_i64_e32 vcc_lo, s[8:9], v[5:6]
	v_lshlrev_b32_e32 v6, 2, v19
	v_dual_mov_b32 v12, v16 :: v_dual_lshlrev_b32 v27, 2, v17
	s_delay_alu instid0(VALU_DEP_4) | instskip(SKIP_2) | instid1(VALU_DEP_3)
	v_lshlrev_b64 v[9:10], 2, v[9:10]
	v_xor_b32_e32 v16, 8, v18
	s_and_b32 s18, s2, vcc_lo
	v_lshlrev_b64 v[11:12], 2, v[11:12]
	s_waitcnt lgkmcnt(0)
	s_cmp_eq_u32 s0, 0
	s_mul_i32 s2, s8, s9
	v_add_co_u32 v9, vcc_lo, s14, v9
	v_add_co_ci_u32_e32 v10, vcc_lo, s15, v10, vcc_lo
	v_add_co_u32 v11, vcc_lo, s14, v11
	v_add_co_ci_u32_e32 v12, vcc_lo, s15, v12, vcc_lo
	s_delay_alu instid0(VALU_DEP_4) | instskip(SKIP_3) | instid1(VALU_DEP_2)
	v_add_co_u32 v8, vcc_lo, v9, v8
	v_lshlrev_b32_e32 v15, 2, v5
	v_add_co_ci_u32_e32 v9, vcc_lo, 0, v10, vcc_lo
	s_mul_hi_u32 s0, s8, s8
	v_add_co_u32 v10, vcc_lo, v11, v15
	v_add_co_ci_u32_e32 v11, vcc_lo, 0, v12, vcc_lo
	v_or_b32_e32 v12, 32, v18
	s_cselect_b32 vcc_lo, -1, 0
	v_xor_b32_e32 v15, 16, v18
	v_cndmask_b32_e32 v34, v8, v10, vcc_lo
	s_add_i32 s3, s0, s2
	v_cmp_gt_i32_e64 s0, 32, v12
	v_cndmask_b32_e32 v33, v9, v11, vcc_lo
	v_mov_b32_e32 v9, 0
	v_mov_b32_e32 v10, 0
	s_add_i32 s19, s3, s2
	v_cndmask_b32_e64 v12, v18, v12, s0
	v_cmp_gt_i32_e64 s0, 32, v15
	s_ashr_i32 s2, s9, 31
	s_sub_i32 s21, 0, s8
	s_delay_alu instid0(VALU_DEP_2) | instskip(NEXT) | instid1(VALU_DEP_2)
	v_lshlrev_b32_e32 v29, 2, v12
	v_cndmask_b32_e64 v15, v18, v15, s0
	v_cmp_gt_i32_e64 s0, 32, v16
	s_delay_alu instid0(VALU_DEP_2) | instskip(NEXT) | instid1(VALU_DEP_2)
	v_lshlrev_b32_e32 v30, 2, v15
	v_cndmask_b32_e64 v16, v18, v16, s0
	s_delay_alu instid0(VALU_DEP_1)
	v_lshlrev_b32_e32 v31, 2, v16
	s_branch .LBB65_10
.LBB65_8:                               ;   in Loop: Header=BB65_10 Depth=1
	s_or_b32 exec_lo, exec_lo, s3
	v_mov_b32_e32 v15, 1
	v_mov_b32_e32 v16, 0
.LBB65_9:                               ;   in Loop: Header=BB65_10 Depth=1
	s_or_b32 exec_lo, exec_lo, s0
	ds_bpermute_b32 v8, v29, v11
	ds_bpermute_b32 v9, v29, v12
	v_add_co_u32 v3, s0, v15, v3
	s_delay_alu instid0(VALU_DEP_1)
	v_add_co_ci_u32_e64 v4, s0, v16, v4, s0
	s_waitcnt lgkmcnt(0)
	s_waitcnt_vscnt null, 0x0
	buffer_gl0_inv
	buffer_gl0_inv
	v_cmp_lt_i64_e32 vcc_lo, v[8:9], v[11:12]
	v_dual_cndmask_b32 v9, v12, v9 :: v_dual_cndmask_b32 v8, v11, v8
	ds_bpermute_b32 v11, v30, v9
	ds_bpermute_b32 v10, v30, v8
	s_waitcnt lgkmcnt(0)
	v_cmp_lt_i64_e32 vcc_lo, v[10:11], v[8:9]
	v_dual_cndmask_b32 v9, v9, v11 :: v_dual_cndmask_b32 v8, v8, v10
	ds_bpermute_b32 v11, v31, v9
	ds_bpermute_b32 v10, v31, v8
	s_waitcnt lgkmcnt(0)
	;; [unrolled: 5-line block ×6, first 2 shown]
	v_cmp_le_i64_e32 vcc_lo, s[6:7], v[9:10]
	s_or_b32 s1, vcc_lo, s1
	s_delay_alu instid0(SALU_CYCLE_1)
	s_and_not1_b32 exec_lo, exec_lo, s1
	s_cbranch_execz .LBB65_25
.LBB65_10:                              ; =>This Loop Header: Depth=1
                                        ;     Child Loop BB65_13 Depth 2
	v_add_co_u32 v13, vcc_lo, v13, v5
	v_add_co_ci_u32_e32 v14, vcc_lo, 0, v14, vcc_lo
	v_dual_mov_b32 v12, s7 :: v_dual_mov_b32 v11, s6
	v_dual_mov_b32 v23, v2 :: v_dual_mov_b32 v22, v1
	s_mov_b32 s22, exec_lo
	ds_store_b8 v24, v7 offset:1024
	ds_store_b32 v25, v7
	s_waitcnt lgkmcnt(0)
	buffer_gl0_inv
	v_cmpx_lt_i64_e64 v[13:14], v[1:2]
	s_cbranch_execz .LBB65_22
; %bb.11:                               ;   in Loop: Header=BB65_10 Depth=1
	v_lshlrev_b64 v[11:12], 2, v[13:14]
	v_lshlrev_b64 v[18:19], 3, v[13:14]
	v_mad_u64_u32 v[15:16], null, v9, s8, 0
	v_dual_mov_b32 v21, v2 :: v_dual_mov_b32 v20, v1
	s_delay_alu instid0(VALU_DEP_4)
	v_add_co_u32 v16, vcc_lo, s12, v11
	v_add_co_ci_u32_e32 v17, vcc_lo, s13, v12, vcc_lo
	v_add_co_u32 v18, vcc_lo, s10, v18
	v_add_co_ci_u32_e32 v19, vcc_lo, s11, v19, vcc_lo
	v_dual_mov_b32 v12, s7 :: v_dual_mov_b32 v11, s6
	s_mov_b32 s23, 0
	s_branch .LBB65_13
.LBB65_12:                              ;   in Loop: Header=BB65_13 Depth=2
	s_or_b32 exec_lo, exec_lo, s0
	v_add_co_u32 v13, s0, v13, 8
	s_delay_alu instid0(VALU_DEP_1) | instskip(SKIP_2) | instid1(VALU_DEP_2)
	v_add_co_ci_u32_e64 v14, s0, 0, v14, s0
	s_xor_b32 s3, vcc_lo, -1
	v_add_co_u32 v16, vcc_lo, v16, 32
	v_cmp_ge_i64_e64 s0, v[13:14], v[1:2]
	v_add_co_ci_u32_e32 v17, vcc_lo, 0, v17, vcc_lo
	v_add_co_u32 v18, vcc_lo, v18, 64
	v_add_co_ci_u32_e32 v19, vcc_lo, 0, v19, vcc_lo
	s_delay_alu instid0(VALU_DEP_4) | instskip(SKIP_2) | instid1(SALU_CYCLE_1)
	s_or_b32 s0, s3, s0
	v_dual_mov_b32 v20, v22 :: v_dual_mov_b32 v21, v23
	s_and_b32 s0, exec_lo, s0
	s_or_b32 s23, s0, s23
	s_delay_alu instid0(SALU_CYCLE_1)
	s_and_not1_b32 exec_lo, exec_lo, s23
	s_cbranch_execz .LBB65_21
.LBB65_13:                              ;   Parent Loop BB65_10 Depth=1
                                        ; =>  This Inner Loop Header: Depth=2
	global_load_b64 v[22:23], v[18:19], off
	s_mov_b32 s0, exec_lo
	s_waitcnt vmcnt(0)
	v_sub_co_u32 v36, vcc_lo, v22, s16
	v_subrev_co_ci_u32_e32 v37, vcc_lo, 0, v23, vcc_lo
                                        ; implicit-def: $vgpr22_vgpr23
	s_delay_alu instid0(VALU_DEP_1) | instskip(NEXT) | instid1(VALU_DEP_1)
	v_or_b32_e32 v8, s9, v37
	v_cmpx_ne_u64_e32 0, v[7:8]
	s_xor_b32 s24, exec_lo, s0
	s_cbranch_execz .LBB65_15
; %bb.14:                               ;   in Loop: Header=BB65_13 Depth=2
	s_add_u32 s14, s8, s2
	s_mov_b32 s3, s2
	s_addc_u32 s15, s9, s2
	s_delay_alu instid0(SALU_CYCLE_1) | instskip(NEXT) | instid1(SALU_CYCLE_1)
	s_xor_b64 s[14:15], s[14:15], s[2:3]
	v_cvt_f32_u32_e32 v8, s14
	v_cvt_f32_u32_e32 v22, s15
	s_sub_u32 s0, 0, s14
	s_subb_u32 s3, 0, s15
	s_delay_alu instid0(VALU_DEP_1) | instskip(NEXT) | instid1(VALU_DEP_1)
	v_fmac_f32_e32 v8, 0x4f800000, v22
	v_rcp_f32_e32 v8, v8
	s_waitcnt_depctr 0xfff
	v_mul_f32_e32 v8, 0x5f7ffffc, v8
	s_delay_alu instid0(VALU_DEP_1) | instskip(NEXT) | instid1(VALU_DEP_1)
	v_mul_f32_e32 v22, 0x2f800000, v8
	v_trunc_f32_e32 v22, v22
	s_delay_alu instid0(VALU_DEP_1) | instskip(SKIP_1) | instid1(VALU_DEP_2)
	v_fmac_f32_e32 v8, 0xcf800000, v22
	v_cvt_u32_f32_e32 v22, v22
	v_cvt_u32_f32_e32 v8, v8
	s_delay_alu instid0(VALU_DEP_2) | instskip(NEXT) | instid1(VALU_DEP_2)
	v_mul_lo_u32 v23, s0, v22
	v_mul_hi_u32 v38, s0, v8
	v_mul_lo_u32 v39, s3, v8
	s_delay_alu instid0(VALU_DEP_2) | instskip(SKIP_1) | instid1(VALU_DEP_2)
	v_add_nc_u32_e32 v23, v38, v23
	v_mul_lo_u32 v38, s0, v8
	v_add_nc_u32_e32 v23, v23, v39
	s_delay_alu instid0(VALU_DEP_2) | instskip(NEXT) | instid1(VALU_DEP_2)
	v_mul_hi_u32 v39, v8, v38
	v_mul_lo_u32 v40, v8, v23
	v_mul_hi_u32 v41, v8, v23
	v_mul_hi_u32 v42, v22, v38
	v_mul_lo_u32 v38, v22, v38
	v_mul_hi_u32 v43, v22, v23
	v_mul_lo_u32 v23, v22, v23
	v_add_co_u32 v39, vcc_lo, v39, v40
	v_add_co_ci_u32_e32 v40, vcc_lo, 0, v41, vcc_lo
	s_delay_alu instid0(VALU_DEP_2) | instskip(NEXT) | instid1(VALU_DEP_2)
	v_add_co_u32 v38, vcc_lo, v39, v38
	v_add_co_ci_u32_e32 v38, vcc_lo, v40, v42, vcc_lo
	v_add_co_ci_u32_e32 v39, vcc_lo, 0, v43, vcc_lo
	v_ashrrev_i32_e32 v42, 31, v37
	s_delay_alu instid0(VALU_DEP_3) | instskip(NEXT) | instid1(VALU_DEP_3)
	v_add_co_u32 v23, vcc_lo, v38, v23
	v_add_co_ci_u32_e32 v38, vcc_lo, 0, v39, vcc_lo
	s_delay_alu instid0(VALU_DEP_2) | instskip(NEXT) | instid1(VALU_DEP_2)
	v_add_co_u32 v8, vcc_lo, v8, v23
	v_add_co_ci_u32_e32 v22, vcc_lo, v22, v38, vcc_lo
	s_delay_alu instid0(VALU_DEP_2) | instskip(SKIP_1) | instid1(VALU_DEP_3)
	v_mul_hi_u32 v23, s0, v8
	v_mul_lo_u32 v39, s3, v8
	v_mul_lo_u32 v38, s0, v22
	s_delay_alu instid0(VALU_DEP_1) | instskip(SKIP_1) | instid1(VALU_DEP_2)
	v_add_nc_u32_e32 v23, v23, v38
	v_mul_lo_u32 v38, s0, v8
	v_add_nc_u32_e32 v23, v23, v39
	s_delay_alu instid0(VALU_DEP_2) | instskip(NEXT) | instid1(VALU_DEP_2)
	v_mul_hi_u32 v39, v8, v38
	v_mul_lo_u32 v40, v8, v23
	v_mul_hi_u32 v41, v8, v23
	v_mul_hi_u32 v43, v22, v38
	v_mul_lo_u32 v38, v22, v38
	v_mul_hi_u32 v44, v22, v23
	v_mul_lo_u32 v23, v22, v23
	v_add_co_u32 v39, vcc_lo, v39, v40
	v_add_co_ci_u32_e32 v40, vcc_lo, 0, v41, vcc_lo
	s_delay_alu instid0(VALU_DEP_2) | instskip(NEXT) | instid1(VALU_DEP_2)
	v_add_co_u32 v38, vcc_lo, v39, v38
	v_add_co_ci_u32_e32 v38, vcc_lo, v40, v43, vcc_lo
	v_add_co_ci_u32_e32 v39, vcc_lo, 0, v44, vcc_lo
	v_add_co_u32 v40, vcc_lo, v36, v42
	v_add_co_ci_u32_e32 v37, vcc_lo, v37, v42, vcc_lo
	s_delay_alu instid0(VALU_DEP_4) | instskip(NEXT) | instid1(VALU_DEP_4)
	v_add_co_u32 v23, vcc_lo, v38, v23
	v_add_co_ci_u32_e32 v38, vcc_lo, 0, v39, vcc_lo
	s_delay_alu instid0(VALU_DEP_4) | instskip(NEXT) | instid1(VALU_DEP_3)
	v_xor_b32_e32 v41, v40, v42
	v_add_co_u32 v8, vcc_lo, v8, v23
	s_delay_alu instid0(VALU_DEP_3) | instskip(SKIP_1) | instid1(VALU_DEP_3)
	v_add_co_ci_u32_e32 v43, vcc_lo, v22, v38, vcc_lo
	v_xor_b32_e32 v44, v37, v42
	v_mul_hi_u32 v45, v41, v8
	s_delay_alu instid0(VALU_DEP_3) | instskip(NEXT) | instid1(VALU_DEP_3)
	v_mad_u64_u32 v[22:23], null, v41, v43, 0
	v_mad_u64_u32 v[37:38], null, v44, v8, 0
	;; [unrolled: 1-line block ×3, first 2 shown]
	s_delay_alu instid0(VALU_DEP_3) | instskip(NEXT) | instid1(VALU_DEP_4)
	v_add_co_u32 v8, vcc_lo, v45, v22
	v_add_co_ci_u32_e32 v22, vcc_lo, 0, v23, vcc_lo
	s_delay_alu instid0(VALU_DEP_2) | instskip(NEXT) | instid1(VALU_DEP_2)
	v_add_co_u32 v8, vcc_lo, v8, v37
	v_add_co_ci_u32_e32 v8, vcc_lo, v22, v38, vcc_lo
	v_add_co_ci_u32_e32 v22, vcc_lo, 0, v40, vcc_lo
	s_delay_alu instid0(VALU_DEP_2) | instskip(NEXT) | instid1(VALU_DEP_2)
	v_add_co_u32 v8, vcc_lo, v8, v39
	v_add_co_ci_u32_e32 v37, vcc_lo, 0, v22, vcc_lo
	s_delay_alu instid0(VALU_DEP_2) | instskip(SKIP_1) | instid1(VALU_DEP_3)
	v_mul_lo_u32 v38, s15, v8
	v_mad_u64_u32 v[22:23], null, s14, v8, 0
	v_mul_lo_u32 v39, s14, v37
	s_delay_alu instid0(VALU_DEP_2) | instskip(NEXT) | instid1(VALU_DEP_2)
	v_sub_co_u32 v22, vcc_lo, v41, v22
	v_add3_u32 v23, v23, v39, v38
	s_delay_alu instid0(VALU_DEP_1) | instskip(NEXT) | instid1(VALU_DEP_1)
	v_sub_nc_u32_e32 v38, v44, v23
	v_subrev_co_ci_u32_e64 v38, s0, s15, v38, vcc_lo
	v_add_co_u32 v39, s0, v8, 2
	s_delay_alu instid0(VALU_DEP_1) | instskip(SKIP_3) | instid1(VALU_DEP_3)
	v_add_co_ci_u32_e64 v40, s0, 0, v37, s0
	v_sub_co_u32 v41, s0, v22, s14
	v_sub_co_ci_u32_e32 v23, vcc_lo, v44, v23, vcc_lo
	v_subrev_co_ci_u32_e64 v38, s0, 0, v38, s0
	v_cmp_le_u32_e32 vcc_lo, s14, v41
	s_delay_alu instid0(VALU_DEP_3) | instskip(SKIP_1) | instid1(VALU_DEP_4)
	v_cmp_eq_u32_e64 s0, s15, v23
	v_cndmask_b32_e64 v41, 0, -1, vcc_lo
	v_cmp_le_u32_e32 vcc_lo, s15, v38
	v_cndmask_b32_e64 v43, 0, -1, vcc_lo
	v_cmp_le_u32_e32 vcc_lo, s14, v22
	;; [unrolled: 2-line block ×3, first 2 shown]
	v_cndmask_b32_e64 v44, 0, -1, vcc_lo
	v_cmp_eq_u32_e32 vcc_lo, s15, v38
	s_delay_alu instid0(VALU_DEP_2) | instskip(SKIP_3) | instid1(VALU_DEP_3)
	v_cndmask_b32_e64 v22, v44, v22, s0
	v_cndmask_b32_e32 v38, v43, v41, vcc_lo
	v_add_co_u32 v41, vcc_lo, v8, 1
	v_add_co_ci_u32_e32 v43, vcc_lo, 0, v37, vcc_lo
	v_cmp_ne_u32_e32 vcc_lo, 0, v38
	s_delay_alu instid0(VALU_DEP_2) | instskip(SKIP_2) | instid1(VALU_DEP_3)
	v_dual_cndmask_b32 v23, v43, v40 :: v_dual_cndmask_b32 v38, v41, v39
	v_cmp_ne_u32_e32 vcc_lo, 0, v22
	v_xor_b32_e32 v39, s2, v42
	v_cndmask_b32_e32 v8, v8, v38, vcc_lo
	s_delay_alu instid0(VALU_DEP_4) | instskip(NEXT) | instid1(VALU_DEP_2)
	v_cndmask_b32_e32 v22, v37, v23, vcc_lo
	v_xor_b32_e32 v8, v8, v39
	s_delay_alu instid0(VALU_DEP_2) | instskip(NEXT) | instid1(VALU_DEP_2)
	v_xor_b32_e32 v23, v22, v39
	v_sub_co_u32 v22, vcc_lo, v8, v39
	s_delay_alu instid0(VALU_DEP_2)
	v_sub_co_ci_u32_e32 v23, vcc_lo, v23, v39, vcc_lo
.LBB65_15:                              ;   in Loop: Header=BB65_13 Depth=2
	s_and_not1_saveexec_b32 s0, s24
	s_cbranch_execz .LBB65_17
; %bb.16:                               ;   in Loop: Header=BB65_13 Depth=2
	v_cvt_f32_u32_e32 v8, s8
	s_delay_alu instid0(VALU_DEP_1) | instskip(SKIP_2) | instid1(VALU_DEP_1)
	v_rcp_iflag_f32_e32 v8, v8
	s_waitcnt_depctr 0xfff
	v_mul_f32_e32 v8, 0x4f7ffffe, v8
	v_cvt_u32_f32_e32 v8, v8
	s_delay_alu instid0(VALU_DEP_1) | instskip(NEXT) | instid1(VALU_DEP_1)
	v_mul_lo_u32 v22, s21, v8
	v_mul_hi_u32 v22, v8, v22
	s_delay_alu instid0(VALU_DEP_1) | instskip(NEXT) | instid1(VALU_DEP_1)
	v_add_nc_u32_e32 v8, v8, v22
	v_mul_hi_u32 v8, v36, v8
	s_delay_alu instid0(VALU_DEP_1) | instskip(NEXT) | instid1(VALU_DEP_1)
	v_mul_lo_u32 v22, v8, s8
	v_sub_nc_u32_e32 v22, v36, v22
	s_delay_alu instid0(VALU_DEP_1) | instskip(SKIP_1) | instid1(VALU_DEP_2)
	v_subrev_nc_u32_e32 v37, s8, v22
	v_cmp_le_u32_e32 vcc_lo, s8, v22
	v_dual_cndmask_b32 v22, v22, v37 :: v_dual_add_nc_u32 v23, 1, v8
	s_delay_alu instid0(VALU_DEP_1) | instskip(NEXT) | instid1(VALU_DEP_2)
	v_cndmask_b32_e32 v8, v8, v23, vcc_lo
	v_cmp_le_u32_e32 vcc_lo, s8, v22
	s_delay_alu instid0(VALU_DEP_2) | instskip(NEXT) | instid1(VALU_DEP_1)
	v_add_nc_u32_e32 v23, 1, v8
	v_dual_cndmask_b32 v22, v8, v23 :: v_dual_mov_b32 v23, v7
.LBB65_17:                              ;   in Loop: Header=BB65_13 Depth=2
	s_or_b32 exec_lo, exec_lo, s0
	s_delay_alu instid0(VALU_DEP_1)
	v_cmp_eq_u64_e32 vcc_lo, v[22:23], v[9:10]
	s_mov_b32 s3, exec_lo
	v_cmpx_ne_u64_e64 v[22:23], v[9:10]
	s_xor_b32 s3, exec_lo, s3
; %bb.18:                               ;   in Loop: Header=BB65_13 Depth=2
	v_cmp_lt_i64_e64 s0, v[22:23], v[11:12]
                                        ; implicit-def: $vgpr36
                                        ; implicit-def: $vgpr20_vgpr21
	s_delay_alu instid0(VALU_DEP_1)
	v_cndmask_b32_e64 v12, v12, v23, s0
	v_cndmask_b32_e64 v11, v11, v22, s0
; %bb.19:                               ;   in Loop: Header=BB65_13 Depth=2
	s_or_saveexec_b32 s0, s3
	v_dual_mov_b32 v23, v14 :: v_dual_mov_b32 v22, v13
	s_xor_b32 exec_lo, exec_lo, s0
	s_cbranch_execz .LBB65_12
; %bb.20:                               ;   in Loop: Header=BB65_13 Depth=2
	global_load_b32 v8, v[16:17], off
	v_sub_nc_u32_e32 v22, v36, v15
	s_delay_alu instid0(VALU_DEP_1)
	v_add_lshl_u32 v36, v0, v22, 2
	v_dual_mov_b32 v23, v21 :: v_dual_mov_b32 v22, v20
	ds_store_b8 v24, v35 offset:1024
	s_waitcnt vmcnt(0)
	ds_store_b32 v36, v8
	s_branch .LBB65_12
.LBB65_21:                              ;   in Loop: Header=BB65_10 Depth=1
	s_or_b32 exec_lo, exec_lo, s23
.LBB65_22:                              ;   in Loop: Header=BB65_10 Depth=1
	s_delay_alu instid0(SALU_CYCLE_1)
	s_or_b32 exec_lo, exec_lo, s22
	ds_bpermute_b32 v13, v6, v22
	ds_bpermute_b32 v14, v6, v23
	s_waitcnt lgkmcnt(0)
	buffer_gl0_inv
	ds_load_u8 v8, v24 offset:1024
	s_mov_b32 s0, exec_lo
	v_cmp_lt_i64_e32 vcc_lo, v[13:14], v[22:23]
	s_waitcnt lgkmcnt(0)
	v_and_b32_e32 v8, 1, v8
	v_dual_cndmask_b32 v14, v23, v14 :: v_dual_cndmask_b32 v13, v22, v13
	ds_bpermute_b32 v16, v26, v14
	ds_bpermute_b32 v15, v26, v13
	s_waitcnt lgkmcnt(0)
	v_cmp_lt_i64_e32 vcc_lo, v[15:16], v[13:14]
	v_dual_cndmask_b32 v14, v14, v16 :: v_dual_cndmask_b32 v13, v13, v15
	ds_bpermute_b32 v16, v27, v14
	ds_bpermute_b32 v15, v27, v13
	s_waitcnt lgkmcnt(0)
	v_cmp_lt_i64_e32 vcc_lo, v[15:16], v[13:14]
	v_dual_cndmask_b32 v14, v14, v16 :: v_dual_cndmask_b32 v13, v13, v15
	v_mov_b32_e32 v15, 0
	v_mov_b32_e32 v16, 0
	ds_bpermute_b32 v14, v28, v14
	ds_bpermute_b32 v13, v28, v13
	v_cmpx_eq_u32_e32 1, v8
	s_cbranch_execz .LBB65_9
; %bb.23:                               ;   in Loop: Header=BB65_10 Depth=1
	v_lshlrev_b64 v[15:16], 3, v[3:4]
	v_add_co_u32 v8, vcc_lo, v9, s17
	v_add_co_ci_u32_e32 v9, vcc_lo, 0, v10, vcc_lo
	s_delay_alu instid0(VALU_DEP_3) | instskip(NEXT) | instid1(VALU_DEP_4)
	v_add_co_u32 v15, vcc_lo, s4, v15
	v_add_co_ci_u32_e32 v16, vcc_lo, s5, v16, vcc_lo
	global_store_b64 v[15:16], v[8:9], off
	s_and_saveexec_b32 s3, s18
	s_cbranch_execz .LBB65_8
; %bb.24:                               ;   in Loop: Header=BB65_10 Depth=1
	v_mul_lo_u32 v10, s19, v3
	v_mul_lo_u32 v15, s20, v4
	v_mad_u64_u32 v[8:9], null, s20, v3, 0
	ds_load_b32 v16, v25
	v_add3_u32 v9, v9, v15, v10
	s_delay_alu instid0(VALU_DEP_1) | instskip(NEXT) | instid1(VALU_DEP_1)
	v_lshlrev_b64 v[8:9], 2, v[8:9]
	v_add_co_u32 v8, vcc_lo, v34, v8
	s_delay_alu instid0(VALU_DEP_2)
	v_add_co_ci_u32_e32 v9, vcc_lo, v33, v9, vcc_lo
	s_waitcnt lgkmcnt(0)
	global_store_b32 v[8:9], v16, off
	s_branch .LBB65_8
.LBB65_25:
	s_endpgm
	.section	.rodata,"a",@progbits
	.p2align	6, 0x0
	.amdhsa_kernel _ZN9rocsparseL42csr2bsr_wavefront_per_row_multipass_kernelILj256ELj64ELj8EfllEEv20rocsparse_direction_T4_S2_S2_S2_S2_21rocsparse_index_base_PKT2_PKT3_PKS2_S3_PS4_PS7_PS2_
		.amdhsa_group_segment_fixed_size 1028
		.amdhsa_private_segment_fixed_size 0
		.amdhsa_kernarg_size 112
		.amdhsa_user_sgpr_count 15
		.amdhsa_user_sgpr_dispatch_ptr 0
		.amdhsa_user_sgpr_queue_ptr 0
		.amdhsa_user_sgpr_kernarg_segment_ptr 1
		.amdhsa_user_sgpr_dispatch_id 0
		.amdhsa_user_sgpr_private_segment_size 0
		.amdhsa_wavefront_size32 1
		.amdhsa_uses_dynamic_stack 0
		.amdhsa_enable_private_segment 0
		.amdhsa_system_sgpr_workgroup_id_x 1
		.amdhsa_system_sgpr_workgroup_id_y 0
		.amdhsa_system_sgpr_workgroup_id_z 0
		.amdhsa_system_sgpr_workgroup_info 0
		.amdhsa_system_vgpr_workitem_id 0
		.amdhsa_next_free_vgpr 46
		.amdhsa_next_free_sgpr 25
		.amdhsa_reserve_vcc 1
		.amdhsa_float_round_mode_32 0
		.amdhsa_float_round_mode_16_64 0
		.amdhsa_float_denorm_mode_32 3
		.amdhsa_float_denorm_mode_16_64 3
		.amdhsa_dx10_clamp 1
		.amdhsa_ieee_mode 1
		.amdhsa_fp16_overflow 0
		.amdhsa_workgroup_processor_mode 1
		.amdhsa_memory_ordered 1
		.amdhsa_forward_progress 0
		.amdhsa_shared_vgpr_count 0
		.amdhsa_exception_fp_ieee_invalid_op 0
		.amdhsa_exception_fp_denorm_src 0
		.amdhsa_exception_fp_ieee_div_zero 0
		.amdhsa_exception_fp_ieee_overflow 0
		.amdhsa_exception_fp_ieee_underflow 0
		.amdhsa_exception_fp_ieee_inexact 0
		.amdhsa_exception_int_div_zero 0
	.end_amdhsa_kernel
	.section	.text._ZN9rocsparseL42csr2bsr_wavefront_per_row_multipass_kernelILj256ELj64ELj8EfllEEv20rocsparse_direction_T4_S2_S2_S2_S2_21rocsparse_index_base_PKT2_PKT3_PKS2_S3_PS4_PS7_PS2_,"axG",@progbits,_ZN9rocsparseL42csr2bsr_wavefront_per_row_multipass_kernelILj256ELj64ELj8EfllEEv20rocsparse_direction_T4_S2_S2_S2_S2_21rocsparse_index_base_PKT2_PKT3_PKS2_S3_PS4_PS7_PS2_,comdat
.Lfunc_end65:
	.size	_ZN9rocsparseL42csr2bsr_wavefront_per_row_multipass_kernelILj256ELj64ELj8EfllEEv20rocsparse_direction_T4_S2_S2_S2_S2_21rocsparse_index_base_PKT2_PKT3_PKS2_S3_PS4_PS7_PS2_, .Lfunc_end65-_ZN9rocsparseL42csr2bsr_wavefront_per_row_multipass_kernelILj256ELj64ELj8EfllEEv20rocsparse_direction_T4_S2_S2_S2_S2_21rocsparse_index_base_PKT2_PKT3_PKS2_S3_PS4_PS7_PS2_
                                        ; -- End function
	.section	.AMDGPU.csdata,"",@progbits
; Kernel info:
; codeLenInByte = 2824
; NumSgprs: 27
; NumVgprs: 46
; ScratchSize: 0
; MemoryBound: 0
; FloatMode: 240
; IeeeMode: 1
; LDSByteSize: 1028 bytes/workgroup (compile time only)
; SGPRBlocks: 3
; VGPRBlocks: 5
; NumSGPRsForWavesPerEU: 27
; NumVGPRsForWavesPerEU: 46
; Occupancy: 16
; WaveLimiterHint : 0
; COMPUTE_PGM_RSRC2:SCRATCH_EN: 0
; COMPUTE_PGM_RSRC2:USER_SGPR: 15
; COMPUTE_PGM_RSRC2:TRAP_HANDLER: 0
; COMPUTE_PGM_RSRC2:TGID_X_EN: 1
; COMPUTE_PGM_RSRC2:TGID_Y_EN: 0
; COMPUTE_PGM_RSRC2:TGID_Z_EN: 0
; COMPUTE_PGM_RSRC2:TIDIG_COMP_CNT: 0
	.section	.text._ZN9rocsparseL42csr2bsr_wavefront_per_row_multipass_kernelILj256ELj32ELj8EfllEEv20rocsparse_direction_T4_S2_S2_S2_S2_21rocsparse_index_base_PKT2_PKT3_PKS2_S3_PS4_PS7_PS2_,"axG",@progbits,_ZN9rocsparseL42csr2bsr_wavefront_per_row_multipass_kernelILj256ELj32ELj8EfllEEv20rocsparse_direction_T4_S2_S2_S2_S2_21rocsparse_index_base_PKT2_PKT3_PKS2_S3_PS4_PS7_PS2_,comdat
	.globl	_ZN9rocsparseL42csr2bsr_wavefront_per_row_multipass_kernelILj256ELj32ELj8EfllEEv20rocsparse_direction_T4_S2_S2_S2_S2_21rocsparse_index_base_PKT2_PKT3_PKS2_S3_PS4_PS7_PS2_ ; -- Begin function _ZN9rocsparseL42csr2bsr_wavefront_per_row_multipass_kernelILj256ELj32ELj8EfllEEv20rocsparse_direction_T4_S2_S2_S2_S2_21rocsparse_index_base_PKT2_PKT3_PKS2_S3_PS4_PS7_PS2_
	.p2align	8
	.type	_ZN9rocsparseL42csr2bsr_wavefront_per_row_multipass_kernelILj256ELj32ELj8EfllEEv20rocsparse_direction_T4_S2_S2_S2_S2_21rocsparse_index_base_PKT2_PKT3_PKS2_S3_PS4_PS7_PS2_,@function
_ZN9rocsparseL42csr2bsr_wavefront_per_row_multipass_kernelILj256ELj32ELj8EfllEEv20rocsparse_direction_T4_S2_S2_S2_S2_21rocsparse_index_base_PKT2_PKT3_PKS2_S3_PS4_PS7_PS2_: ; @_ZN9rocsparseL42csr2bsr_wavefront_per_row_multipass_kernelILj256ELj32ELj8EfllEEv20rocsparse_direction_T4_S2_S2_S2_S2_21rocsparse_index_base_PKT2_PKT3_PKS2_S3_PS4_PS7_PS2_
; %bb.0:
	s_load_b64 s[8:9], s[0:1], 0x28
	v_lshrrev_b32_e32 v27, 5, v0
	s_mov_b32 s10, s15
	s_ashr_i32 s11, s15, 31
	s_clause 0x1
	s_load_b64 s[14:15], s[0:1], 0x8
	s_load_b128 s[4:7], s[0:1], 0x18
	s_lshl_b64 s[2:3], s[10:11], 3
	v_mov_b32_e32 v7, 0
	v_or_b32_e32 v1, s2, v27
	v_bfe_u32 v6, v0, 2, 3
	s_clause 0x1
	s_load_b32 s16, s[0:1], 0x30
	s_load_b64 s[12:13], s[0:1], 0x40
	s_waitcnt lgkmcnt(0)
	v_mul_lo_u32 v2, v1, s9
	v_mad_u64_u32 v[3:4], null, v1, s8, v[6:7]
	s_mul_i32 s2, s3, s8
	s_delay_alu instid0(VALU_DEP_1) | instid1(SALU_CYCLE_1)
	v_add3_u32 v4, s2, v4, v2
	v_mov_b32_e32 v1, 0
	v_mov_b32_e32 v2, 0
	v_cmp_gt_i64_e64 s2, s[8:9], v[6:7]
	s_delay_alu instid0(VALU_DEP_4) | instskip(NEXT) | instid1(VALU_DEP_3)
	v_cmp_gt_i64_e32 vcc_lo, s[14:15], v[3:4]
	v_dual_mov_b32 v17, v2 :: v_dual_mov_b32 v16, v1
	s_delay_alu instid0(VALU_DEP_3) | instskip(NEXT) | instid1(SALU_CYCLE_1)
	s_and_b32 s3, s2, vcc_lo
	s_and_saveexec_b32 s11, s3
	s_cbranch_execz .LBB66_2
; %bb.1:
	v_lshlrev_b64 v[7:8], 3, v[3:4]
	s_delay_alu instid0(VALU_DEP_1) | instskip(NEXT) | instid1(VALU_DEP_2)
	v_add_co_u32 v7, vcc_lo, s12, v7
	v_add_co_ci_u32_e32 v8, vcc_lo, s13, v8, vcc_lo
	global_load_b64 v[7:8], v[7:8], off
	s_waitcnt vmcnt(0)
	v_sub_co_u32 v16, vcc_lo, v7, s16
	v_subrev_co_ci_u32_e32 v17, vcc_lo, 0, v8, vcc_lo
.LBB66_2:
	s_or_b32 exec_lo, exec_lo, s11
	s_and_saveexec_b32 s11, s3
	s_cbranch_execz .LBB66_4
; %bb.3:
	v_lshlrev_b64 v[1:2], 3, v[3:4]
	s_delay_alu instid0(VALU_DEP_1) | instskip(NEXT) | instid1(VALU_DEP_2)
	v_add_co_u32 v1, vcc_lo, s12, v1
	v_add_co_ci_u32_e32 v2, vcc_lo, s13, v2, vcc_lo
	global_load_b64 v[1:2], v[1:2], off offset:8
	s_waitcnt vmcnt(0)
	v_sub_co_u32 v1, vcc_lo, v1, s16
	v_subrev_co_ci_u32_e32 v2, vcc_lo, 0, v2, vcc_lo
.LBB66_4:
	s_or_b32 exec_lo, exec_lo, s11
	s_load_b32 s17, s[0:1], 0x50
	v_dual_mov_b32 v8, 0 :: v_dual_mov_b32 v3, 0
	v_lshl_or_b32 v7, s10, 3, v27
	v_mov_b32_e32 v4, 0
	s_mov_b32 s3, exec_lo
	s_delay_alu instid0(VALU_DEP_2)
	v_cmpx_gt_i64_e64 s[4:5], v[7:8]
	s_cbranch_execz .LBB66_6
; %bb.5:
	s_load_b64 s[4:5], s[0:1], 0x60
	v_lshlrev_b64 v[3:4], 3, v[7:8]
	s_waitcnt lgkmcnt(0)
	s_delay_alu instid0(VALU_DEP_1) | instskip(NEXT) | instid1(VALU_DEP_2)
	v_add_co_u32 v3, vcc_lo, s4, v3
	v_add_co_ci_u32_e32 v4, vcc_lo, s5, v4, vcc_lo
	global_load_b64 v[3:4], v[3:4], off
	s_waitcnt vmcnt(0)
	v_sub_co_u32 v3, vcc_lo, v3, s17
	v_subrev_co_ci_u32_e32 v4, vcc_lo, 0, v4, vcc_lo
.LBB66_6:
	s_or_b32 exec_lo, exec_lo, s3
	v_cmp_lt_i64_e64 s3, s[6:7], 1
	s_delay_alu instid0(VALU_DEP_1)
	s_and_b32 vcc_lo, exec_lo, s3
	s_cbranch_vccnz .LBB66_34
; %bb.7:
	v_mbcnt_lo_u32_b32 v12, -1, 0
	s_clause 0x1
	s_load_b64 s[14:15], s[0:1], 0x58
	s_load_b64 s[4:5], s[0:1], 0x68
	v_mad_u64_u32 v[9:10], null, v6, s8, 0
	s_mul_i32 s3, s8, s9
	v_xor_b32_e32 v8, 2, v12
	s_mul_hi_u32 s20, s8, s8
	s_clause 0x2
	s_load_b64 s[10:11], s[0:1], 0x48
	s_load_b64 s[12:13], s[0:1], 0x38
	s_load_b32 s0, s[0:1], 0x0
	s_add_i32 s1, s20, s3
	v_lshlrev_b32_e32 v13, 6, v27
	v_cmp_gt_i32_e32 vcc_lo, 32, v8
	s_add_i32 s20, s1, s3
	v_xor_b32_e32 v14, 1, v12
	v_lshl_or_b32 v32, v12, 2, 12
	s_mul_i32 s18, s8, s8
	v_cndmask_b32_e32 v15, v12, v8, vcc_lo
	v_mov_b32_e32 v5, 0
	v_cmp_gt_i32_e32 vcc_lo, 32, v14
	s_mov_b32 s19, 0
	v_mov_b32_e32 v40, 1
	v_lshlrev_b32_e32 v30, 2, v15
	v_dual_mov_b32 v38, 0x7c :: v_dual_lshlrev_b32 v7, 2, v6
	s_waitcnt lgkmcnt(0)
	s_delay_alu instid0(VALU_DEP_1) | instskip(SKIP_4) | instid1(VALU_DEP_2)
	v_add_co_u32 v28, s1, s14, v7
	v_mov_b32_e32 v7, v10
	s_cmp_lg_u32 s0, 0
	v_add_co_ci_u32_e64 v29, null, s15, 0, s1
	s_cselect_b32 s21, -1, 0
	v_mad_u64_u32 v[10:11], null, v6, s9, v[7:8]
	v_and_b32_e32 v7, 3, v0
	v_lshl_or_b32 v0, v6, 3, v13
	v_xor_b32_e32 v6, 16, v12
	v_cndmask_b32_e32 v11, v12, v14, vcc_lo
	v_xor_b32_e32 v13, 8, v12
	v_mov_b32_e32 v8, v5
	v_lshlrev_b64 v[9:10], 2, v[9:10]
	v_cmp_gt_i32_e32 vcc_lo, 32, v6
	s_sub_i32 s24, 0, s8
	v_cndmask_b32_e32 v6, v12, v6, vcc_lo
	v_cmp_gt_i32_e32 vcc_lo, 32, v13
	s_delay_alu instid0(VALU_DEP_2) | instskip(SKIP_4) | instid1(VALU_DEP_4)
	v_lshlrev_b32_e32 v35, 2, v6
	v_cndmask_b32_e32 v13, v12, v13, vcc_lo
	v_add_co_u32 v33, vcc_lo, s14, v9
	v_add_co_ci_u32_e32 v34, vcc_lo, s15, v10, vcc_lo
	v_xor_b32_e32 v10, 4, v12
	v_lshlrev_b32_e32 v36, 2, v13
	s_delay_alu instid0(VALU_DEP_2)
	v_cmp_gt_i32_e32 vcc_lo, 32, v10
	v_cndmask_b32_e32 v10, v12, v10, vcc_lo
	v_dual_mov_b32 v12, v5 :: v_dual_lshlrev_b32 v31, 2, v11
	v_or_b32_e32 v11, 4, v7
	v_mad_u64_u32 v[18:19], null, v7, s8, 0
	v_cmp_gt_u64_e32 vcc_lo, s[8:9], v[7:8]
	v_lshlrev_b32_e32 v37, 2, v10
	s_delay_alu instid0(VALU_DEP_4) | instskip(SKIP_3) | instid1(VALU_DEP_3)
	v_mad_u64_u32 v[20:21], null, v11, s8, 0
	v_cmp_gt_u64_e64 s0, s[8:9], v[11:12]
	v_mov_b32_e32 v6, v19
	s_and_b32 s22, s2, vcc_lo
	v_mov_b32_e32 v9, v21
	s_delay_alu instid0(VALU_DEP_2) | instskip(SKIP_2) | instid1(VALU_DEP_3)
	v_mad_u64_u32 v[13:14], null, v7, s9, v[6:7]
	v_or_b32_e32 v6, v0, v7
	s_and_b32 s23, s2, s0
	v_mad_u64_u32 v[14:15], null, v11, s9, v[9:10]
	s_ashr_i32 s2, s9, 31
	s_delay_alu instid0(VALU_DEP_2) | instskip(NEXT) | instid1(VALU_DEP_4)
	v_lshlrev_b32_e32 v39, 2, v6
	v_mov_b32_e32 v19, v13
	s_delay_alu instid0(VALU_DEP_3) | instskip(NEXT) | instid1(VALU_DEP_2)
	v_dual_mov_b32 v21, v14 :: v_dual_mov_b32 v14, 0
	v_lshlrev_b64 v[8:9], 2, v[18:19]
	v_mov_b32_e32 v15, 0
	s_delay_alu instid0(VALU_DEP_3)
	v_lshlrev_b64 v[10:11], 2, v[20:21]
	s_branch .LBB66_11
.LBB66_8:                               ;   in Loop: Header=BB66_11 Depth=1
	v_dual_mov_b32 v19, s1 :: v_dual_mov_b32 v18, s0
.LBB66_9:                               ;   in Loop: Header=BB66_11 Depth=1
	s_or_b32 exec_lo, exec_lo, s14
.LBB66_10:                              ;   in Loop: Header=BB66_11 Depth=1
	s_delay_alu instid0(SALU_CYCLE_1) | instskip(SKIP_3) | instid1(VALU_DEP_1)
	s_or_b32 exec_lo, exec_lo, s3
	ds_bpermute_b32 v14, v35, v12
	ds_bpermute_b32 v15, v35, v13
	v_add_co_u32 v3, s0, v18, v3
	v_add_co_ci_u32_e64 v4, s0, v19, v4, s0
	s_waitcnt lgkmcnt(0)
	s_waitcnt_vscnt null, 0x0
	buffer_gl0_inv
	buffer_gl0_inv
	v_cmp_lt_i64_e32 vcc_lo, v[14:15], v[12:13]
	v_dual_cndmask_b32 v13, v13, v15 :: v_dual_cndmask_b32 v12, v12, v14
	ds_bpermute_b32 v15, v36, v13
	ds_bpermute_b32 v14, v36, v12
	s_waitcnt lgkmcnt(0)
	v_cmp_lt_i64_e32 vcc_lo, v[14:15], v[12:13]
	v_dual_cndmask_b32 v13, v13, v15 :: v_dual_cndmask_b32 v12, v12, v14
	ds_bpermute_b32 v15, v37, v13
	ds_bpermute_b32 v14, v37, v12
	s_waitcnt lgkmcnt(0)
	;; [unrolled: 5-line block ×4, first 2 shown]
	v_cmp_lt_i64_e32 vcc_lo, v[14:15], v[12:13]
	v_cndmask_b32_e32 v6, v13, v15, vcc_lo
	v_cndmask_b32_e32 v12, v12, v14, vcc_lo
	ds_bpermute_b32 v15, v38, v6
	ds_bpermute_b32 v14, v38, v12
	s_waitcnt lgkmcnt(0)
	v_cmp_le_i64_e32 vcc_lo, s[6:7], v[14:15]
	s_or_b32 s19, vcc_lo, s19
	s_delay_alu instid0(SALU_CYCLE_1)
	s_and_not1_b32 exec_lo, exec_lo, s19
	s_cbranch_execz .LBB66_34
.LBB66_11:                              ; =>This Loop Header: Depth=1
                                        ;     Child Loop BB66_14 Depth 2
	v_add_co_u32 v16, vcc_lo, v16, v7
	v_add_co_ci_u32_e32 v17, vcc_lo, 0, v17, vcc_lo
	v_dual_mov_b32 v13, s7 :: v_dual_mov_b32 v12, s6
	v_dual_mov_b32 v26, v2 :: v_dual_mov_b32 v25, v1
	s_mov_b32 s1, exec_lo
	ds_store_b8 v27, v5 offset:2048
	ds_store_2addr_b32 v39, v5, v5 offset1:4
	s_waitcnt lgkmcnt(0)
	buffer_gl0_inv
	v_cmpx_lt_i64_e64 v[16:17], v[1:2]
	s_cbranch_execz .LBB66_23
; %bb.12:                               ;   in Loop: Header=BB66_11 Depth=1
	v_lshlrev_b64 v[12:13], 2, v[16:17]
	v_lshlrev_b64 v[21:22], 3, v[16:17]
	v_mad_u64_u32 v[18:19], null, v14, s8, 0
	v_dual_mov_b32 v24, v2 :: v_dual_mov_b32 v23, v1
	s_delay_alu instid0(VALU_DEP_4)
	v_add_co_u32 v19, vcc_lo, s12, v12
	v_add_co_ci_u32_e32 v20, vcc_lo, s13, v13, vcc_lo
	v_add_co_u32 v21, vcc_lo, s10, v21
	v_add_co_ci_u32_e32 v22, vcc_lo, s11, v22, vcc_lo
	v_dual_mov_b32 v13, s7 :: v_dual_mov_b32 v12, s6
	s_mov_b32 s25, 0
	s_branch .LBB66_14
.LBB66_13:                              ;   in Loop: Header=BB66_14 Depth=2
	s_or_b32 exec_lo, exec_lo, s0
	v_add_co_u32 v16, s0, v16, 4
	s_delay_alu instid0(VALU_DEP_1) | instskip(SKIP_2) | instid1(VALU_DEP_2)
	v_add_co_ci_u32_e64 v17, s0, 0, v17, s0
	s_xor_b32 s3, vcc_lo, -1
	v_add_co_u32 v19, vcc_lo, v19, 16
	v_cmp_ge_i64_e64 s0, v[16:17], v[1:2]
	v_add_co_ci_u32_e32 v20, vcc_lo, 0, v20, vcc_lo
	v_add_co_u32 v21, vcc_lo, v21, 32
	v_add_co_ci_u32_e32 v22, vcc_lo, 0, v22, vcc_lo
	s_delay_alu instid0(VALU_DEP_4) | instskip(SKIP_2) | instid1(SALU_CYCLE_1)
	s_or_b32 s0, s3, s0
	v_dual_mov_b32 v23, v25 :: v_dual_mov_b32 v24, v26
	s_and_b32 s0, exec_lo, s0
	s_or_b32 s25, s0, s25
	s_delay_alu instid0(SALU_CYCLE_1)
	s_and_not1_b32 exec_lo, exec_lo, s25
	s_cbranch_execz .LBB66_22
.LBB66_14:                              ;   Parent Loop BB66_11 Depth=1
                                        ; =>  This Inner Loop Header: Depth=2
	global_load_b64 v[25:26], v[21:22], off
	s_mov_b32 s0, exec_lo
	s_waitcnt vmcnt(0)
	v_sub_co_u32 v41, vcc_lo, v25, s16
	v_subrev_co_ci_u32_e32 v42, vcc_lo, 0, v26, vcc_lo
                                        ; implicit-def: $vgpr25_vgpr26
	s_delay_alu instid0(VALU_DEP_1) | instskip(NEXT) | instid1(VALU_DEP_1)
	v_or_b32_e32 v6, s9, v42
	v_cmpx_ne_u64_e32 0, v[5:6]
	s_xor_b32 s26, exec_lo, s0
	s_cbranch_execz .LBB66_16
; %bb.15:                               ;   in Loop: Header=BB66_14 Depth=2
	s_add_u32 s14, s8, s2
	s_mov_b32 s3, s2
	s_addc_u32 s15, s9, s2
	s_delay_alu instid0(SALU_CYCLE_1) | instskip(NEXT) | instid1(SALU_CYCLE_1)
	s_xor_b64 s[14:15], s[14:15], s[2:3]
	v_cvt_f32_u32_e32 v6, s14
	v_cvt_f32_u32_e32 v25, s15
	s_sub_u32 s0, 0, s14
	s_subb_u32 s3, 0, s15
	s_delay_alu instid0(VALU_DEP_1) | instskip(NEXT) | instid1(VALU_DEP_1)
	v_fmac_f32_e32 v6, 0x4f800000, v25
	v_rcp_f32_e32 v6, v6
	s_waitcnt_depctr 0xfff
	v_mul_f32_e32 v6, 0x5f7ffffc, v6
	s_delay_alu instid0(VALU_DEP_1) | instskip(NEXT) | instid1(VALU_DEP_1)
	v_mul_f32_e32 v25, 0x2f800000, v6
	v_trunc_f32_e32 v25, v25
	s_delay_alu instid0(VALU_DEP_1) | instskip(SKIP_1) | instid1(VALU_DEP_2)
	v_fmac_f32_e32 v6, 0xcf800000, v25
	v_cvt_u32_f32_e32 v25, v25
	v_cvt_u32_f32_e32 v6, v6
	s_delay_alu instid0(VALU_DEP_2) | instskip(NEXT) | instid1(VALU_DEP_2)
	v_mul_lo_u32 v26, s0, v25
	v_mul_hi_u32 v43, s0, v6
	v_mul_lo_u32 v44, s3, v6
	s_delay_alu instid0(VALU_DEP_2) | instskip(SKIP_1) | instid1(VALU_DEP_2)
	v_add_nc_u32_e32 v26, v43, v26
	v_mul_lo_u32 v43, s0, v6
	v_add_nc_u32_e32 v26, v26, v44
	s_delay_alu instid0(VALU_DEP_2) | instskip(NEXT) | instid1(VALU_DEP_2)
	v_mul_hi_u32 v44, v6, v43
	v_mul_lo_u32 v45, v6, v26
	v_mul_hi_u32 v46, v6, v26
	v_mul_hi_u32 v47, v25, v43
	v_mul_lo_u32 v43, v25, v43
	v_mul_hi_u32 v48, v25, v26
	v_mul_lo_u32 v26, v25, v26
	v_add_co_u32 v44, vcc_lo, v44, v45
	v_add_co_ci_u32_e32 v45, vcc_lo, 0, v46, vcc_lo
	s_delay_alu instid0(VALU_DEP_2) | instskip(NEXT) | instid1(VALU_DEP_2)
	v_add_co_u32 v43, vcc_lo, v44, v43
	v_add_co_ci_u32_e32 v43, vcc_lo, v45, v47, vcc_lo
	v_add_co_ci_u32_e32 v44, vcc_lo, 0, v48, vcc_lo
	v_ashrrev_i32_e32 v47, 31, v42
	s_delay_alu instid0(VALU_DEP_3) | instskip(NEXT) | instid1(VALU_DEP_3)
	v_add_co_u32 v26, vcc_lo, v43, v26
	v_add_co_ci_u32_e32 v43, vcc_lo, 0, v44, vcc_lo
	s_delay_alu instid0(VALU_DEP_2) | instskip(NEXT) | instid1(VALU_DEP_2)
	v_add_co_u32 v6, vcc_lo, v6, v26
	v_add_co_ci_u32_e32 v25, vcc_lo, v25, v43, vcc_lo
	s_delay_alu instid0(VALU_DEP_2) | instskip(SKIP_1) | instid1(VALU_DEP_3)
	v_mul_hi_u32 v26, s0, v6
	v_mul_lo_u32 v44, s3, v6
	v_mul_lo_u32 v43, s0, v25
	s_delay_alu instid0(VALU_DEP_1) | instskip(SKIP_1) | instid1(VALU_DEP_2)
	v_add_nc_u32_e32 v26, v26, v43
	v_mul_lo_u32 v43, s0, v6
	v_add_nc_u32_e32 v26, v26, v44
	s_delay_alu instid0(VALU_DEP_2) | instskip(NEXT) | instid1(VALU_DEP_2)
	v_mul_hi_u32 v44, v6, v43
	v_mul_lo_u32 v45, v6, v26
	v_mul_hi_u32 v46, v6, v26
	v_mul_hi_u32 v48, v25, v43
	v_mul_lo_u32 v43, v25, v43
	v_mul_hi_u32 v49, v25, v26
	v_mul_lo_u32 v26, v25, v26
	v_add_co_u32 v44, vcc_lo, v44, v45
	v_add_co_ci_u32_e32 v45, vcc_lo, 0, v46, vcc_lo
	s_delay_alu instid0(VALU_DEP_2) | instskip(NEXT) | instid1(VALU_DEP_2)
	v_add_co_u32 v43, vcc_lo, v44, v43
	v_add_co_ci_u32_e32 v43, vcc_lo, v45, v48, vcc_lo
	v_add_co_ci_u32_e32 v44, vcc_lo, 0, v49, vcc_lo
	v_add_co_u32 v45, vcc_lo, v41, v47
	v_add_co_ci_u32_e32 v42, vcc_lo, v42, v47, vcc_lo
	s_delay_alu instid0(VALU_DEP_4) | instskip(NEXT) | instid1(VALU_DEP_4)
	v_add_co_u32 v26, vcc_lo, v43, v26
	v_add_co_ci_u32_e32 v43, vcc_lo, 0, v44, vcc_lo
	s_delay_alu instid0(VALU_DEP_4) | instskip(NEXT) | instid1(VALU_DEP_3)
	v_xor_b32_e32 v46, v45, v47
	v_add_co_u32 v6, vcc_lo, v6, v26
	s_delay_alu instid0(VALU_DEP_3) | instskip(SKIP_1) | instid1(VALU_DEP_3)
	v_add_co_ci_u32_e32 v48, vcc_lo, v25, v43, vcc_lo
	v_xor_b32_e32 v49, v42, v47
	v_mul_hi_u32 v50, v46, v6
	s_delay_alu instid0(VALU_DEP_3) | instskip(NEXT) | instid1(VALU_DEP_3)
	v_mad_u64_u32 v[25:26], null, v46, v48, 0
	v_mad_u64_u32 v[42:43], null, v49, v6, 0
	;; [unrolled: 1-line block ×3, first 2 shown]
	s_delay_alu instid0(VALU_DEP_3) | instskip(NEXT) | instid1(VALU_DEP_4)
	v_add_co_u32 v6, vcc_lo, v50, v25
	v_add_co_ci_u32_e32 v25, vcc_lo, 0, v26, vcc_lo
	s_delay_alu instid0(VALU_DEP_2) | instskip(NEXT) | instid1(VALU_DEP_2)
	v_add_co_u32 v6, vcc_lo, v6, v42
	v_add_co_ci_u32_e32 v6, vcc_lo, v25, v43, vcc_lo
	v_add_co_ci_u32_e32 v25, vcc_lo, 0, v45, vcc_lo
	s_delay_alu instid0(VALU_DEP_2) | instskip(NEXT) | instid1(VALU_DEP_2)
	v_add_co_u32 v6, vcc_lo, v6, v44
	v_add_co_ci_u32_e32 v42, vcc_lo, 0, v25, vcc_lo
	s_delay_alu instid0(VALU_DEP_2) | instskip(SKIP_1) | instid1(VALU_DEP_3)
	v_mul_lo_u32 v43, s15, v6
	v_mad_u64_u32 v[25:26], null, s14, v6, 0
	v_mul_lo_u32 v44, s14, v42
	s_delay_alu instid0(VALU_DEP_2) | instskip(NEXT) | instid1(VALU_DEP_2)
	v_sub_co_u32 v25, vcc_lo, v46, v25
	v_add3_u32 v26, v26, v44, v43
	s_delay_alu instid0(VALU_DEP_1) | instskip(NEXT) | instid1(VALU_DEP_1)
	v_sub_nc_u32_e32 v43, v49, v26
	v_subrev_co_ci_u32_e64 v43, s0, s15, v43, vcc_lo
	v_add_co_u32 v44, s0, v6, 2
	s_delay_alu instid0(VALU_DEP_1) | instskip(SKIP_3) | instid1(VALU_DEP_3)
	v_add_co_ci_u32_e64 v45, s0, 0, v42, s0
	v_sub_co_u32 v46, s0, v25, s14
	v_sub_co_ci_u32_e32 v26, vcc_lo, v49, v26, vcc_lo
	v_subrev_co_ci_u32_e64 v43, s0, 0, v43, s0
	v_cmp_le_u32_e32 vcc_lo, s14, v46
	s_delay_alu instid0(VALU_DEP_3) | instskip(SKIP_1) | instid1(VALU_DEP_4)
	v_cmp_eq_u32_e64 s0, s15, v26
	v_cndmask_b32_e64 v46, 0, -1, vcc_lo
	v_cmp_le_u32_e32 vcc_lo, s15, v43
	v_cndmask_b32_e64 v48, 0, -1, vcc_lo
	v_cmp_le_u32_e32 vcc_lo, s14, v25
	;; [unrolled: 2-line block ×3, first 2 shown]
	v_cndmask_b32_e64 v49, 0, -1, vcc_lo
	v_cmp_eq_u32_e32 vcc_lo, s15, v43
	s_delay_alu instid0(VALU_DEP_2) | instskip(SKIP_3) | instid1(VALU_DEP_3)
	v_cndmask_b32_e64 v25, v49, v25, s0
	v_cndmask_b32_e32 v43, v48, v46, vcc_lo
	v_add_co_u32 v46, vcc_lo, v6, 1
	v_add_co_ci_u32_e32 v48, vcc_lo, 0, v42, vcc_lo
	v_cmp_ne_u32_e32 vcc_lo, 0, v43
	s_delay_alu instid0(VALU_DEP_2) | instskip(SKIP_2) | instid1(VALU_DEP_3)
	v_dual_cndmask_b32 v26, v48, v45 :: v_dual_cndmask_b32 v43, v46, v44
	v_cmp_ne_u32_e32 vcc_lo, 0, v25
	v_xor_b32_e32 v44, s2, v47
	v_cndmask_b32_e32 v25, v42, v26, vcc_lo
	s_delay_alu instid0(VALU_DEP_4) | instskip(NEXT) | instid1(VALU_DEP_2)
	v_cndmask_b32_e32 v6, v6, v43, vcc_lo
	v_xor_b32_e32 v26, v25, v44
	s_delay_alu instid0(VALU_DEP_2) | instskip(NEXT) | instid1(VALU_DEP_1)
	v_xor_b32_e32 v6, v6, v44
	v_sub_co_u32 v25, vcc_lo, v6, v44
	s_delay_alu instid0(VALU_DEP_3)
	v_sub_co_ci_u32_e32 v26, vcc_lo, v26, v44, vcc_lo
.LBB66_16:                              ;   in Loop: Header=BB66_14 Depth=2
	s_and_not1_saveexec_b32 s0, s26
	s_cbranch_execz .LBB66_18
; %bb.17:                               ;   in Loop: Header=BB66_14 Depth=2
	v_cvt_f32_u32_e32 v6, s8
	s_delay_alu instid0(VALU_DEP_1) | instskip(SKIP_2) | instid1(VALU_DEP_1)
	v_rcp_iflag_f32_e32 v6, v6
	s_waitcnt_depctr 0xfff
	v_mul_f32_e32 v6, 0x4f7ffffe, v6
	v_cvt_u32_f32_e32 v6, v6
	s_delay_alu instid0(VALU_DEP_1) | instskip(NEXT) | instid1(VALU_DEP_1)
	v_mul_lo_u32 v25, s24, v6
	v_mul_hi_u32 v25, v6, v25
	s_delay_alu instid0(VALU_DEP_1) | instskip(NEXT) | instid1(VALU_DEP_1)
	v_add_nc_u32_e32 v6, v6, v25
	v_mul_hi_u32 v6, v41, v6
	s_delay_alu instid0(VALU_DEP_1) | instskip(SKIP_1) | instid1(VALU_DEP_2)
	v_mul_lo_u32 v25, v6, s8
	v_add_nc_u32_e32 v26, 1, v6
	v_sub_nc_u32_e32 v25, v41, v25
	s_delay_alu instid0(VALU_DEP_1) | instskip(SKIP_1) | instid1(VALU_DEP_2)
	v_subrev_nc_u32_e32 v42, s8, v25
	v_cmp_le_u32_e32 vcc_lo, s8, v25
	v_cndmask_b32_e32 v25, v25, v42, vcc_lo
	v_cndmask_b32_e32 v6, v6, v26, vcc_lo
	s_delay_alu instid0(VALU_DEP_2) | instskip(NEXT) | instid1(VALU_DEP_2)
	v_cmp_le_u32_e32 vcc_lo, s8, v25
	v_add_nc_u32_e32 v26, 1, v6
	s_delay_alu instid0(VALU_DEP_1)
	v_dual_cndmask_b32 v25, v6, v26 :: v_dual_mov_b32 v26, v5
.LBB66_18:                              ;   in Loop: Header=BB66_14 Depth=2
	s_or_b32 exec_lo, exec_lo, s0
	s_delay_alu instid0(VALU_DEP_1)
	v_cmp_eq_u64_e32 vcc_lo, v[25:26], v[14:15]
	s_mov_b32 s3, exec_lo
	v_cmpx_ne_u64_e64 v[25:26], v[14:15]
	s_xor_b32 s3, exec_lo, s3
; %bb.19:                               ;   in Loop: Header=BB66_14 Depth=2
	v_cmp_lt_i64_e64 s0, v[25:26], v[12:13]
                                        ; implicit-def: $vgpr41
                                        ; implicit-def: $vgpr23_vgpr24
	s_delay_alu instid0(VALU_DEP_1)
	v_cndmask_b32_e64 v13, v13, v26, s0
	v_cndmask_b32_e64 v12, v12, v25, s0
; %bb.20:                               ;   in Loop: Header=BB66_14 Depth=2
	s_or_saveexec_b32 s0, s3
	v_dual_mov_b32 v26, v17 :: v_dual_mov_b32 v25, v16
	s_xor_b32 exec_lo, exec_lo, s0
	s_cbranch_execz .LBB66_13
; %bb.21:                               ;   in Loop: Header=BB66_14 Depth=2
	global_load_b32 v6, v[19:20], off
	v_sub_nc_u32_e32 v25, v41, v18
	s_delay_alu instid0(VALU_DEP_1)
	v_add_lshl_u32 v41, v0, v25, 2
	v_dual_mov_b32 v26, v24 :: v_dual_mov_b32 v25, v23
	ds_store_b8 v27, v40 offset:2048
	s_waitcnt vmcnt(0)
	ds_store_b32 v41, v6
	s_branch .LBB66_13
.LBB66_22:                              ;   in Loop: Header=BB66_11 Depth=1
	s_or_b32 exec_lo, exec_lo, s25
.LBB66_23:                              ;   in Loop: Header=BB66_11 Depth=1
	s_delay_alu instid0(SALU_CYCLE_1)
	s_or_b32 exec_lo, exec_lo, s1
	ds_bpermute_b32 v16, v30, v25
	ds_bpermute_b32 v17, v30, v26
	s_waitcnt lgkmcnt(0)
	buffer_gl0_inv
	ds_load_u8 v6, v27 offset:2048
	s_mov_b32 s3, exec_lo
	v_cmp_lt_i64_e32 vcc_lo, v[16:17], v[25:26]
	s_waitcnt lgkmcnt(0)
	v_dual_cndmask_b32 v17, v26, v17 :: v_dual_and_b32 v6, 1, v6
	v_cndmask_b32_e32 v16, v25, v16, vcc_lo
	ds_bpermute_b32 v19, v31, v17
	ds_bpermute_b32 v18, v31, v16
	s_waitcnt lgkmcnt(0)
	v_cmp_lt_i64_e32 vcc_lo, v[18:19], v[16:17]
	v_dual_cndmask_b32 v17, v17, v19 :: v_dual_cndmask_b32 v16, v16, v18
	v_mov_b32_e32 v18, 0
	v_mov_b32_e32 v19, 0
	ds_bpermute_b32 v17, v32, v17
	ds_bpermute_b32 v16, v32, v16
	v_cmpx_eq_u32_e32 1, v6
	s_cbranch_execz .LBB66_10
; %bb.24:                               ;   in Loop: Header=BB66_11 Depth=1
	v_mul_lo_u32 v6, s20, v3
	v_mul_lo_u32 v22, s18, v4
	v_mad_u64_u32 v[18:19], null, s18, v3, 0
	v_lshlrev_b64 v[20:21], 3, v[3:4]
	s_delay_alu instid0(VALU_DEP_2) | instskip(SKIP_2) | instid1(VALU_DEP_3)
	v_add3_u32 v19, v19, v22, v6
	v_add_co_u32 v22, vcc_lo, v14, s17
	v_add_co_ci_u32_e32 v23, vcc_lo, 0, v15, vcc_lo
	v_lshlrev_b64 v[18:19], 2, v[18:19]
	v_add_co_u32 v24, vcc_lo, s4, v20
	v_add_co_ci_u32_e32 v25, vcc_lo, s5, v21, vcc_lo
	s_delay_alu instid0(VALU_DEP_3) | instskip(NEXT) | instid1(VALU_DEP_4)
	v_add_co_u32 v15, vcc_lo, v28, v18
	v_add_co_ci_u32_e32 v20, vcc_lo, v29, v19, vcc_lo
	v_add_co_u32 v6, vcc_lo, v33, v18
	v_add_co_ci_u32_e32 v14, vcc_lo, v34, v19, vcc_lo
	global_store_b64 v[24:25], v[22:23], off
	s_and_saveexec_b32 s0, s22
	s_cbranch_execz .LBB66_28
; %bb.25:                               ;   in Loop: Header=BB66_11 Depth=1
	s_and_b32 vcc_lo, exec_lo, s21
	s_cbranch_vccz .LBB66_31
; %bb.26:                               ;   in Loop: Header=BB66_11 Depth=1
	ds_load_b32 v21, v39
	v_add_co_u32 v18, vcc_lo, v15, v8
	v_add_co_ci_u32_e32 v19, vcc_lo, v20, v9, vcc_lo
	s_waitcnt lgkmcnt(0)
	global_store_b32 v[18:19], v21, off
	s_cbranch_execnz .LBB66_28
.LBB66_27:                              ;   in Loop: Header=BB66_11 Depth=1
	ds_load_b32 v21, v39
	v_lshlrev_b32_e32 v18, 2, v7
	s_delay_alu instid0(VALU_DEP_1)
	v_add_co_u32 v18, vcc_lo, v6, v18
	v_add_co_ci_u32_e32 v19, vcc_lo, 0, v14, vcc_lo
	s_waitcnt lgkmcnt(0)
	global_store_b32 v[18:19], v21, off
.LBB66_28:                              ;   in Loop: Header=BB66_11 Depth=1
	s_or_b32 exec_lo, exec_lo, s0
	v_mov_b32_e32 v18, 1
	v_mov_b32_e32 v19, 0
	s_and_saveexec_b32 s14, s23
	s_cbranch_execz .LBB66_9
; %bb.29:                               ;   in Loop: Header=BB66_11 Depth=1
	s_and_not1_b32 vcc_lo, exec_lo, s21
	s_cbranch_vccnz .LBB66_32
; %bb.30:                               ;   in Loop: Header=BB66_11 Depth=1
	ds_load_b32 v21, v39 offset:16
	v_add_co_u32 v18, vcc_lo, v15, v10
	v_add_co_ci_u32_e32 v19, vcc_lo, v20, v11, vcc_lo
	s_mov_b64 s[0:1], 1
	s_waitcnt lgkmcnt(0)
	global_store_b32 v[18:19], v21, off
	s_cbranch_execnz .LBB66_8
	s_branch .LBB66_33
.LBB66_31:                              ;   in Loop: Header=BB66_11 Depth=1
	s_branch .LBB66_27
.LBB66_32:                              ;   in Loop: Header=BB66_11 Depth=1
                                        ; implicit-def: $sgpr0_sgpr1
.LBB66_33:                              ;   in Loop: Header=BB66_11 Depth=1
	ds_load_b32 v15, v39 offset:16
	v_lshlrev_b32_e32 v18, 2, v7
	s_mov_b64 s[0:1], 1
	s_delay_alu instid0(VALU_DEP_1)
	v_add_co_u32 v18, vcc_lo, v6, v18
	v_add_co_ci_u32_e32 v19, vcc_lo, 0, v14, vcc_lo
	s_waitcnt lgkmcnt(0)
	global_store_b32 v[18:19], v15, off offset:16
	s_branch .LBB66_8
.LBB66_34:
	s_endpgm
	.section	.rodata,"a",@progbits
	.p2align	6, 0x0
	.amdhsa_kernel _ZN9rocsparseL42csr2bsr_wavefront_per_row_multipass_kernelILj256ELj32ELj8EfllEEv20rocsparse_direction_T4_S2_S2_S2_S2_21rocsparse_index_base_PKT2_PKT3_PKS2_S3_PS4_PS7_PS2_
		.amdhsa_group_segment_fixed_size 2056
		.amdhsa_private_segment_fixed_size 0
		.amdhsa_kernarg_size 112
		.amdhsa_user_sgpr_count 15
		.amdhsa_user_sgpr_dispatch_ptr 0
		.amdhsa_user_sgpr_queue_ptr 0
		.amdhsa_user_sgpr_kernarg_segment_ptr 1
		.amdhsa_user_sgpr_dispatch_id 0
		.amdhsa_user_sgpr_private_segment_size 0
		.amdhsa_wavefront_size32 1
		.amdhsa_uses_dynamic_stack 0
		.amdhsa_enable_private_segment 0
		.amdhsa_system_sgpr_workgroup_id_x 1
		.amdhsa_system_sgpr_workgroup_id_y 0
		.amdhsa_system_sgpr_workgroup_id_z 0
		.amdhsa_system_sgpr_workgroup_info 0
		.amdhsa_system_vgpr_workitem_id 0
		.amdhsa_next_free_vgpr 51
		.amdhsa_next_free_sgpr 27
		.amdhsa_reserve_vcc 1
		.amdhsa_float_round_mode_32 0
		.amdhsa_float_round_mode_16_64 0
		.amdhsa_float_denorm_mode_32 3
		.amdhsa_float_denorm_mode_16_64 3
		.amdhsa_dx10_clamp 1
		.amdhsa_ieee_mode 1
		.amdhsa_fp16_overflow 0
		.amdhsa_workgroup_processor_mode 1
		.amdhsa_memory_ordered 1
		.amdhsa_forward_progress 0
		.amdhsa_shared_vgpr_count 0
		.amdhsa_exception_fp_ieee_invalid_op 0
		.amdhsa_exception_fp_denorm_src 0
		.amdhsa_exception_fp_ieee_div_zero 0
		.amdhsa_exception_fp_ieee_overflow 0
		.amdhsa_exception_fp_ieee_underflow 0
		.amdhsa_exception_fp_ieee_inexact 0
		.amdhsa_exception_int_div_zero 0
	.end_amdhsa_kernel
	.section	.text._ZN9rocsparseL42csr2bsr_wavefront_per_row_multipass_kernelILj256ELj32ELj8EfllEEv20rocsparse_direction_T4_S2_S2_S2_S2_21rocsparse_index_base_PKT2_PKT3_PKS2_S3_PS4_PS7_PS2_,"axG",@progbits,_ZN9rocsparseL42csr2bsr_wavefront_per_row_multipass_kernelILj256ELj32ELj8EfllEEv20rocsparse_direction_T4_S2_S2_S2_S2_21rocsparse_index_base_PKT2_PKT3_PKS2_S3_PS4_PS7_PS2_,comdat
.Lfunc_end66:
	.size	_ZN9rocsparseL42csr2bsr_wavefront_per_row_multipass_kernelILj256ELj32ELj8EfllEEv20rocsparse_direction_T4_S2_S2_S2_S2_21rocsparse_index_base_PKT2_PKT3_PKS2_S3_PS4_PS7_PS2_, .Lfunc_end66-_ZN9rocsparseL42csr2bsr_wavefront_per_row_multipass_kernelILj256ELj32ELj8EfllEEv20rocsparse_direction_T4_S2_S2_S2_S2_21rocsparse_index_base_PKT2_PKT3_PKS2_S3_PS4_PS7_PS2_
                                        ; -- End function
	.section	.AMDGPU.csdata,"",@progbits
; Kernel info:
; codeLenInByte = 2940
; NumSgprs: 29
; NumVgprs: 51
; ScratchSize: 0
; MemoryBound: 0
; FloatMode: 240
; IeeeMode: 1
; LDSByteSize: 2056 bytes/workgroup (compile time only)
; SGPRBlocks: 3
; VGPRBlocks: 6
; NumSGPRsForWavesPerEU: 29
; NumVGPRsForWavesPerEU: 51
; Occupancy: 16
; WaveLimiterHint : 0
; COMPUTE_PGM_RSRC2:SCRATCH_EN: 0
; COMPUTE_PGM_RSRC2:USER_SGPR: 15
; COMPUTE_PGM_RSRC2:TRAP_HANDLER: 0
; COMPUTE_PGM_RSRC2:TGID_X_EN: 1
; COMPUTE_PGM_RSRC2:TGID_Y_EN: 0
; COMPUTE_PGM_RSRC2:TGID_Z_EN: 0
; COMPUTE_PGM_RSRC2:TIDIG_COMP_CNT: 0
	.section	.text._ZN9rocsparseL42csr2bsr_wavefront_per_row_multipass_kernelILj256ELj64ELj16EfllEEv20rocsparse_direction_T4_S2_S2_S2_S2_21rocsparse_index_base_PKT2_PKT3_PKS2_S3_PS4_PS7_PS2_,"axG",@progbits,_ZN9rocsparseL42csr2bsr_wavefront_per_row_multipass_kernelILj256ELj64ELj16EfllEEv20rocsparse_direction_T4_S2_S2_S2_S2_21rocsparse_index_base_PKT2_PKT3_PKS2_S3_PS4_PS7_PS2_,comdat
	.globl	_ZN9rocsparseL42csr2bsr_wavefront_per_row_multipass_kernelILj256ELj64ELj16EfllEEv20rocsparse_direction_T4_S2_S2_S2_S2_21rocsparse_index_base_PKT2_PKT3_PKS2_S3_PS4_PS7_PS2_ ; -- Begin function _ZN9rocsparseL42csr2bsr_wavefront_per_row_multipass_kernelILj256ELj64ELj16EfllEEv20rocsparse_direction_T4_S2_S2_S2_S2_21rocsparse_index_base_PKT2_PKT3_PKS2_S3_PS4_PS7_PS2_
	.p2align	8
	.type	_ZN9rocsparseL42csr2bsr_wavefront_per_row_multipass_kernelILj256ELj64ELj16EfllEEv20rocsparse_direction_T4_S2_S2_S2_S2_21rocsparse_index_base_PKT2_PKT3_PKS2_S3_PS4_PS7_PS2_,@function
_ZN9rocsparseL42csr2bsr_wavefront_per_row_multipass_kernelILj256ELj64ELj16EfllEEv20rocsparse_direction_T4_S2_S2_S2_S2_21rocsparse_index_base_PKT2_PKT3_PKS2_S3_PS4_PS7_PS2_: ; @_ZN9rocsparseL42csr2bsr_wavefront_per_row_multipass_kernelILj256ELj64ELj16EfllEEv20rocsparse_direction_T4_S2_S2_S2_S2_21rocsparse_index_base_PKT2_PKT3_PKS2_S3_PS4_PS7_PS2_
; %bb.0:
	s_load_b64 s[8:9], s[0:1], 0x28
	v_lshrrev_b32_e32 v31, 6, v0
	s_mov_b32 s10, s15
	s_ashr_i32 s11, s15, 31
	s_clause 0x1
	s_load_b64 s[14:15], s[0:1], 0x8
	s_load_b128 s[4:7], s[0:1], 0x18
	s_lshl_b64 s[2:3], s[10:11], 2
	v_mov_b32_e32 v7, 0
	v_or_b32_e32 v1, s2, v31
	v_bfe_u32 v6, v0, 2, 4
	s_clause 0x1
	s_load_b32 s16, s[0:1], 0x30
	s_load_b64 s[12:13], s[0:1], 0x40
	s_waitcnt lgkmcnt(0)
	v_mul_lo_u32 v2, v1, s9
	v_mad_u64_u32 v[3:4], null, v1, s8, v[6:7]
	s_mul_i32 s2, s3, s8
	s_delay_alu instid0(VALU_DEP_1) | instid1(SALU_CYCLE_1)
	v_add3_u32 v4, s2, v4, v2
	v_mov_b32_e32 v1, 0
	v_mov_b32_e32 v2, 0
	v_cmp_gt_i64_e64 s2, s[8:9], v[6:7]
	s_delay_alu instid0(VALU_DEP_4) | instskip(NEXT) | instid1(VALU_DEP_3)
	v_cmp_gt_i64_e32 vcc_lo, s[14:15], v[3:4]
	v_dual_mov_b32 v19, v2 :: v_dual_mov_b32 v18, v1
	s_delay_alu instid0(VALU_DEP_3) | instskip(NEXT) | instid1(SALU_CYCLE_1)
	s_and_b32 s3, s2, vcc_lo
	s_and_saveexec_b32 s11, s3
	s_cbranch_execz .LBB67_2
; %bb.1:
	v_lshlrev_b64 v[7:8], 3, v[3:4]
	s_delay_alu instid0(VALU_DEP_1) | instskip(NEXT) | instid1(VALU_DEP_2)
	v_add_co_u32 v7, vcc_lo, s12, v7
	v_add_co_ci_u32_e32 v8, vcc_lo, s13, v8, vcc_lo
	global_load_b64 v[7:8], v[7:8], off
	s_waitcnt vmcnt(0)
	v_sub_co_u32 v18, vcc_lo, v7, s16
	v_subrev_co_ci_u32_e32 v19, vcc_lo, 0, v8, vcc_lo
.LBB67_2:
	s_or_b32 exec_lo, exec_lo, s11
	s_and_saveexec_b32 s11, s3
	s_cbranch_execz .LBB67_4
; %bb.3:
	v_lshlrev_b64 v[1:2], 3, v[3:4]
	s_delay_alu instid0(VALU_DEP_1) | instskip(NEXT) | instid1(VALU_DEP_2)
	v_add_co_u32 v1, vcc_lo, s12, v1
	v_add_co_ci_u32_e32 v2, vcc_lo, s13, v2, vcc_lo
	global_load_b64 v[1:2], v[1:2], off offset:8
	s_waitcnt vmcnt(0)
	v_sub_co_u32 v1, vcc_lo, v1, s16
	v_subrev_co_ci_u32_e32 v2, vcc_lo, 0, v2, vcc_lo
.LBB67_4:
	s_or_b32 exec_lo, exec_lo, s11
	s_load_b32 s17, s[0:1], 0x50
	v_dual_mov_b32 v8, 0 :: v_dual_mov_b32 v3, 0
	v_lshl_or_b32 v7, s10, 2, v31
	v_mov_b32_e32 v4, 0
	s_mov_b32 s3, exec_lo
	s_delay_alu instid0(VALU_DEP_2)
	v_cmpx_gt_i64_e64 s[4:5], v[7:8]
	s_cbranch_execz .LBB67_6
; %bb.5:
	s_load_b64 s[4:5], s[0:1], 0x60
	v_lshlrev_b64 v[3:4], 3, v[7:8]
	s_waitcnt lgkmcnt(0)
	s_delay_alu instid0(VALU_DEP_1) | instskip(NEXT) | instid1(VALU_DEP_2)
	v_add_co_u32 v3, vcc_lo, s4, v3
	v_add_co_ci_u32_e32 v4, vcc_lo, s5, v4, vcc_lo
	global_load_b64 v[3:4], v[3:4], off
	s_waitcnt vmcnt(0)
	v_sub_co_u32 v3, vcc_lo, v3, s17
	v_subrev_co_ci_u32_e32 v4, vcc_lo, 0, v4, vcc_lo
.LBB67_6:
	s_or_b32 exec_lo, exec_lo, s3
	v_cmp_lt_i64_e64 s3, s[6:7], 1
	s_delay_alu instid0(VALU_DEP_1)
	s_and_b32 vcc_lo, exec_lo, s3
	s_cbranch_vccnz .LBB67_44
; %bb.7:
	s_clause 0x1
	s_load_b64 s[14:15], s[0:1], 0x58
	s_load_b64 s[4:5], s[0:1], 0x68
	v_mad_u64_u32 v[9:10], null, v6, s8, 0
	v_dual_mov_b32 v5, 0 :: v_dual_lshlrev_b32 v8, 2, v6
	v_mbcnt_lo_u32_b32 v12, -1, 0
	s_mul_i32 s3, s8, s9
	s_mul_hi_u32 s20, s8, s8
	s_clause 0x2
	s_load_b64 s[10:11], s[0:1], 0x48
	s_load_b64 s[12:13], s[0:1], 0x38
	s_load_b32 s0, s[0:1], 0x0
	s_add_i32 s1, s20, s3
	v_mov_b32_e32 v7, v10
	s_add_i32 s20, s1, s3
	v_lshl_or_b32 v36, v12, 2, 12
	v_dual_mov_b32 v14, v5 :: v_dual_mov_b32 v45, 1
	v_bfrev_b32_e32 v43, 0.5
	s_mul_i32 s18, s8, s8
	s_mov_b32 s19, 0
	v_mov_b32_e32 v21, v5
	s_waitcnt lgkmcnt(0)
	v_add_co_u32 v32, s1, s14, v8
	v_xor_b32_e32 v8, 2, v12
	v_add_co_ci_u32_e64 v33, null, s15, 0, s1
	s_delay_alu instid0(VALU_DEP_2)
	v_mad_u64_u32 v[10:11], null, v6, s9, v[7:8]
	v_xor_b32_e32 v11, 1, v12
	v_cmp_gt_i32_e32 vcc_lo, 32, v8
	v_and_b32_e32 v7, 3, v0
	v_lshlrev_b32_e32 v0, 8, v31
	s_cmp_lg_u32 s0, 0
	v_lshlrev_b64 v[9:10], 2, v[9:10]
	v_cndmask_b32_e32 v13, v12, v8, vcc_lo
	v_cmp_gt_i32_e32 vcc_lo, 32, v11
	v_lshl_or_b32 v0, v6, 4, v0
	v_or_b32_e32 v6, 32, v12
	v_mov_b32_e32 v8, v5
	v_or_b32_e32 v20, 12, v7
	v_cndmask_b32_e32 v11, v12, v11, vcc_lo
	v_add_co_u32 v37, vcc_lo, s14, v9
	v_add_co_ci_u32_e32 v38, vcc_lo, s15, v10, vcc_lo
	v_xor_b32_e32 v9, 16, v12
	v_cmp_gt_i32_e32 vcc_lo, 32, v6
	v_xor_b32_e32 v10, 8, v12
	v_mad_u64_u32 v[24:25], null, v20, s8, 0
	v_cmp_gt_u64_e64 s3, s[8:9], v[20:21]
	v_cndmask_b32_e32 v6, v12, v6, vcc_lo
	v_cmp_gt_i32_e32 vcc_lo, 32, v9
	s_cselect_b32 s21, -1, 0
	s_sub_i32 s26, 0, s8
	s_delay_alu instid0(VALU_DEP_2) | instskip(SKIP_4) | instid1(VALU_DEP_3)
	v_lshlrev_b32_e32 v39, 2, v6
	v_cndmask_b32_e32 v9, v12, v9, vcc_lo
	v_cmp_gt_i32_e32 vcc_lo, 32, v10
	v_or_b32_e32 v6, v0, v7
	s_and_b32 s25, s2, s3
	v_lshlrev_b32_e32 v40, 2, v9
	v_lshlrev_b32_e32 v34, 2, v13
	v_dual_cndmask_b32 v10, v12, v10 :: v_dual_lshlrev_b32 v35, 2, v11
	v_xor_b32_e32 v11, 4, v12
	v_or_b32_e32 v9, 4, v7
	v_lshlrev_b32_e32 v44, 2, v6
	v_or_b32_e32 v13, 8, v7
	s_delay_alu instid0(VALU_DEP_4) | instskip(NEXT) | instid1(VALU_DEP_4)
	v_cmp_gt_i32_e32 vcc_lo, 32, v11
	v_mad_u64_u32 v[15:16], null, v9, s8, 0
	s_delay_alu instid0(VALU_DEP_3)
	v_mad_u64_u32 v[22:23], null, v13, s8, 0
	v_cndmask_b32_e32 v11, v12, v11, vcc_lo
	v_lshlrev_b32_e32 v41, 2, v10
	v_cmp_gt_u64_e32 vcc_lo, s[8:9], v[7:8]
	v_cmp_gt_u64_e64 s1, s[8:9], v[13:14]
	v_mov_b32_e32 v8, v16
	v_lshlrev_b32_e32 v42, 2, v11
	v_mad_u64_u32 v[11:12], null, v7, s8, 0
	s_and_b32 s22, s2, vcc_lo
	s_delay_alu instid0(VALU_DEP_3) | instskip(SKIP_2) | instid1(VALU_DEP_3)
	v_mad_u64_u32 v[26:27], null, v9, s9, v[8:9]
	v_mov_b32_e32 v8, v25
	s_and_b32 s24, s2, s1
	v_mov_b32_e32 v6, v12
	s_delay_alu instid0(VALU_DEP_1) | instskip(SKIP_1) | instid1(VALU_DEP_1)
	v_mad_u64_u32 v[16:17], null, v7, s9, v[6:7]
	v_mov_b32_e32 v6, v23
	v_mad_u64_u32 v[27:28], null, v13, s9, v[6:7]
	v_mad_u64_u32 v[28:29], null, v20, s9, v[8:9]
	v_mov_b32_e32 v10, v5
	v_mov_b32_e32 v12, v16
	;; [unrolled: 1-line block ×3, first 2 shown]
	v_dual_mov_b32 v20, 0 :: v_dual_mov_b32 v23, v27
	s_delay_alu instid0(VALU_DEP_4)
	v_cmp_gt_u64_e64 s0, s[8:9], v[9:10]
	v_mov_b32_e32 v25, v28
	v_lshlrev_b64 v[8:9], 2, v[11:12]
	v_lshlrev_b64 v[10:11], 2, v[15:16]
	;; [unrolled: 1-line block ×3, first 2 shown]
	v_mov_b32_e32 v21, 0
	v_lshlrev_b64 v[14:15], 2, v[24:25]
	s_and_b32 s23, s2, s0
	s_ashr_i32 s2, s9, 31
	s_branch .LBB67_11
.LBB67_8:                               ;   in Loop: Header=BB67_11 Depth=1
	v_dual_mov_b32 v23, s1 :: v_dual_mov_b32 v22, s0
.LBB67_9:                               ;   in Loop: Header=BB67_11 Depth=1
	s_or_b32 exec_lo, exec_lo, s14
.LBB67_10:                              ;   in Loop: Header=BB67_11 Depth=1
	s_delay_alu instid0(SALU_CYCLE_1) | instskip(SKIP_3) | instid1(VALU_DEP_1)
	s_or_b32 exec_lo, exec_lo, s3
	ds_bpermute_b32 v20, v39, v16
	ds_bpermute_b32 v21, v39, v17
	v_add_co_u32 v3, s0, v22, v3
	v_add_co_ci_u32_e64 v4, s0, v23, v4, s0
	s_waitcnt lgkmcnt(0)
	s_waitcnt_vscnt null, 0x0
	buffer_gl0_inv
	buffer_gl0_inv
	v_cmp_lt_i64_e32 vcc_lo, v[20:21], v[16:17]
	v_dual_cndmask_b32 v17, v17, v21 :: v_dual_cndmask_b32 v16, v16, v20
	ds_bpermute_b32 v21, v40, v17
	ds_bpermute_b32 v20, v40, v16
	s_waitcnt lgkmcnt(0)
	v_cmp_lt_i64_e32 vcc_lo, v[20:21], v[16:17]
	v_dual_cndmask_b32 v17, v17, v21 :: v_dual_cndmask_b32 v16, v16, v20
	ds_bpermute_b32 v21, v41, v17
	ds_bpermute_b32 v20, v41, v16
	s_waitcnt lgkmcnt(0)
	;; [unrolled: 5-line block ×5, first 2 shown]
	v_cmp_lt_i64_e32 vcc_lo, v[20:21], v[16:17]
	v_cndmask_b32_e32 v6, v17, v21, vcc_lo
	v_cndmask_b32_e32 v16, v16, v20, vcc_lo
	ds_bpermute_b32 v21, v43, v6
	ds_bpermute_b32 v20, v43, v16
	s_waitcnt lgkmcnt(0)
	v_cmp_le_i64_e32 vcc_lo, s[6:7], v[20:21]
	s_or_b32 s19, vcc_lo, s19
	s_delay_alu instid0(SALU_CYCLE_1)
	s_and_not1_b32 exec_lo, exec_lo, s19
	s_cbranch_execz .LBB67_44
.LBB67_11:                              ; =>This Loop Header: Depth=1
                                        ;     Child Loop BB67_14 Depth 2
	v_add_co_u32 v18, vcc_lo, v18, v7
	v_add_co_ci_u32_e32 v19, vcc_lo, 0, v19, vcc_lo
	v_dual_mov_b32 v17, s7 :: v_dual_mov_b32 v16, s6
	v_dual_mov_b32 v30, v2 :: v_dual_mov_b32 v29, v1
	s_mov_b32 s1, exec_lo
	ds_store_b8 v31, v5 offset:4096
	ds_store_2addr_b32 v44, v5, v5 offset1:4
	ds_store_2addr_b32 v44, v5, v5 offset0:8 offset1:12
	s_waitcnt lgkmcnt(0)
	buffer_gl0_inv
	v_cmpx_lt_i64_e64 v[18:19], v[1:2]
	s_cbranch_execz .LBB67_23
; %bb.12:                               ;   in Loop: Header=BB67_11 Depth=1
	v_lshlrev_b64 v[16:17], 2, v[18:19]
	v_lshlrev_b64 v[25:26], 3, v[18:19]
	v_mad_u64_u32 v[22:23], null, v20, s8, 0
	v_dual_mov_b32 v28, v2 :: v_dual_mov_b32 v27, v1
	s_delay_alu instid0(VALU_DEP_4)
	v_add_co_u32 v23, vcc_lo, s12, v16
	v_add_co_ci_u32_e32 v24, vcc_lo, s13, v17, vcc_lo
	v_add_co_u32 v25, vcc_lo, s10, v25
	v_add_co_ci_u32_e32 v26, vcc_lo, s11, v26, vcc_lo
	v_dual_mov_b32 v17, s7 :: v_dual_mov_b32 v16, s6
	s_mov_b32 s27, 0
	s_branch .LBB67_14
.LBB67_13:                              ;   in Loop: Header=BB67_14 Depth=2
	s_or_b32 exec_lo, exec_lo, s0
	v_add_co_u32 v18, s0, v18, 4
	s_delay_alu instid0(VALU_DEP_1) | instskip(SKIP_2) | instid1(VALU_DEP_2)
	v_add_co_ci_u32_e64 v19, s0, 0, v19, s0
	s_xor_b32 s3, vcc_lo, -1
	v_add_co_u32 v23, vcc_lo, v23, 16
	v_cmp_ge_i64_e64 s0, v[18:19], v[1:2]
	v_add_co_ci_u32_e32 v24, vcc_lo, 0, v24, vcc_lo
	v_add_co_u32 v25, vcc_lo, v25, 32
	v_add_co_ci_u32_e32 v26, vcc_lo, 0, v26, vcc_lo
	s_delay_alu instid0(VALU_DEP_4) | instskip(SKIP_2) | instid1(SALU_CYCLE_1)
	s_or_b32 s0, s3, s0
	v_dual_mov_b32 v27, v29 :: v_dual_mov_b32 v28, v30
	s_and_b32 s0, exec_lo, s0
	s_or_b32 s27, s0, s27
	s_delay_alu instid0(SALU_CYCLE_1)
	s_and_not1_b32 exec_lo, exec_lo, s27
	s_cbranch_execz .LBB67_22
.LBB67_14:                              ;   Parent Loop BB67_11 Depth=1
                                        ; =>  This Inner Loop Header: Depth=2
	global_load_b64 v[29:30], v[25:26], off
	s_mov_b32 s0, exec_lo
	s_waitcnt vmcnt(0)
	v_sub_co_u32 v46, vcc_lo, v29, s16
	v_subrev_co_ci_u32_e32 v47, vcc_lo, 0, v30, vcc_lo
                                        ; implicit-def: $vgpr29_vgpr30
	s_delay_alu instid0(VALU_DEP_1) | instskip(NEXT) | instid1(VALU_DEP_1)
	v_or_b32_e32 v6, s9, v47
	v_cmpx_ne_u64_e32 0, v[5:6]
	s_xor_b32 s28, exec_lo, s0
	s_cbranch_execz .LBB67_16
; %bb.15:                               ;   in Loop: Header=BB67_14 Depth=2
	s_add_u32 s14, s8, s2
	s_mov_b32 s3, s2
	s_addc_u32 s15, s9, s2
	s_delay_alu instid0(SALU_CYCLE_1) | instskip(NEXT) | instid1(SALU_CYCLE_1)
	s_xor_b64 s[14:15], s[14:15], s[2:3]
	v_cvt_f32_u32_e32 v6, s14
	v_cvt_f32_u32_e32 v29, s15
	s_sub_u32 s0, 0, s14
	s_subb_u32 s3, 0, s15
	s_delay_alu instid0(VALU_DEP_1) | instskip(NEXT) | instid1(VALU_DEP_1)
	v_fmac_f32_e32 v6, 0x4f800000, v29
	v_rcp_f32_e32 v6, v6
	s_waitcnt_depctr 0xfff
	v_mul_f32_e32 v6, 0x5f7ffffc, v6
	s_delay_alu instid0(VALU_DEP_1) | instskip(NEXT) | instid1(VALU_DEP_1)
	v_mul_f32_e32 v29, 0x2f800000, v6
	v_trunc_f32_e32 v29, v29
	s_delay_alu instid0(VALU_DEP_1) | instskip(SKIP_1) | instid1(VALU_DEP_2)
	v_fmac_f32_e32 v6, 0xcf800000, v29
	v_cvt_u32_f32_e32 v29, v29
	v_cvt_u32_f32_e32 v6, v6
	s_delay_alu instid0(VALU_DEP_2) | instskip(NEXT) | instid1(VALU_DEP_2)
	v_mul_lo_u32 v30, s0, v29
	v_mul_hi_u32 v48, s0, v6
	v_mul_lo_u32 v49, s3, v6
	s_delay_alu instid0(VALU_DEP_2) | instskip(SKIP_1) | instid1(VALU_DEP_2)
	v_add_nc_u32_e32 v30, v48, v30
	v_mul_lo_u32 v48, s0, v6
	v_add_nc_u32_e32 v30, v30, v49
	s_delay_alu instid0(VALU_DEP_2) | instskip(NEXT) | instid1(VALU_DEP_2)
	v_mul_hi_u32 v49, v6, v48
	v_mul_lo_u32 v50, v6, v30
	v_mul_hi_u32 v51, v6, v30
	v_mul_hi_u32 v52, v29, v48
	v_mul_lo_u32 v48, v29, v48
	v_mul_hi_u32 v53, v29, v30
	v_mul_lo_u32 v30, v29, v30
	v_add_co_u32 v49, vcc_lo, v49, v50
	v_add_co_ci_u32_e32 v50, vcc_lo, 0, v51, vcc_lo
	s_delay_alu instid0(VALU_DEP_2) | instskip(NEXT) | instid1(VALU_DEP_2)
	v_add_co_u32 v48, vcc_lo, v49, v48
	v_add_co_ci_u32_e32 v48, vcc_lo, v50, v52, vcc_lo
	v_add_co_ci_u32_e32 v49, vcc_lo, 0, v53, vcc_lo
	v_ashrrev_i32_e32 v52, 31, v47
	s_delay_alu instid0(VALU_DEP_3) | instskip(NEXT) | instid1(VALU_DEP_3)
	v_add_co_u32 v30, vcc_lo, v48, v30
	v_add_co_ci_u32_e32 v48, vcc_lo, 0, v49, vcc_lo
	s_delay_alu instid0(VALU_DEP_2) | instskip(NEXT) | instid1(VALU_DEP_2)
	v_add_co_u32 v6, vcc_lo, v6, v30
	v_add_co_ci_u32_e32 v29, vcc_lo, v29, v48, vcc_lo
	s_delay_alu instid0(VALU_DEP_2) | instskip(SKIP_1) | instid1(VALU_DEP_3)
	v_mul_hi_u32 v30, s0, v6
	v_mul_lo_u32 v49, s3, v6
	v_mul_lo_u32 v48, s0, v29
	s_delay_alu instid0(VALU_DEP_1) | instskip(SKIP_1) | instid1(VALU_DEP_2)
	v_add_nc_u32_e32 v30, v30, v48
	v_mul_lo_u32 v48, s0, v6
	v_add_nc_u32_e32 v30, v30, v49
	s_delay_alu instid0(VALU_DEP_2) | instskip(NEXT) | instid1(VALU_DEP_2)
	v_mul_hi_u32 v49, v6, v48
	v_mul_lo_u32 v50, v6, v30
	v_mul_hi_u32 v51, v6, v30
	v_mul_hi_u32 v53, v29, v48
	v_mul_lo_u32 v48, v29, v48
	v_mul_hi_u32 v54, v29, v30
	v_mul_lo_u32 v30, v29, v30
	v_add_co_u32 v49, vcc_lo, v49, v50
	v_add_co_ci_u32_e32 v50, vcc_lo, 0, v51, vcc_lo
	s_delay_alu instid0(VALU_DEP_2) | instskip(NEXT) | instid1(VALU_DEP_2)
	v_add_co_u32 v48, vcc_lo, v49, v48
	v_add_co_ci_u32_e32 v48, vcc_lo, v50, v53, vcc_lo
	v_add_co_ci_u32_e32 v49, vcc_lo, 0, v54, vcc_lo
	v_add_co_u32 v50, vcc_lo, v46, v52
	v_add_co_ci_u32_e32 v47, vcc_lo, v47, v52, vcc_lo
	s_delay_alu instid0(VALU_DEP_4) | instskip(NEXT) | instid1(VALU_DEP_4)
	v_add_co_u32 v30, vcc_lo, v48, v30
	v_add_co_ci_u32_e32 v48, vcc_lo, 0, v49, vcc_lo
	s_delay_alu instid0(VALU_DEP_4) | instskip(NEXT) | instid1(VALU_DEP_3)
	v_xor_b32_e32 v51, v50, v52
	v_add_co_u32 v6, vcc_lo, v6, v30
	s_delay_alu instid0(VALU_DEP_3) | instskip(SKIP_1) | instid1(VALU_DEP_3)
	v_add_co_ci_u32_e32 v53, vcc_lo, v29, v48, vcc_lo
	v_xor_b32_e32 v54, v47, v52
	v_mul_hi_u32 v55, v51, v6
	s_delay_alu instid0(VALU_DEP_3) | instskip(NEXT) | instid1(VALU_DEP_3)
	v_mad_u64_u32 v[29:30], null, v51, v53, 0
	v_mad_u64_u32 v[47:48], null, v54, v6, 0
	;; [unrolled: 1-line block ×3, first 2 shown]
	s_delay_alu instid0(VALU_DEP_3) | instskip(NEXT) | instid1(VALU_DEP_4)
	v_add_co_u32 v6, vcc_lo, v55, v29
	v_add_co_ci_u32_e32 v29, vcc_lo, 0, v30, vcc_lo
	s_delay_alu instid0(VALU_DEP_2) | instskip(NEXT) | instid1(VALU_DEP_2)
	v_add_co_u32 v6, vcc_lo, v6, v47
	v_add_co_ci_u32_e32 v6, vcc_lo, v29, v48, vcc_lo
	v_add_co_ci_u32_e32 v29, vcc_lo, 0, v50, vcc_lo
	s_delay_alu instid0(VALU_DEP_2) | instskip(NEXT) | instid1(VALU_DEP_2)
	v_add_co_u32 v6, vcc_lo, v6, v49
	v_add_co_ci_u32_e32 v47, vcc_lo, 0, v29, vcc_lo
	s_delay_alu instid0(VALU_DEP_2) | instskip(SKIP_1) | instid1(VALU_DEP_3)
	v_mul_lo_u32 v48, s15, v6
	v_mad_u64_u32 v[29:30], null, s14, v6, 0
	v_mul_lo_u32 v49, s14, v47
	s_delay_alu instid0(VALU_DEP_2) | instskip(NEXT) | instid1(VALU_DEP_2)
	v_sub_co_u32 v29, vcc_lo, v51, v29
	v_add3_u32 v30, v30, v49, v48
	s_delay_alu instid0(VALU_DEP_1) | instskip(NEXT) | instid1(VALU_DEP_1)
	v_sub_nc_u32_e32 v48, v54, v30
	v_subrev_co_ci_u32_e64 v48, s0, s15, v48, vcc_lo
	v_add_co_u32 v49, s0, v6, 2
	s_delay_alu instid0(VALU_DEP_1) | instskip(SKIP_3) | instid1(VALU_DEP_3)
	v_add_co_ci_u32_e64 v50, s0, 0, v47, s0
	v_sub_co_u32 v51, s0, v29, s14
	v_sub_co_ci_u32_e32 v30, vcc_lo, v54, v30, vcc_lo
	v_subrev_co_ci_u32_e64 v48, s0, 0, v48, s0
	v_cmp_le_u32_e32 vcc_lo, s14, v51
	s_delay_alu instid0(VALU_DEP_3) | instskip(SKIP_1) | instid1(VALU_DEP_4)
	v_cmp_eq_u32_e64 s0, s15, v30
	v_cndmask_b32_e64 v51, 0, -1, vcc_lo
	v_cmp_le_u32_e32 vcc_lo, s15, v48
	v_cndmask_b32_e64 v53, 0, -1, vcc_lo
	v_cmp_le_u32_e32 vcc_lo, s14, v29
	;; [unrolled: 2-line block ×3, first 2 shown]
	v_cndmask_b32_e64 v54, 0, -1, vcc_lo
	v_cmp_eq_u32_e32 vcc_lo, s15, v48
	s_delay_alu instid0(VALU_DEP_2) | instskip(SKIP_3) | instid1(VALU_DEP_3)
	v_cndmask_b32_e64 v29, v54, v29, s0
	v_cndmask_b32_e32 v48, v53, v51, vcc_lo
	v_add_co_u32 v51, vcc_lo, v6, 1
	v_add_co_ci_u32_e32 v53, vcc_lo, 0, v47, vcc_lo
	v_cmp_ne_u32_e32 vcc_lo, 0, v48
	s_delay_alu instid0(VALU_DEP_2) | instskip(NEXT) | instid1(VALU_DEP_4)
	v_cndmask_b32_e32 v30, v53, v50, vcc_lo
	v_cndmask_b32_e32 v48, v51, v49, vcc_lo
	v_cmp_ne_u32_e32 vcc_lo, 0, v29
	v_xor_b32_e32 v49, s2, v52
	s_delay_alu instid0(VALU_DEP_3) | instskip(NEXT) | instid1(VALU_DEP_1)
	v_dual_cndmask_b32 v6, v6, v48 :: v_dual_cndmask_b32 v29, v47, v30
	v_xor_b32_e32 v6, v6, v49
	s_delay_alu instid0(VALU_DEP_2) | instskip(NEXT) | instid1(VALU_DEP_2)
	v_xor_b32_e32 v30, v29, v49
	v_sub_co_u32 v29, vcc_lo, v6, v49
	s_delay_alu instid0(VALU_DEP_2)
	v_sub_co_ci_u32_e32 v30, vcc_lo, v30, v49, vcc_lo
.LBB67_16:                              ;   in Loop: Header=BB67_14 Depth=2
	s_and_not1_saveexec_b32 s0, s28
	s_cbranch_execz .LBB67_18
; %bb.17:                               ;   in Loop: Header=BB67_14 Depth=2
	v_cvt_f32_u32_e32 v6, s8
	s_delay_alu instid0(VALU_DEP_1) | instskip(SKIP_2) | instid1(VALU_DEP_1)
	v_rcp_iflag_f32_e32 v6, v6
	s_waitcnt_depctr 0xfff
	v_mul_f32_e32 v6, 0x4f7ffffe, v6
	v_cvt_u32_f32_e32 v6, v6
	s_delay_alu instid0(VALU_DEP_1) | instskip(NEXT) | instid1(VALU_DEP_1)
	v_mul_lo_u32 v29, s26, v6
	v_mul_hi_u32 v29, v6, v29
	s_delay_alu instid0(VALU_DEP_1) | instskip(NEXT) | instid1(VALU_DEP_1)
	v_add_nc_u32_e32 v6, v6, v29
	v_mul_hi_u32 v6, v46, v6
	s_delay_alu instid0(VALU_DEP_1) | instskip(SKIP_1) | instid1(VALU_DEP_2)
	v_mul_lo_u32 v29, v6, s8
	v_add_nc_u32_e32 v30, 1, v6
	v_sub_nc_u32_e32 v29, v46, v29
	s_delay_alu instid0(VALU_DEP_1) | instskip(SKIP_1) | instid1(VALU_DEP_2)
	v_subrev_nc_u32_e32 v47, s8, v29
	v_cmp_le_u32_e32 vcc_lo, s8, v29
	v_dual_cndmask_b32 v29, v29, v47 :: v_dual_cndmask_b32 v6, v6, v30
	s_delay_alu instid0(VALU_DEP_1) | instskip(NEXT) | instid1(VALU_DEP_2)
	v_cmp_le_u32_e32 vcc_lo, s8, v29
	v_add_nc_u32_e32 v30, 1, v6
	s_delay_alu instid0(VALU_DEP_1)
	v_dual_cndmask_b32 v29, v6, v30 :: v_dual_mov_b32 v30, v5
.LBB67_18:                              ;   in Loop: Header=BB67_14 Depth=2
	s_or_b32 exec_lo, exec_lo, s0
	s_delay_alu instid0(VALU_DEP_1)
	v_cmp_eq_u64_e32 vcc_lo, v[29:30], v[20:21]
	s_mov_b32 s3, exec_lo
	v_cmpx_ne_u64_e64 v[29:30], v[20:21]
	s_xor_b32 s3, exec_lo, s3
; %bb.19:                               ;   in Loop: Header=BB67_14 Depth=2
	v_cmp_lt_i64_e64 s0, v[29:30], v[16:17]
                                        ; implicit-def: $vgpr46
                                        ; implicit-def: $vgpr27_vgpr28
	s_delay_alu instid0(VALU_DEP_1)
	v_cndmask_b32_e64 v17, v17, v30, s0
	v_cndmask_b32_e64 v16, v16, v29, s0
; %bb.20:                               ;   in Loop: Header=BB67_14 Depth=2
	s_or_saveexec_b32 s0, s3
	v_dual_mov_b32 v30, v19 :: v_dual_mov_b32 v29, v18
	s_xor_b32 exec_lo, exec_lo, s0
	s_cbranch_execz .LBB67_13
; %bb.21:                               ;   in Loop: Header=BB67_14 Depth=2
	global_load_b32 v6, v[23:24], off
	v_sub_nc_u32_e32 v29, v46, v22
	s_delay_alu instid0(VALU_DEP_1)
	v_add_lshl_u32 v46, v0, v29, 2
	v_dual_mov_b32 v30, v28 :: v_dual_mov_b32 v29, v27
	ds_store_b8 v31, v45 offset:4096
	s_waitcnt vmcnt(0)
	ds_store_b32 v46, v6
	s_branch .LBB67_13
.LBB67_22:                              ;   in Loop: Header=BB67_11 Depth=1
	s_or_b32 exec_lo, exec_lo, s27
.LBB67_23:                              ;   in Loop: Header=BB67_11 Depth=1
	s_delay_alu instid0(SALU_CYCLE_1)
	s_or_b32 exec_lo, exec_lo, s1
	ds_bpermute_b32 v18, v34, v29
	ds_bpermute_b32 v19, v34, v30
	s_waitcnt lgkmcnt(0)
	buffer_gl0_inv
	ds_load_u8 v6, v31 offset:4096
	s_mov_b32 s3, exec_lo
	v_cmp_lt_i64_e32 vcc_lo, v[18:19], v[29:30]
	s_waitcnt lgkmcnt(0)
	v_dual_cndmask_b32 v19, v30, v19 :: v_dual_and_b32 v6, 1, v6
	v_cndmask_b32_e32 v18, v29, v18, vcc_lo
	ds_bpermute_b32 v23, v35, v19
	ds_bpermute_b32 v22, v35, v18
	s_waitcnt lgkmcnt(0)
	v_cmp_lt_i64_e32 vcc_lo, v[22:23], v[18:19]
	v_dual_cndmask_b32 v19, v19, v23 :: v_dual_cndmask_b32 v18, v18, v22
	v_mov_b32_e32 v22, 0
	v_mov_b32_e32 v23, 0
	ds_bpermute_b32 v19, v36, v19
	ds_bpermute_b32 v18, v36, v18
	v_cmpx_eq_u32_e32 1, v6
	s_cbranch_execz .LBB67_10
; %bb.24:                               ;   in Loop: Header=BB67_11 Depth=1
	v_mul_lo_u32 v6, s20, v3
	v_mul_lo_u32 v26, s18, v4
	v_mad_u64_u32 v[22:23], null, s18, v3, 0
	v_lshlrev_b64 v[24:25], 3, v[3:4]
	s_delay_alu instid0(VALU_DEP_2) | instskip(SKIP_2) | instid1(VALU_DEP_3)
	v_add3_u32 v23, v23, v26, v6
	v_add_co_u32 v26, vcc_lo, v20, s17
	v_add_co_ci_u32_e32 v27, vcc_lo, 0, v21, vcc_lo
	v_lshlrev_b64 v[22:23], 2, v[22:23]
	v_add_co_u32 v28, vcc_lo, s4, v24
	v_add_co_ci_u32_e32 v29, vcc_lo, s5, v25, vcc_lo
	s_delay_alu instid0(VALU_DEP_3) | instskip(NEXT) | instid1(VALU_DEP_4)
	v_add_co_u32 v21, vcc_lo, v32, v22
	v_add_co_ci_u32_e32 v24, vcc_lo, v33, v23, vcc_lo
	v_add_co_u32 v6, vcc_lo, v37, v22
	v_add_co_ci_u32_e32 v20, vcc_lo, v38, v23, vcc_lo
	global_store_b64 v[28:29], v[26:27], off
	s_and_saveexec_b32 s0, s22
	s_cbranch_execz .LBB67_28
; %bb.25:                               ;   in Loop: Header=BB67_11 Depth=1
	s_and_b32 vcc_lo, exec_lo, s21
	s_cbranch_vccz .LBB67_39
; %bb.26:                               ;   in Loop: Header=BB67_11 Depth=1
	ds_load_b32 v25, v44
	v_add_co_u32 v22, vcc_lo, v21, v8
	v_add_co_ci_u32_e32 v23, vcc_lo, v24, v9, vcc_lo
	s_waitcnt lgkmcnt(0)
	global_store_b32 v[22:23], v25, off
	s_cbranch_execnz .LBB67_28
.LBB67_27:                              ;   in Loop: Header=BB67_11 Depth=1
	ds_load_b32 v25, v44
	v_lshlrev_b32_e32 v22, 2, v7
	s_delay_alu instid0(VALU_DEP_1)
	v_add_co_u32 v22, vcc_lo, v6, v22
	v_add_co_ci_u32_e32 v23, vcc_lo, 0, v20, vcc_lo
	s_waitcnt lgkmcnt(0)
	global_store_b32 v[22:23], v25, off
.LBB67_28:                              ;   in Loop: Header=BB67_11 Depth=1
	s_or_b32 exec_lo, exec_lo, s0
	s_and_saveexec_b32 s0, s23
	s_cbranch_execz .LBB67_32
; %bb.29:                               ;   in Loop: Header=BB67_11 Depth=1
	s_and_not1_b32 vcc_lo, exec_lo, s21
	s_cbranch_vccnz .LBB67_40
; %bb.30:                               ;   in Loop: Header=BB67_11 Depth=1
	ds_load_b32 v25, v44 offset:16
	v_add_co_u32 v22, vcc_lo, v21, v10
	v_add_co_ci_u32_e32 v23, vcc_lo, v24, v11, vcc_lo
	s_waitcnt lgkmcnt(0)
	global_store_b32 v[22:23], v25, off
	s_cbranch_execnz .LBB67_32
.LBB67_31:                              ;   in Loop: Header=BB67_11 Depth=1
	ds_load_b32 v25, v44 offset:16
	v_lshlrev_b32_e32 v22, 2, v7
	s_delay_alu instid0(VALU_DEP_1)
	v_add_co_u32 v22, vcc_lo, v6, v22
	v_add_co_ci_u32_e32 v23, vcc_lo, 0, v20, vcc_lo
	s_waitcnt lgkmcnt(0)
	global_store_b32 v[22:23], v25, off offset:16
.LBB67_32:                              ;   in Loop: Header=BB67_11 Depth=1
	s_or_b32 exec_lo, exec_lo, s0
	s_and_saveexec_b32 s0, s24
	s_cbranch_execz .LBB67_36
; %bb.33:                               ;   in Loop: Header=BB67_11 Depth=1
	s_and_not1_b32 vcc_lo, exec_lo, s21
	s_cbranch_vccnz .LBB67_41
; %bb.34:                               ;   in Loop: Header=BB67_11 Depth=1
	ds_load_b32 v25, v44 offset:32
	v_add_co_u32 v22, vcc_lo, v21, v12
	v_add_co_ci_u32_e32 v23, vcc_lo, v24, v13, vcc_lo
	s_waitcnt lgkmcnt(0)
	global_store_b32 v[22:23], v25, off
	s_cbranch_execnz .LBB67_36
.LBB67_35:                              ;   in Loop: Header=BB67_11 Depth=1
	ds_load_b32 v25, v44 offset:32
	v_lshlrev_b32_e32 v22, 2, v7
	s_delay_alu instid0(VALU_DEP_1)
	v_add_co_u32 v22, vcc_lo, v6, v22
	v_add_co_ci_u32_e32 v23, vcc_lo, 0, v20, vcc_lo
	s_waitcnt lgkmcnt(0)
	global_store_b32 v[22:23], v25, off offset:32
.LBB67_36:                              ;   in Loop: Header=BB67_11 Depth=1
	s_or_b32 exec_lo, exec_lo, s0
	v_mov_b32_e32 v22, 1
	v_mov_b32_e32 v23, 0
	s_and_saveexec_b32 s14, s25
	s_cbranch_execz .LBB67_9
; %bb.37:                               ;   in Loop: Header=BB67_11 Depth=1
	s_and_not1_b32 vcc_lo, exec_lo, s21
	s_cbranch_vccnz .LBB67_42
; %bb.38:                               ;   in Loop: Header=BB67_11 Depth=1
	ds_load_b32 v23, v44 offset:48
	v_add_co_u32 v21, vcc_lo, v21, v14
	v_add_co_ci_u32_e32 v22, vcc_lo, v24, v15, vcc_lo
	s_mov_b64 s[0:1], 1
	s_waitcnt lgkmcnt(0)
	global_store_b32 v[21:22], v23, off
	s_cbranch_execnz .LBB67_8
	s_branch .LBB67_43
.LBB67_39:                              ;   in Loop: Header=BB67_11 Depth=1
	s_branch .LBB67_27
.LBB67_40:                              ;   in Loop: Header=BB67_11 Depth=1
	s_branch .LBB67_31
.LBB67_41:                              ;   in Loop: Header=BB67_11 Depth=1
	s_branch .LBB67_35
.LBB67_42:                              ;   in Loop: Header=BB67_11 Depth=1
                                        ; implicit-def: $sgpr0_sgpr1
.LBB67_43:                              ;   in Loop: Header=BB67_11 Depth=1
	ds_load_b32 v23, v44 offset:48
	v_lshlrev_b32_e32 v21, 2, v7
	s_mov_b64 s[0:1], 1
	s_delay_alu instid0(VALU_DEP_1)
	v_add_co_u32 v21, vcc_lo, v6, v21
	v_add_co_ci_u32_e32 v22, vcc_lo, 0, v20, vcc_lo
	s_waitcnt lgkmcnt(0)
	global_store_b32 v[21:22], v23, off offset:48
	s_branch .LBB67_8
.LBB67_44:
	s_endpgm
	.section	.rodata,"a",@progbits
	.p2align	6, 0x0
	.amdhsa_kernel _ZN9rocsparseL42csr2bsr_wavefront_per_row_multipass_kernelILj256ELj64ELj16EfllEEv20rocsparse_direction_T4_S2_S2_S2_S2_21rocsparse_index_base_PKT2_PKT3_PKS2_S3_PS4_PS7_PS2_
		.amdhsa_group_segment_fixed_size 4100
		.amdhsa_private_segment_fixed_size 0
		.amdhsa_kernarg_size 112
		.amdhsa_user_sgpr_count 15
		.amdhsa_user_sgpr_dispatch_ptr 0
		.amdhsa_user_sgpr_queue_ptr 0
		.amdhsa_user_sgpr_kernarg_segment_ptr 1
		.amdhsa_user_sgpr_dispatch_id 0
		.amdhsa_user_sgpr_private_segment_size 0
		.amdhsa_wavefront_size32 1
		.amdhsa_uses_dynamic_stack 0
		.amdhsa_enable_private_segment 0
		.amdhsa_system_sgpr_workgroup_id_x 1
		.amdhsa_system_sgpr_workgroup_id_y 0
		.amdhsa_system_sgpr_workgroup_id_z 0
		.amdhsa_system_sgpr_workgroup_info 0
		.amdhsa_system_vgpr_workitem_id 0
		.amdhsa_next_free_vgpr 56
		.amdhsa_next_free_sgpr 29
		.amdhsa_reserve_vcc 1
		.amdhsa_float_round_mode_32 0
		.amdhsa_float_round_mode_16_64 0
		.amdhsa_float_denorm_mode_32 3
		.amdhsa_float_denorm_mode_16_64 3
		.amdhsa_dx10_clamp 1
		.amdhsa_ieee_mode 1
		.amdhsa_fp16_overflow 0
		.amdhsa_workgroup_processor_mode 1
		.amdhsa_memory_ordered 1
		.amdhsa_forward_progress 0
		.amdhsa_shared_vgpr_count 0
		.amdhsa_exception_fp_ieee_invalid_op 0
		.amdhsa_exception_fp_denorm_src 0
		.amdhsa_exception_fp_ieee_div_zero 0
		.amdhsa_exception_fp_ieee_overflow 0
		.amdhsa_exception_fp_ieee_underflow 0
		.amdhsa_exception_fp_ieee_inexact 0
		.amdhsa_exception_int_div_zero 0
	.end_amdhsa_kernel
	.section	.text._ZN9rocsparseL42csr2bsr_wavefront_per_row_multipass_kernelILj256ELj64ELj16EfllEEv20rocsparse_direction_T4_S2_S2_S2_S2_21rocsparse_index_base_PKT2_PKT3_PKS2_S3_PS4_PS7_PS2_,"axG",@progbits,_ZN9rocsparseL42csr2bsr_wavefront_per_row_multipass_kernelILj256ELj64ELj16EfllEEv20rocsparse_direction_T4_S2_S2_S2_S2_21rocsparse_index_base_PKT2_PKT3_PKS2_S3_PS4_PS7_PS2_,comdat
.Lfunc_end67:
	.size	_ZN9rocsparseL42csr2bsr_wavefront_per_row_multipass_kernelILj256ELj64ELj16EfllEEv20rocsparse_direction_T4_S2_S2_S2_S2_21rocsparse_index_base_PKT2_PKT3_PKS2_S3_PS4_PS7_PS2_, .Lfunc_end67-_ZN9rocsparseL42csr2bsr_wavefront_per_row_multipass_kernelILj256ELj64ELj16EfllEEv20rocsparse_direction_T4_S2_S2_S2_S2_21rocsparse_index_base_PKT2_PKT3_PKS2_S3_PS4_PS7_PS2_
                                        ; -- End function
	.section	.AMDGPU.csdata,"",@progbits
; Kernel info:
; codeLenInByte = 3292
; NumSgprs: 31
; NumVgprs: 56
; ScratchSize: 0
; MemoryBound: 0
; FloatMode: 240
; IeeeMode: 1
; LDSByteSize: 4100 bytes/workgroup (compile time only)
; SGPRBlocks: 3
; VGPRBlocks: 6
; NumSGPRsForWavesPerEU: 31
; NumVGPRsForWavesPerEU: 56
; Occupancy: 16
; WaveLimiterHint : 0
; COMPUTE_PGM_RSRC2:SCRATCH_EN: 0
; COMPUTE_PGM_RSRC2:USER_SGPR: 15
; COMPUTE_PGM_RSRC2:TRAP_HANDLER: 0
; COMPUTE_PGM_RSRC2:TGID_X_EN: 1
; COMPUTE_PGM_RSRC2:TGID_Y_EN: 0
; COMPUTE_PGM_RSRC2:TGID_Z_EN: 0
; COMPUTE_PGM_RSRC2:TIDIG_COMP_CNT: 0
	.section	.text._ZN9rocsparseL42csr2bsr_wavefront_per_row_multipass_kernelILj256ELj32ELj16EfllEEv20rocsparse_direction_T4_S2_S2_S2_S2_21rocsparse_index_base_PKT2_PKT3_PKS2_S3_PS4_PS7_PS2_,"axG",@progbits,_ZN9rocsparseL42csr2bsr_wavefront_per_row_multipass_kernelILj256ELj32ELj16EfllEEv20rocsparse_direction_T4_S2_S2_S2_S2_21rocsparse_index_base_PKT2_PKT3_PKS2_S3_PS4_PS7_PS2_,comdat
	.globl	_ZN9rocsparseL42csr2bsr_wavefront_per_row_multipass_kernelILj256ELj32ELj16EfllEEv20rocsparse_direction_T4_S2_S2_S2_S2_21rocsparse_index_base_PKT2_PKT3_PKS2_S3_PS4_PS7_PS2_ ; -- Begin function _ZN9rocsparseL42csr2bsr_wavefront_per_row_multipass_kernelILj256ELj32ELj16EfllEEv20rocsparse_direction_T4_S2_S2_S2_S2_21rocsparse_index_base_PKT2_PKT3_PKS2_S3_PS4_PS7_PS2_
	.p2align	8
	.type	_ZN9rocsparseL42csr2bsr_wavefront_per_row_multipass_kernelILj256ELj32ELj16EfllEEv20rocsparse_direction_T4_S2_S2_S2_S2_21rocsparse_index_base_PKT2_PKT3_PKS2_S3_PS4_PS7_PS2_,@function
_ZN9rocsparseL42csr2bsr_wavefront_per_row_multipass_kernelILj256ELj32ELj16EfllEEv20rocsparse_direction_T4_S2_S2_S2_S2_21rocsparse_index_base_PKT2_PKT3_PKS2_S3_PS4_PS7_PS2_: ; @_ZN9rocsparseL42csr2bsr_wavefront_per_row_multipass_kernelILj256ELj32ELj16EfllEEv20rocsparse_direction_T4_S2_S2_S2_S2_21rocsparse_index_base_PKT2_PKT3_PKS2_S3_PS4_PS7_PS2_
; %bb.0:
	s_load_b64 s[12:13], s[0:1], 0x28
	v_lshrrev_b32_e32 v39, 5, v0
	s_mov_b32 s4, s15
	s_ashr_i32 s5, s15, 31
	s_clause 0x1
	s_load_b64 s[14:15], s[0:1], 0x8
	s_load_b128 s[8:11], s[0:1], 0x18
	s_lshl_b64 s[2:3], s[4:5], 3
	v_mov_b32_e32 v7, 0
	v_or_b32_e32 v1, s2, v39
	v_bfe_u32 v6, v0, 1, 4
	s_clause 0x1
	s_load_b32 s18, s[0:1], 0x30
	s_load_b64 s[6:7], s[0:1], 0x40
	s_waitcnt lgkmcnt(0)
	v_mul_lo_u32 v2, v1, s13
	v_mad_u64_u32 v[3:4], null, v1, s12, v[6:7]
	s_mul_i32 s2, s3, s12
	s_delay_alu instid0(VALU_DEP_1) | instid1(SALU_CYCLE_1)
	v_add3_u32 v4, s2, v4, v2
	v_mov_b32_e32 v1, 0
	v_mov_b32_e32 v2, 0
	v_cmp_gt_i64_e64 s2, s[12:13], v[6:7]
	s_delay_alu instid0(VALU_DEP_4) | instskip(NEXT) | instid1(VALU_DEP_3)
	v_cmp_gt_i64_e32 vcc_lo, s[14:15], v[3:4]
	v_dual_mov_b32 v25, v2 :: v_dual_mov_b32 v24, v1
	s_delay_alu instid0(VALU_DEP_3) | instskip(NEXT) | instid1(SALU_CYCLE_1)
	s_and_b32 s3, s2, vcc_lo
	s_and_saveexec_b32 s5, s3
	s_cbranch_execz .LBB68_2
; %bb.1:
	v_lshlrev_b64 v[7:8], 3, v[3:4]
	s_delay_alu instid0(VALU_DEP_1) | instskip(NEXT) | instid1(VALU_DEP_2)
	v_add_co_u32 v7, vcc_lo, s6, v7
	v_add_co_ci_u32_e32 v8, vcc_lo, s7, v8, vcc_lo
	global_load_b64 v[7:8], v[7:8], off
	s_waitcnt vmcnt(0)
	v_sub_co_u32 v24, vcc_lo, v7, s18
	v_subrev_co_ci_u32_e32 v25, vcc_lo, 0, v8, vcc_lo
.LBB68_2:
	s_or_b32 exec_lo, exec_lo, s5
	s_and_saveexec_b32 s5, s3
	s_cbranch_execz .LBB68_4
; %bb.3:
	v_lshlrev_b64 v[1:2], 3, v[3:4]
	s_delay_alu instid0(VALU_DEP_1) | instskip(NEXT) | instid1(VALU_DEP_2)
	v_add_co_u32 v1, vcc_lo, s6, v1
	v_add_co_ci_u32_e32 v2, vcc_lo, s7, v2, vcc_lo
	global_load_b64 v[1:2], v[1:2], off offset:8
	s_waitcnt vmcnt(0)
	v_sub_co_u32 v1, vcc_lo, v1, s18
	v_subrev_co_ci_u32_e32 v2, vcc_lo, 0, v2, vcc_lo
.LBB68_4:
	s_or_b32 exec_lo, exec_lo, s5
	s_load_b32 s19, s[0:1], 0x50
	v_dual_mov_b32 v8, 0 :: v_dual_mov_b32 v3, 0
	v_lshl_or_b32 v7, s4, 3, v39
	v_mov_b32_e32 v4, 0
	s_mov_b32 s3, exec_lo
	s_delay_alu instid0(VALU_DEP_2)
	v_cmpx_gt_i64_e64 s[8:9], v[7:8]
	s_cbranch_execz .LBB68_6
; %bb.5:
	s_load_b64 s[4:5], s[0:1], 0x60
	v_lshlrev_b64 v[3:4], 3, v[7:8]
	s_waitcnt lgkmcnt(0)
	s_delay_alu instid0(VALU_DEP_1) | instskip(NEXT) | instid1(VALU_DEP_2)
	v_add_co_u32 v3, vcc_lo, s4, v3
	v_add_co_ci_u32_e32 v4, vcc_lo, s5, v4, vcc_lo
	global_load_b64 v[3:4], v[3:4], off
	s_waitcnt vmcnt(0)
	v_sub_co_u32 v3, vcc_lo, v3, s19
	v_subrev_co_ci_u32_e32 v4, vcc_lo, 0, v4, vcc_lo
.LBB68_6:
	s_or_b32 exec_lo, exec_lo, s3
	v_cmp_lt_i64_e64 s3, s[10:11], 1
	s_delay_alu instid0(VALU_DEP_1)
	s_and_b32 vcc_lo, exec_lo, s3
	s_cbranch_vccnz .LBB68_64
; %bb.7:
	s_clause 0x1
	s_load_b64 s[4:5], s[0:1], 0x58
	s_load_b64 s[8:9], s[0:1], 0x68
	v_mad_u64_u32 v[9:10], null, v6, s12, 0
	v_lshlrev_b32_e32 v8, 2, v6
	v_mbcnt_lo_u32_b32 v12, -1, 0
	s_clause 0x2
	s_load_b64 s[14:15], s[0:1], 0x48
	s_load_b64 s[16:17], s[0:1], 0x38
	s_load_b32 s0, s[0:1], 0x0
	v_mov_b32_e32 v5, 0
	s_mul_i32 s3, s12, s13
	s_mul_hi_u32 s6, s12, s12
	v_mov_b32_e32 v7, v10
	v_xor_b32_e32 v13, 1, v12
	s_add_i32 s6, s6, s3
	v_lshl_or_b32 v43, v12, 2, 4
	s_add_i32 s20, s6, s3
	v_mad_u64_u32 v[10:11], null, v6, s13, v[7:8]
	v_cmp_gt_i32_e32 vcc_lo, 32, v13
	v_and_b32_e32 v7, 1, v0
	s_mul_i32 s21, s12, s12
	s_waitcnt lgkmcnt(0)
	v_add_co_u32 v40, s1, s4, v8
	v_lshlrev_b32_e32 v8, 8, v39
	v_lshlrev_b64 v[9:10], 2, v[9:10]
	v_dual_cndmask_b32 v11, v12, v13 :: v_dual_mov_b32 v16, v5
	s_cmp_lg_u32 s0, 0
	s_delay_alu instid0(VALU_DEP_3) | instskip(SKIP_1) | instid1(VALU_DEP_4)
	v_lshl_or_b32 v0, v6, 4, v8
	v_xor_b32_e32 v6, 16, v12
	v_add_co_u32 v44, vcc_lo, s4, v9
	v_add_co_ci_u32_e32 v45, vcc_lo, s5, v10, vcc_lo
	v_xor_b32_e32 v9, 8, v12
	s_delay_alu instid0(VALU_DEP_4)
	v_cmp_gt_i32_e32 vcc_lo, 32, v6
	v_xor_b32_e32 v10, 4, v12
	v_mov_b32_e32 v8, v5
	v_add_co_ci_u32_e64 v41, null, s5, 0, s1
	v_cndmask_b32_e32 v6, v12, v6, vcc_lo
	v_cmp_gt_i32_e32 vcc_lo, 32, v9
	v_lshlrev_b32_e32 v42, 2, v11
	v_xor_b32_e32 v11, 2, v12
	v_or_b32_e32 v15, 6, v7
	v_mul_lo_u32 v22, v7, s13
	v_cndmask_b32_e32 v9, v12, v9, vcc_lo
	v_cmp_gt_i32_e32 vcc_lo, 32, v10
	v_mul_lo_u32 v21, v7, s12
	v_mad_u64_u32 v[19:20], null, v15, s12, 0
	s_delay_alu instid0(VALU_DEP_4)
	v_dual_cndmask_b32 v10, v12, v10 :: v_dual_lshlrev_b32 v47, 2, v9
	v_cmp_gt_i32_e32 vcc_lo, 32, v11
	v_or_b32_e32 v9, 2, v7
	v_lshlrev_b32_e32 v46, 2, v6
	v_or_b32_e32 v6, v0, v7
	v_dual_cndmask_b32 v11, v12, v11 :: v_dual_lshlrev_b32 v48, 2, v10
	s_delay_alu instid0(VALU_DEP_4) | instskip(NEXT) | instid1(VALU_DEP_3)
	v_mad_u64_u32 v[13:14], null, v9, s12, 0
	v_lshlrev_b32_e32 v51, 2, v6
	v_cmp_gt_u64_e32 vcc_lo, s[12:13], v[7:8]
	s_delay_alu instid0(VALU_DEP_4)
	v_dual_mov_b32 v50, 0x7c :: v_dual_lshlrev_b32 v49, 2, v11
	v_or_b32_e32 v11, 4, v7
	v_mov_b32_e32 v10, v5
	v_mov_b32_e32 v6, v14
	v_cmp_gt_u64_e64 s3, s[12:13], v[15:16]
	s_mov_b32 s22, 0
	v_mad_u64_u32 v[17:18], null, v11, s12, 0
	s_delay_alu instid0(VALU_DEP_3)
	v_mad_u64_u32 v[26:27], null, v9, s13, v[6:7]
	v_mov_b32_e32 v6, v20
	v_cmp_gt_u64_e64 s0, s[12:13], v[9:10]
	v_or_b32_e32 v10, 10, v7
	s_cselect_b32 s23, -1, 0
	v_mov_b32_e32 v8, v18
	s_and_b32 s24, s2, vcc_lo
	v_mov_b32_e32 v14, v26
	v_mad_u64_u32 v[30:31], null, v10, s12, 0
	s_delay_alu instid0(VALU_DEP_3)
	v_mad_u64_u32 v[27:28], null, v11, s13, v[8:9]
	v_mad_u64_u32 v[28:29], null, v15, s13, v[6:7]
	v_or_b32_e32 v8, 8, v7
	v_or_b32_e32 v15, 12, v7
	v_mov_b32_e32 v9, v5
	v_dual_mov_b32 v29, v5 :: v_dual_mov_b32 v18, v27
	s_delay_alu instid0(VALU_DEP_4)
	v_mad_u64_u32 v[26:27], null, v8, s12, 0
	v_mov_b32_e32 v20, v28
	v_or_b32_e32 v28, 14, v7
	v_mad_u64_u32 v[32:33], null, v15, s12, 0
	v_cmp_gt_u64_e64 s4, s[12:13], v[8:9]
	v_mov_b32_e32 v9, v31
	s_delay_alu instid0(VALU_DEP_4)
	v_mad_u64_u32 v[34:35], null, v28, s12, 0
	v_mov_b32_e32 v6, v27
	v_cmp_gt_u64_e64 s7, s[12:13], v[28:29]
	s_and_b32 s25, s2, s0
	s_and_b32 s27, s2, s3
	;; [unrolled: 1-line block ×3, first 2 shown]
	v_mad_u64_u32 v[36:37], null, v8, s13, v[6:7]
	v_mov_b32_e32 v6, v33
	v_mov_b32_e32 v8, v35
	v_mad_u64_u32 v[37:38], null, v10, s13, v[9:10]
	v_mov_b32_e32 v12, v5
	s_delay_alu instid0(VALU_DEP_4) | instskip(SKIP_2) | instid1(VALU_DEP_4)
	v_mad_u64_u32 v[52:53], null, v15, s13, v[6:7]
	v_mov_b32_e32 v27, v36
	v_mad_u64_u32 v[53:54], null, v28, s13, v[8:9]
	v_cmp_gt_u64_e64 s1, s[12:13], v[11:12]
	v_mov_b32_e32 v11, v5
	v_mov_b32_e32 v31, v37
	;; [unrolled: 1-line block ×3, first 2 shown]
	v_cmp_gt_u64_e64 s6, s[12:13], v[15:16]
	v_dual_mov_b32 v28, 0 :: v_dual_mov_b32 v35, v53
	v_cmp_gt_u64_e64 s5, s[12:13], v[10:11]
	v_mov_b32_e32 v29, 0
	v_lshlrev_b64 v[8:9], 2, v[21:22]
	v_lshlrev_b64 v[10:11], 2, v[13:14]
	;; [unrolled: 1-line block ×8, first 2 shown]
	v_mov_b32_e32 v52, 1
	s_and_b32 s26, s2, s1
	s_and_b32 s29, s2, s5
	s_and_b32 s6, s2, s6
	s_and_b32 s7, s2, s7
	s_ashr_i32 s2, s13, 31
	s_sub_i32 s30, 0, s12
	s_branch .LBB68_11
.LBB68_8:                               ;   in Loop: Header=BB68_11 Depth=1
	v_dual_mov_b32 v31, s1 :: v_dual_mov_b32 v30, s0
.LBB68_9:                               ;   in Loop: Header=BB68_11 Depth=1
	s_or_b32 exec_lo, exec_lo, s4
.LBB68_10:                              ;   in Loop: Header=BB68_11 Depth=1
	s_delay_alu instid0(SALU_CYCLE_1) | instskip(SKIP_3) | instid1(VALU_DEP_1)
	s_or_b32 exec_lo, exec_lo, s3
	ds_bpermute_b32 v28, v46, v26
	ds_bpermute_b32 v29, v46, v27
	v_add_co_u32 v3, s0, v30, v3
	v_add_co_ci_u32_e64 v4, s0, v31, v4, s0
	s_waitcnt lgkmcnt(0)
	s_waitcnt_vscnt null, 0x0
	buffer_gl0_inv
	buffer_gl0_inv
	v_cmp_lt_i64_e32 vcc_lo, v[28:29], v[26:27]
	v_dual_cndmask_b32 v27, v27, v29 :: v_dual_cndmask_b32 v26, v26, v28
	ds_bpermute_b32 v29, v47, v27
	ds_bpermute_b32 v28, v47, v26
	s_waitcnt lgkmcnt(0)
	v_cmp_lt_i64_e32 vcc_lo, v[28:29], v[26:27]
	v_dual_cndmask_b32 v27, v27, v29 :: v_dual_cndmask_b32 v26, v26, v28
	ds_bpermute_b32 v29, v48, v27
	ds_bpermute_b32 v28, v48, v26
	s_waitcnt lgkmcnt(0)
	;; [unrolled: 5-line block ×4, first 2 shown]
	v_cmp_lt_i64_e32 vcc_lo, v[28:29], v[26:27]
	v_cndmask_b32_e32 v6, v27, v29, vcc_lo
	v_cndmask_b32_e32 v26, v26, v28, vcc_lo
	ds_bpermute_b32 v29, v50, v6
	ds_bpermute_b32 v28, v50, v26
	s_waitcnt lgkmcnt(0)
	v_cmp_le_i64_e32 vcc_lo, s[10:11], v[28:29]
	s_or_b32 s22, vcc_lo, s22
	s_delay_alu instid0(SALU_CYCLE_1)
	s_and_not1_b32 exec_lo, exec_lo, s22
	s_cbranch_execz .LBB68_64
.LBB68_11:                              ; =>This Loop Header: Depth=1
                                        ;     Child Loop BB68_14 Depth 2
	v_add_co_u32 v24, vcc_lo, v24, v7
	v_add_co_ci_u32_e32 v25, vcc_lo, 0, v25, vcc_lo
	v_dual_mov_b32 v27, s11 :: v_dual_mov_b32 v26, s10
	v_dual_mov_b32 v38, v2 :: v_dual_mov_b32 v37, v1
	s_mov_b32 s1, exec_lo
	ds_store_b8 v39, v5 offset:8192
	ds_store_2addr_b32 v51, v5, v5 offset1:2
	ds_store_2addr_b32 v51, v5, v5 offset0:4 offset1:6
	ds_store_2addr_b32 v51, v5, v5 offset0:8 offset1:10
	;; [unrolled: 1-line block ×3, first 2 shown]
	s_waitcnt lgkmcnt(0)
	buffer_gl0_inv
	v_cmpx_lt_i64_e64 v[24:25], v[1:2]
	s_cbranch_execz .LBB68_23
; %bb.12:                               ;   in Loop: Header=BB68_11 Depth=1
	v_lshlrev_b64 v[26:27], 2, v[24:25]
	v_lshlrev_b64 v[33:34], 3, v[24:25]
	v_mad_u64_u32 v[30:31], null, v28, s12, 0
	v_dual_mov_b32 v36, v2 :: v_dual_mov_b32 v35, v1
	s_delay_alu instid0(VALU_DEP_4)
	v_add_co_u32 v31, vcc_lo, s16, v26
	v_add_co_ci_u32_e32 v32, vcc_lo, s17, v27, vcc_lo
	v_add_co_u32 v33, vcc_lo, s14, v33
	v_add_co_ci_u32_e32 v34, vcc_lo, s15, v34, vcc_lo
	v_dual_mov_b32 v27, s11 :: v_dual_mov_b32 v26, s10
	s_mov_b32 s31, 0
	s_branch .LBB68_14
.LBB68_13:                              ;   in Loop: Header=BB68_14 Depth=2
	s_or_b32 exec_lo, exec_lo, s0
	v_add_co_u32 v24, s0, v24, 2
	s_delay_alu instid0(VALU_DEP_1) | instskip(SKIP_2) | instid1(VALU_DEP_2)
	v_add_co_ci_u32_e64 v25, s0, 0, v25, s0
	s_xor_b32 s3, vcc_lo, -1
	v_add_co_u32 v31, vcc_lo, v31, 8
	v_cmp_ge_i64_e64 s0, v[24:25], v[1:2]
	v_add_co_ci_u32_e32 v32, vcc_lo, 0, v32, vcc_lo
	v_add_co_u32 v33, vcc_lo, v33, 16
	v_add_co_ci_u32_e32 v34, vcc_lo, 0, v34, vcc_lo
	s_delay_alu instid0(VALU_DEP_4) | instskip(SKIP_2) | instid1(SALU_CYCLE_1)
	s_or_b32 s0, s3, s0
	v_dual_mov_b32 v35, v37 :: v_dual_mov_b32 v36, v38
	s_and_b32 s0, exec_lo, s0
	s_or_b32 s31, s0, s31
	s_delay_alu instid0(SALU_CYCLE_1)
	s_and_not1_b32 exec_lo, exec_lo, s31
	s_cbranch_execz .LBB68_22
.LBB68_14:                              ;   Parent Loop BB68_11 Depth=1
                                        ; =>  This Inner Loop Header: Depth=2
	global_load_b64 v[37:38], v[33:34], off
	s_mov_b32 s0, exec_lo
	s_waitcnt vmcnt(0)
	v_sub_co_u32 v53, vcc_lo, v37, s18
	v_subrev_co_ci_u32_e32 v54, vcc_lo, 0, v38, vcc_lo
                                        ; implicit-def: $vgpr37_vgpr38
	s_delay_alu instid0(VALU_DEP_1) | instskip(NEXT) | instid1(VALU_DEP_1)
	v_or_b32_e32 v6, s13, v54
	v_cmpx_ne_u64_e32 0, v[5:6]
	s_xor_b32 s33, exec_lo, s0
	s_cbranch_execz .LBB68_16
; %bb.15:                               ;   in Loop: Header=BB68_14 Depth=2
	s_add_u32 s4, s12, s2
	s_mov_b32 s3, s2
	s_addc_u32 s5, s13, s2
	s_delay_alu instid0(SALU_CYCLE_1) | instskip(NEXT) | instid1(SALU_CYCLE_1)
	s_xor_b64 s[4:5], s[4:5], s[2:3]
	v_cvt_f32_u32_e32 v6, s4
	v_cvt_f32_u32_e32 v37, s5
	s_sub_u32 s0, 0, s4
	s_subb_u32 s3, 0, s5
	s_delay_alu instid0(VALU_DEP_1) | instskip(NEXT) | instid1(VALU_DEP_1)
	v_fmac_f32_e32 v6, 0x4f800000, v37
	v_rcp_f32_e32 v6, v6
	s_waitcnt_depctr 0xfff
	v_mul_f32_e32 v6, 0x5f7ffffc, v6
	s_delay_alu instid0(VALU_DEP_1) | instskip(NEXT) | instid1(VALU_DEP_1)
	v_mul_f32_e32 v37, 0x2f800000, v6
	v_trunc_f32_e32 v37, v37
	s_delay_alu instid0(VALU_DEP_1) | instskip(SKIP_1) | instid1(VALU_DEP_2)
	v_fmac_f32_e32 v6, 0xcf800000, v37
	v_cvt_u32_f32_e32 v37, v37
	v_cvt_u32_f32_e32 v6, v6
	s_delay_alu instid0(VALU_DEP_2) | instskip(NEXT) | instid1(VALU_DEP_2)
	v_mul_lo_u32 v38, s0, v37
	v_mul_hi_u32 v55, s0, v6
	v_mul_lo_u32 v56, s3, v6
	s_delay_alu instid0(VALU_DEP_2) | instskip(SKIP_1) | instid1(VALU_DEP_2)
	v_add_nc_u32_e32 v38, v55, v38
	v_mul_lo_u32 v55, s0, v6
	v_add_nc_u32_e32 v38, v38, v56
	s_delay_alu instid0(VALU_DEP_2) | instskip(NEXT) | instid1(VALU_DEP_2)
	v_mul_hi_u32 v56, v6, v55
	v_mul_lo_u32 v57, v6, v38
	v_mul_hi_u32 v58, v6, v38
	v_mul_hi_u32 v59, v37, v55
	v_mul_lo_u32 v55, v37, v55
	v_mul_hi_u32 v60, v37, v38
	v_mul_lo_u32 v38, v37, v38
	v_add_co_u32 v56, vcc_lo, v56, v57
	v_add_co_ci_u32_e32 v57, vcc_lo, 0, v58, vcc_lo
	s_delay_alu instid0(VALU_DEP_2) | instskip(NEXT) | instid1(VALU_DEP_2)
	v_add_co_u32 v55, vcc_lo, v56, v55
	v_add_co_ci_u32_e32 v55, vcc_lo, v57, v59, vcc_lo
	v_add_co_ci_u32_e32 v56, vcc_lo, 0, v60, vcc_lo
	v_ashrrev_i32_e32 v59, 31, v54
	s_delay_alu instid0(VALU_DEP_3) | instskip(NEXT) | instid1(VALU_DEP_3)
	v_add_co_u32 v38, vcc_lo, v55, v38
	v_add_co_ci_u32_e32 v55, vcc_lo, 0, v56, vcc_lo
	s_delay_alu instid0(VALU_DEP_2) | instskip(NEXT) | instid1(VALU_DEP_2)
	v_add_co_u32 v6, vcc_lo, v6, v38
	v_add_co_ci_u32_e32 v37, vcc_lo, v37, v55, vcc_lo
	s_delay_alu instid0(VALU_DEP_2) | instskip(SKIP_1) | instid1(VALU_DEP_3)
	v_mul_hi_u32 v38, s0, v6
	v_mul_lo_u32 v56, s3, v6
	v_mul_lo_u32 v55, s0, v37
	s_delay_alu instid0(VALU_DEP_1) | instskip(SKIP_1) | instid1(VALU_DEP_2)
	v_add_nc_u32_e32 v38, v38, v55
	v_mul_lo_u32 v55, s0, v6
	v_add_nc_u32_e32 v38, v38, v56
	s_delay_alu instid0(VALU_DEP_2) | instskip(NEXT) | instid1(VALU_DEP_2)
	v_mul_hi_u32 v56, v6, v55
	v_mul_lo_u32 v57, v6, v38
	v_mul_hi_u32 v58, v6, v38
	v_mul_hi_u32 v60, v37, v55
	v_mul_lo_u32 v55, v37, v55
	v_mul_hi_u32 v61, v37, v38
	v_mul_lo_u32 v38, v37, v38
	v_add_co_u32 v56, vcc_lo, v56, v57
	v_add_co_ci_u32_e32 v57, vcc_lo, 0, v58, vcc_lo
	s_delay_alu instid0(VALU_DEP_2) | instskip(NEXT) | instid1(VALU_DEP_2)
	v_add_co_u32 v55, vcc_lo, v56, v55
	v_add_co_ci_u32_e32 v55, vcc_lo, v57, v60, vcc_lo
	v_add_co_ci_u32_e32 v56, vcc_lo, 0, v61, vcc_lo
	v_add_co_u32 v57, vcc_lo, v53, v59
	v_add_co_ci_u32_e32 v54, vcc_lo, v54, v59, vcc_lo
	s_delay_alu instid0(VALU_DEP_4) | instskip(NEXT) | instid1(VALU_DEP_4)
	v_add_co_u32 v38, vcc_lo, v55, v38
	v_add_co_ci_u32_e32 v55, vcc_lo, 0, v56, vcc_lo
	s_delay_alu instid0(VALU_DEP_4) | instskip(NEXT) | instid1(VALU_DEP_3)
	v_xor_b32_e32 v58, v57, v59
	v_add_co_u32 v6, vcc_lo, v6, v38
	s_delay_alu instid0(VALU_DEP_3) | instskip(SKIP_1) | instid1(VALU_DEP_3)
	v_add_co_ci_u32_e32 v60, vcc_lo, v37, v55, vcc_lo
	v_xor_b32_e32 v61, v54, v59
	v_mul_hi_u32 v62, v58, v6
	s_delay_alu instid0(VALU_DEP_3) | instskip(NEXT) | instid1(VALU_DEP_3)
	v_mad_u64_u32 v[37:38], null, v58, v60, 0
	v_mad_u64_u32 v[54:55], null, v61, v6, 0
	;; [unrolled: 1-line block ×3, first 2 shown]
	s_delay_alu instid0(VALU_DEP_3) | instskip(NEXT) | instid1(VALU_DEP_4)
	v_add_co_u32 v6, vcc_lo, v62, v37
	v_add_co_ci_u32_e32 v37, vcc_lo, 0, v38, vcc_lo
	s_delay_alu instid0(VALU_DEP_2) | instskip(NEXT) | instid1(VALU_DEP_2)
	v_add_co_u32 v6, vcc_lo, v6, v54
	v_add_co_ci_u32_e32 v6, vcc_lo, v37, v55, vcc_lo
	v_add_co_ci_u32_e32 v37, vcc_lo, 0, v57, vcc_lo
	s_delay_alu instid0(VALU_DEP_2) | instskip(NEXT) | instid1(VALU_DEP_2)
	v_add_co_u32 v6, vcc_lo, v6, v56
	v_add_co_ci_u32_e32 v54, vcc_lo, 0, v37, vcc_lo
	s_delay_alu instid0(VALU_DEP_2) | instskip(SKIP_1) | instid1(VALU_DEP_3)
	v_mul_lo_u32 v55, s5, v6
	v_mad_u64_u32 v[37:38], null, s4, v6, 0
	v_mul_lo_u32 v56, s4, v54
	s_delay_alu instid0(VALU_DEP_2) | instskip(NEXT) | instid1(VALU_DEP_2)
	v_sub_co_u32 v37, vcc_lo, v58, v37
	v_add3_u32 v38, v38, v56, v55
	s_delay_alu instid0(VALU_DEP_1) | instskip(NEXT) | instid1(VALU_DEP_1)
	v_sub_nc_u32_e32 v55, v61, v38
	v_subrev_co_ci_u32_e64 v55, s0, s5, v55, vcc_lo
	v_add_co_u32 v56, s0, v6, 2
	s_delay_alu instid0(VALU_DEP_1) | instskip(SKIP_3) | instid1(VALU_DEP_3)
	v_add_co_ci_u32_e64 v57, s0, 0, v54, s0
	v_sub_co_u32 v58, s0, v37, s4
	v_sub_co_ci_u32_e32 v38, vcc_lo, v61, v38, vcc_lo
	v_subrev_co_ci_u32_e64 v55, s0, 0, v55, s0
	v_cmp_le_u32_e32 vcc_lo, s4, v58
	s_delay_alu instid0(VALU_DEP_3) | instskip(SKIP_1) | instid1(VALU_DEP_4)
	v_cmp_eq_u32_e64 s0, s5, v38
	v_cndmask_b32_e64 v58, 0, -1, vcc_lo
	v_cmp_le_u32_e32 vcc_lo, s5, v55
	v_cndmask_b32_e64 v60, 0, -1, vcc_lo
	v_cmp_le_u32_e32 vcc_lo, s4, v37
	;; [unrolled: 2-line block ×3, first 2 shown]
	v_cndmask_b32_e64 v61, 0, -1, vcc_lo
	v_cmp_eq_u32_e32 vcc_lo, s5, v55
	s_delay_alu instid0(VALU_DEP_2) | instskip(SKIP_3) | instid1(VALU_DEP_3)
	v_cndmask_b32_e64 v37, v61, v37, s0
	v_cndmask_b32_e32 v55, v60, v58, vcc_lo
	v_add_co_u32 v58, vcc_lo, v6, 1
	v_add_co_ci_u32_e32 v60, vcc_lo, 0, v54, vcc_lo
	v_cmp_ne_u32_e32 vcc_lo, 0, v55
	s_delay_alu instid0(VALU_DEP_2) | instskip(SKIP_2) | instid1(VALU_DEP_3)
	v_dual_cndmask_b32 v38, v60, v57 :: v_dual_cndmask_b32 v55, v58, v56
	v_cmp_ne_u32_e32 vcc_lo, 0, v37
	v_xor_b32_e32 v56, s2, v59
	v_cndmask_b32_e32 v37, v54, v38, vcc_lo
	s_delay_alu instid0(VALU_DEP_4) | instskip(NEXT) | instid1(VALU_DEP_2)
	v_cndmask_b32_e32 v6, v6, v55, vcc_lo
	v_xor_b32_e32 v38, v37, v56
	s_delay_alu instid0(VALU_DEP_2) | instskip(NEXT) | instid1(VALU_DEP_1)
	v_xor_b32_e32 v6, v6, v56
	v_sub_co_u32 v37, vcc_lo, v6, v56
	s_delay_alu instid0(VALU_DEP_3)
	v_sub_co_ci_u32_e32 v38, vcc_lo, v38, v56, vcc_lo
.LBB68_16:                              ;   in Loop: Header=BB68_14 Depth=2
	s_and_not1_saveexec_b32 s0, s33
	s_cbranch_execz .LBB68_18
; %bb.17:                               ;   in Loop: Header=BB68_14 Depth=2
	v_cvt_f32_u32_e32 v6, s12
	s_delay_alu instid0(VALU_DEP_1) | instskip(SKIP_2) | instid1(VALU_DEP_1)
	v_rcp_iflag_f32_e32 v6, v6
	s_waitcnt_depctr 0xfff
	v_mul_f32_e32 v6, 0x4f7ffffe, v6
	v_cvt_u32_f32_e32 v6, v6
	s_delay_alu instid0(VALU_DEP_1) | instskip(NEXT) | instid1(VALU_DEP_1)
	v_mul_lo_u32 v37, s30, v6
	v_mul_hi_u32 v37, v6, v37
	s_delay_alu instid0(VALU_DEP_1) | instskip(NEXT) | instid1(VALU_DEP_1)
	v_add_nc_u32_e32 v6, v6, v37
	v_mul_hi_u32 v6, v53, v6
	s_delay_alu instid0(VALU_DEP_1) | instskip(SKIP_1) | instid1(VALU_DEP_2)
	v_mul_lo_u32 v37, v6, s12
	v_add_nc_u32_e32 v38, 1, v6
	v_sub_nc_u32_e32 v37, v53, v37
	s_delay_alu instid0(VALU_DEP_1) | instskip(SKIP_1) | instid1(VALU_DEP_2)
	v_subrev_nc_u32_e32 v54, s12, v37
	v_cmp_le_u32_e32 vcc_lo, s12, v37
	v_cndmask_b32_e32 v37, v37, v54, vcc_lo
	v_cndmask_b32_e32 v6, v6, v38, vcc_lo
	s_delay_alu instid0(VALU_DEP_2) | instskip(NEXT) | instid1(VALU_DEP_2)
	v_cmp_le_u32_e32 vcc_lo, s12, v37
	v_add_nc_u32_e32 v38, 1, v6
	s_delay_alu instid0(VALU_DEP_1)
	v_dual_cndmask_b32 v37, v6, v38 :: v_dual_mov_b32 v38, v5
.LBB68_18:                              ;   in Loop: Header=BB68_14 Depth=2
	s_or_b32 exec_lo, exec_lo, s0
	s_delay_alu instid0(VALU_DEP_1)
	v_cmp_eq_u64_e32 vcc_lo, v[37:38], v[28:29]
	s_mov_b32 s3, exec_lo
	v_cmpx_ne_u64_e64 v[37:38], v[28:29]
	s_xor_b32 s3, exec_lo, s3
; %bb.19:                               ;   in Loop: Header=BB68_14 Depth=2
	v_cmp_lt_i64_e64 s0, v[37:38], v[26:27]
                                        ; implicit-def: $vgpr53
                                        ; implicit-def: $vgpr35_vgpr36
	s_delay_alu instid0(VALU_DEP_1)
	v_cndmask_b32_e64 v27, v27, v38, s0
	v_cndmask_b32_e64 v26, v26, v37, s0
; %bb.20:                               ;   in Loop: Header=BB68_14 Depth=2
	s_or_saveexec_b32 s0, s3
	v_dual_mov_b32 v38, v25 :: v_dual_mov_b32 v37, v24
	s_xor_b32 exec_lo, exec_lo, s0
	s_cbranch_execz .LBB68_13
; %bb.21:                               ;   in Loop: Header=BB68_14 Depth=2
	global_load_b32 v6, v[31:32], off
	v_sub_nc_u32_e32 v37, v53, v30
	s_delay_alu instid0(VALU_DEP_1)
	v_add_lshl_u32 v53, v0, v37, 2
	v_dual_mov_b32 v38, v36 :: v_dual_mov_b32 v37, v35
	ds_store_b8 v39, v52 offset:8192
	s_waitcnt vmcnt(0)
	ds_store_b32 v53, v6
	s_branch .LBB68_13
.LBB68_22:                              ;   in Loop: Header=BB68_11 Depth=1
	s_or_b32 exec_lo, exec_lo, s31
.LBB68_23:                              ;   in Loop: Header=BB68_11 Depth=1
	s_delay_alu instid0(SALU_CYCLE_1)
	s_or_b32 exec_lo, exec_lo, s1
	ds_bpermute_b32 v24, v42, v37
	ds_bpermute_b32 v25, v42, v38
	s_waitcnt lgkmcnt(0)
	buffer_gl0_inv
	ds_load_u8 v6, v39 offset:8192
	v_mov_b32_e32 v30, 0
	s_mov_b32 s3, exec_lo
	v_mov_b32_e32 v31, 0
	v_cmp_lt_i64_e32 vcc_lo, v[24:25], v[37:38]
	s_waitcnt lgkmcnt(0)
	v_dual_cndmask_b32 v25, v38, v25 :: v_dual_and_b32 v6, 1, v6
	v_cndmask_b32_e32 v24, v37, v24, vcc_lo
	ds_bpermute_b32 v25, v43, v25
	ds_bpermute_b32 v24, v43, v24
	v_cmpx_eq_u32_e32 1, v6
	s_cbranch_execz .LBB68_10
; %bb.24:                               ;   in Loop: Header=BB68_11 Depth=1
	v_mul_lo_u32 v6, s20, v3
	v_mul_lo_u32 v34, s21, v4
	v_mad_u64_u32 v[30:31], null, s21, v3, 0
	v_lshlrev_b64 v[32:33], 3, v[3:4]
	s_delay_alu instid0(VALU_DEP_2) | instskip(SKIP_2) | instid1(VALU_DEP_3)
	v_add3_u32 v31, v31, v34, v6
	v_add_co_u32 v34, vcc_lo, v28, s19
	v_add_co_ci_u32_e32 v35, vcc_lo, 0, v29, vcc_lo
	v_lshlrev_b64 v[30:31], 2, v[30:31]
	v_add_co_u32 v36, vcc_lo, s8, v32
	v_add_co_ci_u32_e32 v37, vcc_lo, s9, v33, vcc_lo
	s_delay_alu instid0(VALU_DEP_3) | instskip(NEXT) | instid1(VALU_DEP_4)
	v_add_co_u32 v29, vcc_lo, v40, v30
	v_add_co_ci_u32_e32 v32, vcc_lo, v41, v31, vcc_lo
	v_add_co_u32 v6, vcc_lo, v44, v30
	v_add_co_ci_u32_e32 v28, vcc_lo, v45, v31, vcc_lo
	global_store_b64 v[36:37], v[34:35], off
	s_and_saveexec_b32 s0, s24
	s_cbranch_execz .LBB68_28
; %bb.25:                               ;   in Loop: Header=BB68_11 Depth=1
	s_and_b32 vcc_lo, exec_lo, s23
	s_cbranch_vccz .LBB68_55
; %bb.26:                               ;   in Loop: Header=BB68_11 Depth=1
	ds_load_b32 v33, v51
	v_add_co_u32 v30, vcc_lo, v29, v8
	v_add_co_ci_u32_e32 v31, vcc_lo, v32, v9, vcc_lo
	s_waitcnt lgkmcnt(0)
	global_store_b32 v[30:31], v33, off
	s_cbranch_execnz .LBB68_28
.LBB68_27:                              ;   in Loop: Header=BB68_11 Depth=1
	ds_load_b32 v33, v51
	v_lshlrev_b32_e32 v30, 2, v7
	s_delay_alu instid0(VALU_DEP_1)
	v_add_co_u32 v30, vcc_lo, v6, v30
	v_add_co_ci_u32_e32 v31, vcc_lo, 0, v28, vcc_lo
	s_waitcnt lgkmcnt(0)
	global_store_b32 v[30:31], v33, off
.LBB68_28:                              ;   in Loop: Header=BB68_11 Depth=1
	s_or_b32 exec_lo, exec_lo, s0
	s_and_saveexec_b32 s0, s25
	s_cbranch_execz .LBB68_32
; %bb.29:                               ;   in Loop: Header=BB68_11 Depth=1
	s_and_not1_b32 vcc_lo, exec_lo, s23
	s_cbranch_vccnz .LBB68_56
; %bb.30:                               ;   in Loop: Header=BB68_11 Depth=1
	ds_load_b32 v33, v51 offset:8
	v_add_co_u32 v30, vcc_lo, v29, v10
	v_add_co_ci_u32_e32 v31, vcc_lo, v32, v11, vcc_lo
	s_waitcnt lgkmcnt(0)
	global_store_b32 v[30:31], v33, off
	s_cbranch_execnz .LBB68_32
.LBB68_31:                              ;   in Loop: Header=BB68_11 Depth=1
	ds_load_b32 v33, v51 offset:8
	v_lshlrev_b32_e32 v30, 2, v7
	s_delay_alu instid0(VALU_DEP_1)
	v_add_co_u32 v30, vcc_lo, v6, v30
	v_add_co_ci_u32_e32 v31, vcc_lo, 0, v28, vcc_lo
	s_waitcnt lgkmcnt(0)
	global_store_b32 v[30:31], v33, off offset:8
.LBB68_32:                              ;   in Loop: Header=BB68_11 Depth=1
	s_or_b32 exec_lo, exec_lo, s0
	s_and_saveexec_b32 s0, s26
	s_cbranch_execz .LBB68_36
; %bb.33:                               ;   in Loop: Header=BB68_11 Depth=1
	s_and_not1_b32 vcc_lo, exec_lo, s23
	s_cbranch_vccnz .LBB68_57
; %bb.34:                               ;   in Loop: Header=BB68_11 Depth=1
	ds_load_b32 v33, v51 offset:16
	v_add_co_u32 v30, vcc_lo, v29, v12
	v_add_co_ci_u32_e32 v31, vcc_lo, v32, v13, vcc_lo
	s_waitcnt lgkmcnt(0)
	global_store_b32 v[30:31], v33, off
	s_cbranch_execnz .LBB68_36
.LBB68_35:                              ;   in Loop: Header=BB68_11 Depth=1
	ds_load_b32 v33, v51 offset:16
	v_lshlrev_b32_e32 v30, 2, v7
	s_delay_alu instid0(VALU_DEP_1)
	v_add_co_u32 v30, vcc_lo, v6, v30
	v_add_co_ci_u32_e32 v31, vcc_lo, 0, v28, vcc_lo
	s_waitcnt lgkmcnt(0)
	global_store_b32 v[30:31], v33, off offset:16
.LBB68_36:                              ;   in Loop: Header=BB68_11 Depth=1
	s_or_b32 exec_lo, exec_lo, s0
	s_and_saveexec_b32 s0, s27
	s_cbranch_execz .LBB68_40
; %bb.37:                               ;   in Loop: Header=BB68_11 Depth=1
	s_and_not1_b32 vcc_lo, exec_lo, s23
	s_cbranch_vccnz .LBB68_58
; %bb.38:                               ;   in Loop: Header=BB68_11 Depth=1
	ds_load_b32 v33, v51 offset:24
	v_add_co_u32 v30, vcc_lo, v29, v14
	v_add_co_ci_u32_e32 v31, vcc_lo, v32, v15, vcc_lo
	s_waitcnt lgkmcnt(0)
	global_store_b32 v[30:31], v33, off
	s_cbranch_execnz .LBB68_40
.LBB68_39:                              ;   in Loop: Header=BB68_11 Depth=1
	ds_load_b32 v33, v51 offset:24
	v_lshlrev_b32_e32 v30, 2, v7
	s_delay_alu instid0(VALU_DEP_1)
	v_add_co_u32 v30, vcc_lo, v6, v30
	v_add_co_ci_u32_e32 v31, vcc_lo, 0, v28, vcc_lo
	s_waitcnt lgkmcnt(0)
	global_store_b32 v[30:31], v33, off offset:24
.LBB68_40:                              ;   in Loop: Header=BB68_11 Depth=1
	s_or_b32 exec_lo, exec_lo, s0
	s_and_saveexec_b32 s0, s28
	s_cbranch_execz .LBB68_44
; %bb.41:                               ;   in Loop: Header=BB68_11 Depth=1
	s_and_not1_b32 vcc_lo, exec_lo, s23
	s_cbranch_vccnz .LBB68_59
; %bb.42:                               ;   in Loop: Header=BB68_11 Depth=1
	ds_load_b32 v33, v51 offset:32
	v_add_co_u32 v30, vcc_lo, v29, v16
	v_add_co_ci_u32_e32 v31, vcc_lo, v32, v17, vcc_lo
	s_waitcnt lgkmcnt(0)
	global_store_b32 v[30:31], v33, off
	s_cbranch_execnz .LBB68_44
.LBB68_43:                              ;   in Loop: Header=BB68_11 Depth=1
	ds_load_b32 v33, v51 offset:32
	v_lshlrev_b32_e32 v30, 2, v7
	s_delay_alu instid0(VALU_DEP_1)
	v_add_co_u32 v30, vcc_lo, v6, v30
	v_add_co_ci_u32_e32 v31, vcc_lo, 0, v28, vcc_lo
	s_waitcnt lgkmcnt(0)
	global_store_b32 v[30:31], v33, off offset:32
.LBB68_44:                              ;   in Loop: Header=BB68_11 Depth=1
	s_or_b32 exec_lo, exec_lo, s0
	s_and_saveexec_b32 s0, s29
	s_cbranch_execz .LBB68_48
; %bb.45:                               ;   in Loop: Header=BB68_11 Depth=1
	s_and_not1_b32 vcc_lo, exec_lo, s23
	s_cbranch_vccnz .LBB68_60
; %bb.46:                               ;   in Loop: Header=BB68_11 Depth=1
	ds_load_b32 v33, v51 offset:40
	v_add_co_u32 v30, vcc_lo, v29, v18
	v_add_co_ci_u32_e32 v31, vcc_lo, v32, v19, vcc_lo
	s_waitcnt lgkmcnt(0)
	global_store_b32 v[30:31], v33, off
	s_cbranch_execnz .LBB68_48
.LBB68_47:                              ;   in Loop: Header=BB68_11 Depth=1
	ds_load_b32 v33, v51 offset:40
	v_lshlrev_b32_e32 v30, 2, v7
	s_delay_alu instid0(VALU_DEP_1)
	v_add_co_u32 v30, vcc_lo, v6, v30
	v_add_co_ci_u32_e32 v31, vcc_lo, 0, v28, vcc_lo
	s_waitcnt lgkmcnt(0)
	global_store_b32 v[30:31], v33, off offset:40
.LBB68_48:                              ;   in Loop: Header=BB68_11 Depth=1
	s_or_b32 exec_lo, exec_lo, s0
	s_and_saveexec_b32 s0, s6
	s_cbranch_execz .LBB68_52
; %bb.49:                               ;   in Loop: Header=BB68_11 Depth=1
	s_and_not1_b32 vcc_lo, exec_lo, s23
	s_cbranch_vccnz .LBB68_61
; %bb.50:                               ;   in Loop: Header=BB68_11 Depth=1
	ds_load_b32 v33, v51 offset:48
	v_add_co_u32 v30, vcc_lo, v29, v20
	v_add_co_ci_u32_e32 v31, vcc_lo, v32, v21, vcc_lo
	s_waitcnt lgkmcnt(0)
	global_store_b32 v[30:31], v33, off
	s_cbranch_execnz .LBB68_52
.LBB68_51:                              ;   in Loop: Header=BB68_11 Depth=1
	ds_load_b32 v33, v51 offset:48
	v_lshlrev_b32_e32 v30, 2, v7
	s_delay_alu instid0(VALU_DEP_1)
	v_add_co_u32 v30, vcc_lo, v6, v30
	v_add_co_ci_u32_e32 v31, vcc_lo, 0, v28, vcc_lo
	s_waitcnt lgkmcnt(0)
	global_store_b32 v[30:31], v33, off offset:48
.LBB68_52:                              ;   in Loop: Header=BB68_11 Depth=1
	s_or_b32 exec_lo, exec_lo, s0
	v_mov_b32_e32 v30, 1
	v_mov_b32_e32 v31, 0
	s_and_saveexec_b32 s4, s7
	s_cbranch_execz .LBB68_9
; %bb.53:                               ;   in Loop: Header=BB68_11 Depth=1
	s_and_not1_b32 vcc_lo, exec_lo, s23
	s_cbranch_vccnz .LBB68_62
; %bb.54:                               ;   in Loop: Header=BB68_11 Depth=1
	ds_load_b32 v31, v51 offset:56
	v_add_co_u32 v29, vcc_lo, v29, v22
	v_add_co_ci_u32_e32 v30, vcc_lo, v32, v23, vcc_lo
	s_mov_b64 s[0:1], 1
	s_waitcnt lgkmcnt(0)
	global_store_b32 v[29:30], v31, off
	s_cbranch_execnz .LBB68_8
	s_branch .LBB68_63
.LBB68_55:                              ;   in Loop: Header=BB68_11 Depth=1
	s_branch .LBB68_27
.LBB68_56:                              ;   in Loop: Header=BB68_11 Depth=1
	s_branch .LBB68_31
.LBB68_57:                              ;   in Loop: Header=BB68_11 Depth=1
	s_branch .LBB68_35
.LBB68_58:                              ;   in Loop: Header=BB68_11 Depth=1
	s_branch .LBB68_39
.LBB68_59:                              ;   in Loop: Header=BB68_11 Depth=1
	s_branch .LBB68_43
.LBB68_60:                              ;   in Loop: Header=BB68_11 Depth=1
	s_branch .LBB68_47
.LBB68_61:                              ;   in Loop: Header=BB68_11 Depth=1
	s_branch .LBB68_51
.LBB68_62:                              ;   in Loop: Header=BB68_11 Depth=1
                                        ; implicit-def: $sgpr0_sgpr1
.LBB68_63:                              ;   in Loop: Header=BB68_11 Depth=1
	ds_load_b32 v31, v51 offset:56
	v_lshlrev_b32_e32 v29, 2, v7
	s_mov_b64 s[0:1], 1
	s_delay_alu instid0(VALU_DEP_1)
	v_add_co_u32 v29, vcc_lo, v6, v29
	v_add_co_ci_u32_e32 v30, vcc_lo, 0, v28, vcc_lo
	s_waitcnt lgkmcnt(0)
	global_store_b32 v[29:30], v31, off offset:56
	s_branch .LBB68_8
.LBB68_64:
	s_endpgm
	.section	.rodata,"a",@progbits
	.p2align	6, 0x0
	.amdhsa_kernel _ZN9rocsparseL42csr2bsr_wavefront_per_row_multipass_kernelILj256ELj32ELj16EfllEEv20rocsparse_direction_T4_S2_S2_S2_S2_21rocsparse_index_base_PKT2_PKT3_PKS2_S3_PS4_PS7_PS2_
		.amdhsa_group_segment_fixed_size 8200
		.amdhsa_private_segment_fixed_size 0
		.amdhsa_kernarg_size 112
		.amdhsa_user_sgpr_count 15
		.amdhsa_user_sgpr_dispatch_ptr 0
		.amdhsa_user_sgpr_queue_ptr 0
		.amdhsa_user_sgpr_kernarg_segment_ptr 1
		.amdhsa_user_sgpr_dispatch_id 0
		.amdhsa_user_sgpr_private_segment_size 0
		.amdhsa_wavefront_size32 1
		.amdhsa_uses_dynamic_stack 0
		.amdhsa_enable_private_segment 0
		.amdhsa_system_sgpr_workgroup_id_x 1
		.amdhsa_system_sgpr_workgroup_id_y 0
		.amdhsa_system_sgpr_workgroup_id_z 0
		.amdhsa_system_sgpr_workgroup_info 0
		.amdhsa_system_vgpr_workitem_id 0
		.amdhsa_next_free_vgpr 63
		.amdhsa_next_free_sgpr 34
		.amdhsa_reserve_vcc 1
		.amdhsa_float_round_mode_32 0
		.amdhsa_float_round_mode_16_64 0
		.amdhsa_float_denorm_mode_32 3
		.amdhsa_float_denorm_mode_16_64 3
		.amdhsa_dx10_clamp 1
		.amdhsa_ieee_mode 1
		.amdhsa_fp16_overflow 0
		.amdhsa_workgroup_processor_mode 1
		.amdhsa_memory_ordered 1
		.amdhsa_forward_progress 0
		.amdhsa_shared_vgpr_count 0
		.amdhsa_exception_fp_ieee_invalid_op 0
		.amdhsa_exception_fp_denorm_src 0
		.amdhsa_exception_fp_ieee_div_zero 0
		.amdhsa_exception_fp_ieee_overflow 0
		.amdhsa_exception_fp_ieee_underflow 0
		.amdhsa_exception_fp_ieee_inexact 0
		.amdhsa_exception_int_div_zero 0
	.end_amdhsa_kernel
	.section	.text._ZN9rocsparseL42csr2bsr_wavefront_per_row_multipass_kernelILj256ELj32ELj16EfllEEv20rocsparse_direction_T4_S2_S2_S2_S2_21rocsparse_index_base_PKT2_PKT3_PKS2_S3_PS4_PS7_PS2_,"axG",@progbits,_ZN9rocsparseL42csr2bsr_wavefront_per_row_multipass_kernelILj256ELj32ELj16EfllEEv20rocsparse_direction_T4_S2_S2_S2_S2_21rocsparse_index_base_PKT2_PKT3_PKS2_S3_PS4_PS7_PS2_,comdat
.Lfunc_end68:
	.size	_ZN9rocsparseL42csr2bsr_wavefront_per_row_multipass_kernelILj256ELj32ELj16EfllEEv20rocsparse_direction_T4_S2_S2_S2_S2_21rocsparse_index_base_PKT2_PKT3_PKS2_S3_PS4_PS7_PS2_, .Lfunc_end68-_ZN9rocsparseL42csr2bsr_wavefront_per_row_multipass_kernelILj256ELj32ELj16EfllEEv20rocsparse_direction_T4_S2_S2_S2_S2_21rocsparse_index_base_PKT2_PKT3_PKS2_S3_PS4_PS7_PS2_
                                        ; -- End function
	.section	.AMDGPU.csdata,"",@progbits
; Kernel info:
; codeLenInByte = 3840
; NumSgprs: 36
; NumVgprs: 63
; ScratchSize: 0
; MemoryBound: 0
; FloatMode: 240
; IeeeMode: 1
; LDSByteSize: 8200 bytes/workgroup (compile time only)
; SGPRBlocks: 4
; VGPRBlocks: 7
; NumSGPRsForWavesPerEU: 36
; NumVGPRsForWavesPerEU: 63
; Occupancy: 16
; WaveLimiterHint : 0
; COMPUTE_PGM_RSRC2:SCRATCH_EN: 0
; COMPUTE_PGM_RSRC2:USER_SGPR: 15
; COMPUTE_PGM_RSRC2:TRAP_HANDLER: 0
; COMPUTE_PGM_RSRC2:TGID_X_EN: 1
; COMPUTE_PGM_RSRC2:TGID_Y_EN: 0
; COMPUTE_PGM_RSRC2:TGID_Z_EN: 0
; COMPUTE_PGM_RSRC2:TIDIG_COMP_CNT: 0
	.section	.text._ZN9rocsparseL38csr2bsr_block_per_row_multipass_kernelILj256ELj32EfllEEv20rocsparse_direction_T3_S2_S2_S2_S2_21rocsparse_index_base_PKT1_PKT2_PKS2_S3_PS4_PS7_PS2_,"axG",@progbits,_ZN9rocsparseL38csr2bsr_block_per_row_multipass_kernelILj256ELj32EfllEEv20rocsparse_direction_T3_S2_S2_S2_S2_21rocsparse_index_base_PKT1_PKT2_PKS2_S3_PS4_PS7_PS2_,comdat
	.globl	_ZN9rocsparseL38csr2bsr_block_per_row_multipass_kernelILj256ELj32EfllEEv20rocsparse_direction_T3_S2_S2_S2_S2_21rocsparse_index_base_PKT1_PKT2_PKS2_S3_PS4_PS7_PS2_ ; -- Begin function _ZN9rocsparseL38csr2bsr_block_per_row_multipass_kernelILj256ELj32EfllEEv20rocsparse_direction_T3_S2_S2_S2_S2_21rocsparse_index_base_PKT1_PKT2_PKS2_S3_PS4_PS7_PS2_
	.p2align	8
	.type	_ZN9rocsparseL38csr2bsr_block_per_row_multipass_kernelILj256ELj32EfllEEv20rocsparse_direction_T3_S2_S2_S2_S2_21rocsparse_index_base_PKT1_PKT2_PKS2_S3_PS4_PS7_PS2_,@function
_ZN9rocsparseL38csr2bsr_block_per_row_multipass_kernelILj256ELj32EfllEEv20rocsparse_direction_T3_S2_S2_S2_S2_21rocsparse_index_base_PKT1_PKT2_PKS2_S3_PS4_PS7_PS2_: ; @_ZN9rocsparseL38csr2bsr_block_per_row_multipass_kernelILj256ELj32EfllEEv20rocsparse_direction_T3_S2_S2_S2_S2_21rocsparse_index_base_PKT1_PKT2_PKS2_S3_PS4_PS7_PS2_
; %bb.0:
	s_mov_b32 s2, s15
	s_clause 0x1
	s_load_b128 s[12:15], s[0:1], 0x20
	s_load_b64 s[6:7], s[0:1], 0x8
	v_mov_b32_e32 v5, 0
	v_lshrrev_b32_e32 v4, 3, v0
	v_mov_b32_e32 v1, 0
	v_mov_b32_e32 v2, 0
	s_clause 0x1
	s_load_b32 s28, s[0:1], 0x30
	s_load_b64 s[4:5], s[0:1], 0x40
	s_ashr_i32 s3, s2, 31
	v_dual_mov_b32 v15, v2 :: v_dual_mov_b32 v14, v1
	s_waitcnt lgkmcnt(0)
	v_mad_u64_u32 v[6:7], null, s2, s14, v[4:5]
	s_mul_i32 s8, s2, s15
	s_mul_i32 s9, s3, s14
	s_delay_alu instid0(VALU_DEP_1) | instid1(SALU_CYCLE_1)
	v_add3_u32 v7, s8, s9, v7
	v_cmp_gt_i64_e64 s9, s[14:15], v[4:5]
	s_delay_alu instid0(VALU_DEP_2) | instskip(NEXT) | instid1(VALU_DEP_2)
	v_cmp_gt_i64_e32 vcc_lo, s[6:7], v[6:7]
	s_and_b32 s6, s9, vcc_lo
	s_delay_alu instid0(SALU_CYCLE_1)
	s_and_saveexec_b32 s7, s6
	s_cbranch_execnz .LBB69_3
; %bb.1:
	s_or_b32 exec_lo, exec_lo, s7
	s_and_saveexec_b32 s7, s6
	s_cbranch_execnz .LBB69_4
.LBB69_2:
	s_or_b32 exec_lo, exec_lo, s7
	v_cmp_lt_i64_e64 s4, s[12:13], 1
	s_delay_alu instid0(VALU_DEP_1)
	s_and_b32 vcc_lo, exec_lo, s4
	s_cbranch_vccz .LBB69_5
	s_branch .LBB69_45
.LBB69_3:
	v_lshlrev_b64 v[8:9], 3, v[6:7]
	s_delay_alu instid0(VALU_DEP_1) | instskip(NEXT) | instid1(VALU_DEP_2)
	v_add_co_u32 v8, vcc_lo, s4, v8
	v_add_co_ci_u32_e32 v9, vcc_lo, s5, v9, vcc_lo
	global_load_b64 v[8:9], v[8:9], off
	s_waitcnt vmcnt(0)
	v_sub_co_u32 v14, vcc_lo, v8, s28
	v_subrev_co_ci_u32_e32 v15, vcc_lo, 0, v9, vcc_lo
	s_or_b32 exec_lo, exec_lo, s7
	s_and_saveexec_b32 s7, s6
	s_cbranch_execz .LBB69_2
.LBB69_4:
	v_lshlrev_b64 v[1:2], 3, v[6:7]
	s_delay_alu instid0(VALU_DEP_1) | instskip(NEXT) | instid1(VALU_DEP_2)
	v_add_co_u32 v1, vcc_lo, s4, v1
	v_add_co_ci_u32_e32 v2, vcc_lo, s5, v2, vcc_lo
	global_load_b64 v[1:2], v[1:2], off offset:8
	s_waitcnt vmcnt(0)
	v_sub_co_u32 v1, vcc_lo, v1, s28
	v_subrev_co_ci_u32_e32 v2, vcc_lo, 0, v2, vcc_lo
	s_or_b32 exec_lo, exec_lo, s7
	v_cmp_lt_i64_e64 s4, s[12:13], 1
	s_delay_alu instid0(VALU_DEP_1)
	s_and_b32 vcc_lo, exec_lo, s4
	s_cbranch_vccnz .LBB69_45
.LBB69_5:
	v_mbcnt_lo_u32_b32 v11, -1, 0
	s_clause 0x2
	s_load_b128 s[4:7], s[0:1], 0x58
	s_load_b64 s[16:17], s[0:1], 0x68
	s_load_b32 s29, s[0:1], 0x50
	v_mad_u64_u32 v[7:8], null, v4, s14, 0
	v_and_b32_e32 v5, 7, v0
	v_xor_b32_e32 v9, 4, v11
	v_xor_b32_e32 v12, 2, v11
	;; [unrolled: 1-line block ×3, first 2 shown]
	s_mul_i32 s8, s14, s15
	s_mul_hi_u32 s10, s14, s14
	v_mov_b32_e32 v6, v8
	v_cmp_gt_i32_e32 vcc_lo, 32, v9
	s_clause 0x2
	s_load_b64 s[18:19], s[0:1], 0x48
	s_load_b64 s[20:21], s[0:1], 0x38
	s_load_b32 s11, s[0:1], 0x0
	s_lshl_b64 s[0:1], s[2:3], 3
	s_add_i32 s2, s10, s8
	v_dual_mov_b32 v3, 0 :: v_dual_lshlrev_b32 v10, 2, v4
	v_dual_cndmask_b32 v16, v11, v9 :: v_dual_lshlrev_b32 v35, 3, v0
	v_cmp_gt_i32_e32 vcc_lo, 32, v12
	v_mad_u64_u32 v[8:9], null, v4, s15, v[6:7]
	v_lshlrev_b32_e32 v26, 5, v4
	s_add_i32 s31, s2, s8
	v_cndmask_b32_e32 v4, v11, v12, vcc_lo
	v_cmp_gt_i32_e32 vcc_lo, 32, v13
	s_waitcnt lgkmcnt(0)
	s_add_u32 s0, s6, s0
	s_addc_u32 s1, s7, s1
	v_lshlrev_b64 v[7:8], 2, v[7:8]
	s_load_b64 s[0:1], s[0:1], 0x0
	v_cndmask_b32_e32 v9, v11, v13, vcc_lo
	v_lshl_or_b32 v32, v11, 2, 28
	v_or_b32_e32 v11, 16, v5
	v_dual_mov_b32 v6, v3 :: v_dual_lshlrev_b32 v27, 2, v16
	s_delay_alu instid0(VALU_DEP_4)
	v_lshlrev_b32_e32 v31, 2, v9
	v_dual_mov_b32 v19, v3 :: v_dual_lshlrev_b32 v28, 2, v4
	v_lshlrev_b32_e32 v4, 2, v5
	v_add_co_u32 v7, vcc_lo, s4, v7
	v_add_co_ci_u32_e32 v8, vcc_lo, s5, v8, vcc_lo
	v_or_b32_e32 v9, 8, v5
	s_delay_alu instid0(VALU_DEP_3) | instskip(NEXT) | instid1(VALU_DEP_3)
	v_add_co_u32 v33, vcc_lo, v7, v4
	v_add_co_ci_u32_e32 v34, vcc_lo, 0, v8, vcc_lo
	v_mad_u64_u32 v[7:8], null, v5, s14, 0
	v_or_b32_e32 v4, v26, v5
	v_mad_u64_u32 v[16:17], null, v9, s14, 0
	v_or_b32_e32 v18, 24, v5
	v_add_co_u32 v29, s2, s4, v10
	s_waitcnt lgkmcnt(0)
	s_sub_u32 s22, s0, s29
	v_add_co_ci_u32_e64 v30, null, s5, 0, s2
	s_subb_u32 s23, s1, 0
	v_cmp_gt_u32_e64 s1, 0x80, v0
	v_cmp_gt_u32_e64 s2, 64, v0
	;; [unrolled: 1-line block ×7, first 2 shown]
	v_cmp_eq_u32_e64 s8, 0, v0
	v_lshlrev_b32_e32 v0, 2, v4
	v_mov_b32_e32 v4, v8
	v_mad_u64_u32 v[20:21], null, v11, s14, 0
	v_mad_u64_u32 v[22:23], null, v18, s14, 0
	s_delay_alu instid0(VALU_DEP_3)
	v_mad_u64_u32 v[24:25], null, v5, s15, v[4:5]
	v_mov_b32_e32 v4, v17
	v_cmp_gt_i64_e32 vcc_lo, s[14:15], v[5:6]
	v_mov_b32_e32 v10, v3
	v_mov_b32_e32 v6, v21
	;; [unrolled: 1-line block ×3, first 2 shown]
	v_mad_u64_u32 v[36:37], null, v9, s15, v[4:5]
	v_mov_b32_e32 v4, v23
	v_cmp_gt_i64_e64 s10, s[14:15], v[9:10]
	v_mad_u64_u32 v[9:10], null, v11, s15, v[6:7]
	s_cmp_eq_u32 s11, 0
	v_cmp_gt_i64_e64 s11, s[14:15], v[11:12]
	v_mad_u64_u32 v[10:11], null, v18, s15, v[4:5]
	v_mov_b32_e32 v8, v24
	v_mov_b32_e32 v17, v36
	;; [unrolled: 1-line block ×3, first 2 shown]
	s_cselect_b32 s0, -1, 0
	s_and_b32 s33, s9, vcc_lo
	v_cmp_gt_i64_e32 vcc_lo, s[14:15], v[18:19]
	v_mov_b32_e32 v23, v10
	v_lshlrev_b64 v[6:7], 2, v[7:8]
	v_lshlrev_b64 v[8:9], 2, v[16:17]
	;; [unrolled: 1-line block ×3, first 2 shown]
	v_mov_b32_e32 v36, 1
	v_lshlrev_b64 v[12:13], 2, v[22:23]
	s_mul_i32 s30, s14, s14
	s_and_b32 s34, s9, s10
	s_and_b32 s35, s9, s11
	s_and_b32 s36, s9, vcc_lo
	s_mov_b64 s[24:25], 0
	s_ashr_i32 s10, s15, 31
	s_branch .LBB69_7
.LBB69_6:                               ;   in Loop: Header=BB69_7 Depth=1
	s_or_b32 exec_lo, exec_lo, s9
	s_waitcnt lgkmcnt(0)
	s_barrier
	buffer_gl0_inv
	ds_load_b64 v[16:17], v3
	s_add_u32 s22, s26, s22
	s_addc_u32 s23, s27, s23
	s_waitcnt lgkmcnt(0)
	s_barrier
	buffer_gl0_inv
	v_cmp_gt_i64_e32 vcc_lo, s[12:13], v[16:17]
	v_readfirstlane_b32 s24, v16
	v_readfirstlane_b32 s25, v17
	s_cbranch_vccz .LBB69_45
.LBB69_7:                               ; =>This Loop Header: Depth=1
                                        ;     Child Loop BB69_10 Depth 2
	v_add_co_u32 v14, vcc_lo, v14, v5
	v_add_co_ci_u32_e32 v15, vcc_lo, 0, v15, vcc_lo
	v_dual_mov_b32 v17, s13 :: v_dual_mov_b32 v16, s12
	v_dual_mov_b32 v25, v2 :: v_dual_mov_b32 v24, v1
	s_mov_b32 s37, exec_lo
	ds_store_b8 v3, v3 offset:4096
	ds_store_2addr_b32 v0, v3, v3 offset1:8
	ds_store_2addr_b32 v0, v3, v3 offset0:16 offset1:24
	s_waitcnt lgkmcnt(0)
	s_barrier
	buffer_gl0_inv
	v_cmpx_lt_i64_e64 v[14:15], v[1:2]
	s_cbranch_execz .LBB69_19
; %bb.8:                                ;   in Loop: Header=BB69_7 Depth=1
	v_lshlrev_b64 v[16:17], 2, v[14:15]
	v_lshlrev_b64 v[20:21], 3, v[14:15]
	v_dual_mov_b32 v23, v2 :: v_dual_mov_b32 v22, v1
	s_mul_i32 s39, s24, s14
	s_mov_b32 s38, 0
	s_delay_alu instid0(VALU_DEP_3)
	v_add_co_u32 v18, vcc_lo, s20, v16
	v_add_co_ci_u32_e32 v19, vcc_lo, s21, v17, vcc_lo
	v_add_co_u32 v20, vcc_lo, s18, v20
	v_add_co_ci_u32_e32 v21, vcc_lo, s19, v21, vcc_lo
	v_dual_mov_b32 v17, s13 :: v_dual_mov_b32 v16, s12
	s_branch .LBB69_10
.LBB69_9:                               ;   in Loop: Header=BB69_10 Depth=2
	s_or_b32 exec_lo, exec_lo, s9
	v_add_co_u32 v14, s9, v14, 8
	s_delay_alu instid0(VALU_DEP_1) | instskip(SKIP_2) | instid1(VALU_DEP_2)
	v_add_co_ci_u32_e64 v15, s9, 0, v15, s9
	s_xor_b32 s11, vcc_lo, -1
	v_add_co_u32 v18, vcc_lo, v18, 32
	v_cmp_ge_i64_e64 s9, v[14:15], v[1:2]
	v_add_co_ci_u32_e32 v19, vcc_lo, 0, v19, vcc_lo
	v_add_co_u32 v20, vcc_lo, v20, 64
	v_add_co_ci_u32_e32 v21, vcc_lo, 0, v21, vcc_lo
	s_delay_alu instid0(VALU_DEP_4) | instskip(SKIP_2) | instid1(SALU_CYCLE_1)
	s_or_b32 s9, s11, s9
	v_dual_mov_b32 v22, v24 :: v_dual_mov_b32 v23, v25
	s_and_b32 s9, exec_lo, s9
	s_or_b32 s38, s9, s38
	s_delay_alu instid0(SALU_CYCLE_1)
	s_and_not1_b32 exec_lo, exec_lo, s38
	s_cbranch_execz .LBB69_18
.LBB69_10:                              ;   Parent Loop BB69_7 Depth=1
                                        ; =>  This Inner Loop Header: Depth=2
	global_load_b64 v[24:25], v[20:21], off
	s_mov_b32 s9, exec_lo
	s_waitcnt vmcnt(0)
	v_sub_co_u32 v37, vcc_lo, v24, s28
	v_subrev_co_ci_u32_e32 v38, vcc_lo, 0, v25, vcc_lo
                                        ; implicit-def: $vgpr24_vgpr25
	s_delay_alu instid0(VALU_DEP_1) | instskip(NEXT) | instid1(VALU_DEP_1)
	v_or_b32_e32 v4, s15, v38
	v_cmpx_ne_u64_e32 0, v[3:4]
	s_xor_b32 s40, exec_lo, s9
	s_cbranch_execz .LBB69_12
; %bb.11:                               ;   in Loop: Header=BB69_10 Depth=2
	s_add_u32 s26, s14, s10
	s_mov_b32 s11, s10
	s_addc_u32 s27, s15, s10
	s_delay_alu instid0(SALU_CYCLE_1) | instskip(NEXT) | instid1(SALU_CYCLE_1)
	s_xor_b64 s[26:27], s[26:27], s[10:11]
	v_cvt_f32_u32_e32 v4, s26
	v_cvt_f32_u32_e32 v24, s27
	s_sub_u32 s9, 0, s26
	s_subb_u32 s11, 0, s27
	s_delay_alu instid0(VALU_DEP_1) | instskip(NEXT) | instid1(VALU_DEP_1)
	v_fmac_f32_e32 v4, 0x4f800000, v24
	v_rcp_f32_e32 v4, v4
	s_waitcnt_depctr 0xfff
	v_mul_f32_e32 v4, 0x5f7ffffc, v4
	s_delay_alu instid0(VALU_DEP_1) | instskip(NEXT) | instid1(VALU_DEP_1)
	v_mul_f32_e32 v24, 0x2f800000, v4
	v_trunc_f32_e32 v24, v24
	s_delay_alu instid0(VALU_DEP_1) | instskip(SKIP_1) | instid1(VALU_DEP_2)
	v_fmac_f32_e32 v4, 0xcf800000, v24
	v_cvt_u32_f32_e32 v24, v24
	v_cvt_u32_f32_e32 v4, v4
	s_delay_alu instid0(VALU_DEP_2) | instskip(NEXT) | instid1(VALU_DEP_2)
	v_mul_lo_u32 v25, s9, v24
	v_mul_hi_u32 v39, s9, v4
	v_mul_lo_u32 v40, s11, v4
	s_delay_alu instid0(VALU_DEP_2) | instskip(SKIP_1) | instid1(VALU_DEP_2)
	v_add_nc_u32_e32 v25, v39, v25
	v_mul_lo_u32 v39, s9, v4
	v_add_nc_u32_e32 v25, v25, v40
	s_delay_alu instid0(VALU_DEP_2) | instskip(NEXT) | instid1(VALU_DEP_2)
	v_mul_hi_u32 v40, v4, v39
	v_mul_lo_u32 v41, v4, v25
	v_mul_hi_u32 v42, v4, v25
	v_mul_hi_u32 v43, v24, v39
	v_mul_lo_u32 v39, v24, v39
	v_mul_hi_u32 v44, v24, v25
	v_mul_lo_u32 v25, v24, v25
	v_add_co_u32 v40, vcc_lo, v40, v41
	v_add_co_ci_u32_e32 v41, vcc_lo, 0, v42, vcc_lo
	s_delay_alu instid0(VALU_DEP_2) | instskip(NEXT) | instid1(VALU_DEP_2)
	v_add_co_u32 v39, vcc_lo, v40, v39
	v_add_co_ci_u32_e32 v39, vcc_lo, v41, v43, vcc_lo
	v_add_co_ci_u32_e32 v40, vcc_lo, 0, v44, vcc_lo
	v_ashrrev_i32_e32 v43, 31, v38
	s_delay_alu instid0(VALU_DEP_3) | instskip(NEXT) | instid1(VALU_DEP_3)
	v_add_co_u32 v25, vcc_lo, v39, v25
	v_add_co_ci_u32_e32 v39, vcc_lo, 0, v40, vcc_lo
	s_delay_alu instid0(VALU_DEP_2) | instskip(NEXT) | instid1(VALU_DEP_2)
	v_add_co_u32 v4, vcc_lo, v4, v25
	v_add_co_ci_u32_e32 v24, vcc_lo, v24, v39, vcc_lo
	s_delay_alu instid0(VALU_DEP_2) | instskip(SKIP_1) | instid1(VALU_DEP_3)
	v_mul_hi_u32 v25, s9, v4
	v_mul_lo_u32 v40, s11, v4
	v_mul_lo_u32 v39, s9, v24
	s_delay_alu instid0(VALU_DEP_1) | instskip(SKIP_1) | instid1(VALU_DEP_2)
	v_add_nc_u32_e32 v25, v25, v39
	v_mul_lo_u32 v39, s9, v4
	v_add_nc_u32_e32 v25, v25, v40
	s_delay_alu instid0(VALU_DEP_2) | instskip(NEXT) | instid1(VALU_DEP_2)
	v_mul_hi_u32 v40, v4, v39
	v_mul_lo_u32 v41, v4, v25
	v_mul_hi_u32 v42, v4, v25
	v_mul_hi_u32 v44, v24, v39
	v_mul_lo_u32 v39, v24, v39
	v_mul_hi_u32 v45, v24, v25
	v_mul_lo_u32 v25, v24, v25
	v_add_co_u32 v40, vcc_lo, v40, v41
	v_add_co_ci_u32_e32 v41, vcc_lo, 0, v42, vcc_lo
	s_delay_alu instid0(VALU_DEP_2) | instskip(NEXT) | instid1(VALU_DEP_2)
	v_add_co_u32 v39, vcc_lo, v40, v39
	v_add_co_ci_u32_e32 v39, vcc_lo, v41, v44, vcc_lo
	v_add_co_ci_u32_e32 v40, vcc_lo, 0, v45, vcc_lo
	v_add_co_u32 v41, vcc_lo, v37, v43
	v_add_co_ci_u32_e32 v38, vcc_lo, v38, v43, vcc_lo
	s_delay_alu instid0(VALU_DEP_4) | instskip(NEXT) | instid1(VALU_DEP_4)
	v_add_co_u32 v25, vcc_lo, v39, v25
	v_add_co_ci_u32_e32 v39, vcc_lo, 0, v40, vcc_lo
	s_delay_alu instid0(VALU_DEP_4) | instskip(NEXT) | instid1(VALU_DEP_3)
	v_xor_b32_e32 v42, v41, v43
	v_add_co_u32 v4, vcc_lo, v4, v25
	s_delay_alu instid0(VALU_DEP_3) | instskip(SKIP_1) | instid1(VALU_DEP_3)
	v_add_co_ci_u32_e32 v44, vcc_lo, v24, v39, vcc_lo
	v_xor_b32_e32 v45, v38, v43
	v_mul_hi_u32 v46, v42, v4
	s_delay_alu instid0(VALU_DEP_3) | instskip(NEXT) | instid1(VALU_DEP_3)
	v_mad_u64_u32 v[24:25], null, v42, v44, 0
	v_mad_u64_u32 v[38:39], null, v45, v4, 0
	;; [unrolled: 1-line block ×3, first 2 shown]
	s_delay_alu instid0(VALU_DEP_3) | instskip(NEXT) | instid1(VALU_DEP_4)
	v_add_co_u32 v4, vcc_lo, v46, v24
	v_add_co_ci_u32_e32 v24, vcc_lo, 0, v25, vcc_lo
	s_delay_alu instid0(VALU_DEP_2) | instskip(NEXT) | instid1(VALU_DEP_2)
	v_add_co_u32 v4, vcc_lo, v4, v38
	v_add_co_ci_u32_e32 v4, vcc_lo, v24, v39, vcc_lo
	v_add_co_ci_u32_e32 v24, vcc_lo, 0, v41, vcc_lo
	s_delay_alu instid0(VALU_DEP_2) | instskip(NEXT) | instid1(VALU_DEP_2)
	v_add_co_u32 v4, vcc_lo, v4, v40
	v_add_co_ci_u32_e32 v38, vcc_lo, 0, v24, vcc_lo
	s_delay_alu instid0(VALU_DEP_2) | instskip(SKIP_1) | instid1(VALU_DEP_3)
	v_mul_lo_u32 v39, s27, v4
	v_mad_u64_u32 v[24:25], null, s26, v4, 0
	v_mul_lo_u32 v40, s26, v38
	s_delay_alu instid0(VALU_DEP_2) | instskip(NEXT) | instid1(VALU_DEP_2)
	v_sub_co_u32 v24, vcc_lo, v42, v24
	v_add3_u32 v25, v25, v40, v39
	s_delay_alu instid0(VALU_DEP_1) | instskip(NEXT) | instid1(VALU_DEP_1)
	v_sub_nc_u32_e32 v39, v45, v25
	v_subrev_co_ci_u32_e64 v39, s9, s27, v39, vcc_lo
	v_add_co_u32 v40, s9, v4, 2
	s_delay_alu instid0(VALU_DEP_1) | instskip(SKIP_3) | instid1(VALU_DEP_3)
	v_add_co_ci_u32_e64 v41, s9, 0, v38, s9
	v_sub_co_u32 v42, s9, v24, s26
	v_sub_co_ci_u32_e32 v25, vcc_lo, v45, v25, vcc_lo
	v_subrev_co_ci_u32_e64 v39, s9, 0, v39, s9
	v_cmp_le_u32_e32 vcc_lo, s26, v42
	s_delay_alu instid0(VALU_DEP_3) | instskip(SKIP_1) | instid1(VALU_DEP_4)
	v_cmp_eq_u32_e64 s9, s27, v25
	v_cndmask_b32_e64 v42, 0, -1, vcc_lo
	v_cmp_le_u32_e32 vcc_lo, s27, v39
	v_cndmask_b32_e64 v44, 0, -1, vcc_lo
	v_cmp_le_u32_e32 vcc_lo, s26, v24
	;; [unrolled: 2-line block ×3, first 2 shown]
	v_cndmask_b32_e64 v45, 0, -1, vcc_lo
	v_cmp_eq_u32_e32 vcc_lo, s27, v39
	s_delay_alu instid0(VALU_DEP_2) | instskip(SKIP_3) | instid1(VALU_DEP_3)
	v_cndmask_b32_e64 v24, v45, v24, s9
	v_cndmask_b32_e32 v39, v44, v42, vcc_lo
	v_add_co_u32 v42, vcc_lo, v4, 1
	v_add_co_ci_u32_e32 v44, vcc_lo, 0, v38, vcc_lo
	v_cmp_ne_u32_e32 vcc_lo, 0, v39
	s_delay_alu instid0(VALU_DEP_2) | instskip(NEXT) | instid1(VALU_DEP_4)
	v_cndmask_b32_e32 v25, v44, v41, vcc_lo
	v_cndmask_b32_e32 v39, v42, v40, vcc_lo
	v_cmp_ne_u32_e32 vcc_lo, 0, v24
	v_xor_b32_e32 v40, s10, v43
	s_delay_alu instid0(VALU_DEP_3) | instskip(SKIP_1) | instid1(VALU_DEP_2)
	v_cndmask_b32_e32 v4, v4, v39, vcc_lo
	v_cndmask_b32_e32 v24, v38, v25, vcc_lo
	v_xor_b32_e32 v4, v4, v40
	s_delay_alu instid0(VALU_DEP_2) | instskip(NEXT) | instid1(VALU_DEP_2)
	v_xor_b32_e32 v25, v24, v40
	v_sub_co_u32 v24, vcc_lo, v4, v40
	s_delay_alu instid0(VALU_DEP_2)
	v_sub_co_ci_u32_e32 v25, vcc_lo, v25, v40, vcc_lo
.LBB69_12:                              ;   in Loop: Header=BB69_10 Depth=2
	s_and_not1_saveexec_b32 s9, s40
	s_cbranch_execz .LBB69_14
; %bb.13:                               ;   in Loop: Header=BB69_10 Depth=2
	v_cvt_f32_u32_e32 v4, s14
	s_sub_i32 s11, 0, s14
	s_delay_alu instid0(VALU_DEP_1) | instskip(SKIP_2) | instid1(VALU_DEP_1)
	v_rcp_iflag_f32_e32 v4, v4
	s_waitcnt_depctr 0xfff
	v_mul_f32_e32 v4, 0x4f7ffffe, v4
	v_cvt_u32_f32_e32 v4, v4
	s_delay_alu instid0(VALU_DEP_1) | instskip(NEXT) | instid1(VALU_DEP_1)
	v_mul_lo_u32 v24, s11, v4
	v_mul_hi_u32 v24, v4, v24
	s_delay_alu instid0(VALU_DEP_1) | instskip(NEXT) | instid1(VALU_DEP_1)
	v_add_nc_u32_e32 v4, v4, v24
	v_mul_hi_u32 v4, v37, v4
	s_delay_alu instid0(VALU_DEP_1) | instskip(NEXT) | instid1(VALU_DEP_1)
	v_mul_lo_u32 v24, v4, s14
	v_sub_nc_u32_e32 v24, v37, v24
	s_delay_alu instid0(VALU_DEP_1) | instskip(SKIP_1) | instid1(VALU_DEP_2)
	v_subrev_nc_u32_e32 v38, s14, v24
	v_cmp_le_u32_e32 vcc_lo, s14, v24
	v_dual_cndmask_b32 v24, v24, v38 :: v_dual_add_nc_u32 v25, 1, v4
	s_delay_alu instid0(VALU_DEP_1) | instskip(NEXT) | instid1(VALU_DEP_2)
	v_cndmask_b32_e32 v4, v4, v25, vcc_lo
	v_cmp_le_u32_e32 vcc_lo, s14, v24
	s_delay_alu instid0(VALU_DEP_2) | instskip(NEXT) | instid1(VALU_DEP_1)
	v_add_nc_u32_e32 v25, 1, v4
	v_dual_cndmask_b32 v24, v4, v25 :: v_dual_mov_b32 v25, v3
.LBB69_14:                              ;   in Loop: Header=BB69_10 Depth=2
	s_or_b32 exec_lo, exec_lo, s9
	s_delay_alu instid0(VALU_DEP_1)
	v_cmp_eq_u64_e32 vcc_lo, s[24:25], v[24:25]
	s_mov_b32 s11, exec_lo
	v_cmpx_ne_u64_e64 s[24:25], v[24:25]
	s_xor_b32 s11, exec_lo, s11
; %bb.15:                               ;   in Loop: Header=BB69_10 Depth=2
	v_cmp_lt_i64_e64 s9, v[24:25], v[16:17]
                                        ; implicit-def: $vgpr37
                                        ; implicit-def: $vgpr22_vgpr23
	s_delay_alu instid0(VALU_DEP_1)
	v_cndmask_b32_e64 v17, v17, v25, s9
	v_cndmask_b32_e64 v16, v16, v24, s9
; %bb.16:                               ;   in Loop: Header=BB69_10 Depth=2
	s_or_saveexec_b32 s9, s11
	v_dual_mov_b32 v25, v15 :: v_dual_mov_b32 v24, v14
	s_xor_b32 exec_lo, exec_lo, s9
	s_cbranch_execz .LBB69_9
; %bb.17:                               ;   in Loop: Header=BB69_10 Depth=2
	global_load_b32 v4, v[18:19], off
	v_subrev_nc_u32_e32 v24, s39, v37
	s_delay_alu instid0(VALU_DEP_1)
	v_add_lshl_u32 v37, v26, v24, 2
	v_dual_mov_b32 v25, v23 :: v_dual_mov_b32 v24, v22
	ds_store_b8 v3, v36 offset:4096
	s_waitcnt vmcnt(0)
	ds_store_b32 v37, v4
	s_branch .LBB69_9
.LBB69_18:                              ;   in Loop: Header=BB69_7 Depth=1
	s_or_b32 exec_lo, exec_lo, s38
.LBB69_19:                              ;   in Loop: Header=BB69_7 Depth=1
	s_delay_alu instid0(SALU_CYCLE_1)
	s_or_b32 exec_lo, exec_lo, s37
	ds_bpermute_b32 v14, v27, v24
	ds_bpermute_b32 v15, v27, v25
	s_waitcnt lgkmcnt(0)
	s_barrier
	buffer_gl0_inv
	ds_load_u8 v4, v3 offset:4096
	s_mov_b64 s[26:27], 0
	v_cmp_lt_i64_e32 vcc_lo, v[14:15], v[24:25]
	v_dual_cndmask_b32 v15, v25, v15 :: v_dual_cndmask_b32 v14, v24, v14
	ds_bpermute_b32 v19, v28, v15
	ds_bpermute_b32 v18, v28, v14
	s_waitcnt lgkmcnt(0)
	v_cmp_lt_i64_e32 vcc_lo, v[18:19], v[14:15]
	v_dual_cndmask_b32 v15, v15, v19 :: v_dual_cndmask_b32 v14, v14, v18
	ds_bpermute_b32 v19, v31, v15
	ds_bpermute_b32 v18, v31, v14
	s_waitcnt lgkmcnt(0)
	v_cmp_lt_i64_e32 vcc_lo, v[18:19], v[14:15]
	v_dual_cndmask_b32 v15, v15, v19 :: v_dual_cndmask_b32 v14, v14, v18
	v_cmp_eq_u32_e32 vcc_lo, 0, v4
	ds_bpermute_b32 v15, v32, v15
	ds_bpermute_b32 v14, v32, v14
	s_cbranch_vccnz .LBB69_26
; %bb.20:                               ;   in Loop: Header=BB69_7 Depth=1
	s_add_u32 s24, s24, s29
	s_addc_u32 s25, s25, 0
	s_lshl_b64 s[26:27], s[22:23], 3
	s_mul_i32 s9, s30, s23
	s_mul_hi_u32 s11, s30, s22
	s_add_u32 s26, s16, s26
	s_addc_u32 s27, s17, s27
	s_add_i32 s9, s11, s9
	s_mul_i32 s11, s31, s22
	s_mul_i32 s38, s30, s22
	s_add_i32 s39, s9, s11
	v_dual_mov_b32 v21, s24 :: v_dual_mov_b32 v22, s25
	s_lshl_b64 s[24:25], s[38:39], 2
	s_delay_alu instid0(SALU_CYCLE_1)
	v_add_co_u32 v4, vcc_lo, v29, s24
	v_add_co_ci_u32_e32 v18, vcc_lo, s25, v30, vcc_lo
	v_add_co_u32 v19, vcc_lo, v33, s24
	v_add_co_ci_u32_e32 v20, vcc_lo, s25, v34, vcc_lo
	global_store_b64 v3, v[21:22], s[26:27]
	s_and_saveexec_b32 s9, s33
	s_cbranch_execnz .LBB69_42
; %bb.21:                               ;   in Loop: Header=BB69_7 Depth=1
	s_or_b32 exec_lo, exec_lo, s9
	s_and_saveexec_b32 s9, s34
	s_cbranch_execnz .LBB69_43
.LBB69_22:                              ;   in Loop: Header=BB69_7 Depth=1
	s_or_b32 exec_lo, exec_lo, s9
	s_and_saveexec_b32 s9, s35
	s_cbranch_execnz .LBB69_44
.LBB69_23:                              ;   in Loop: Header=BB69_7 Depth=1
	s_or_b32 exec_lo, exec_lo, s9
	s_and_saveexec_b32 s9, s36
	s_cbranch_execz .LBB69_25
.LBB69_24:                              ;   in Loop: Header=BB69_7 Depth=1
	ds_load_b32 v21, v0 offset:96
	v_add_co_u32 v22, vcc_lo, 0x60, v19
	v_add_co_ci_u32_e32 v19, vcc_lo, 0, v20, vcc_lo
	v_add_co_u32 v4, vcc_lo, v4, v12
	v_add_co_ci_u32_e32 v18, vcc_lo, v18, v13, vcc_lo
	s_delay_alu instid0(VALU_DEP_1) | instskip(NEXT) | instid1(VALU_DEP_3)
	v_cndmask_b32_e64 v19, v18, v19, s0
	v_cndmask_b32_e64 v18, v4, v22, s0
	s_waitcnt lgkmcnt(0)
	global_store_b32 v[18:19], v21, off
.LBB69_25:                              ;   in Loop: Header=BB69_7 Depth=1
	s_or_b32 exec_lo, exec_lo, s9
	s_mov_b64 s[26:27], 1
.LBB69_26:                              ;   in Loop: Header=BB69_7 Depth=1
	s_waitcnt lgkmcnt(0)
	s_waitcnt_vscnt null, 0x0
	s_barrier
	buffer_gl0_inv
	ds_store_b64 v35, v[16:17]
	s_waitcnt lgkmcnt(0)
	s_barrier
	buffer_gl0_inv
	s_and_saveexec_b32 s9, s1
	s_cbranch_execz .LBB69_28
; %bb.27:                               ;   in Loop: Header=BB69_7 Depth=1
	ds_load_2addr_stride64_b64 v[16:19], v35 offset1:2
	s_waitcnt lgkmcnt(0)
	v_cmp_lt_i64_e32 vcc_lo, v[18:19], v[16:17]
	v_dual_cndmask_b32 v17, v17, v19 :: v_dual_cndmask_b32 v16, v16, v18
	ds_store_b64 v35, v[16:17]
.LBB69_28:                              ;   in Loop: Header=BB69_7 Depth=1
	s_or_b32 exec_lo, exec_lo, s9
	s_waitcnt lgkmcnt(0)
	s_barrier
	buffer_gl0_inv
	s_and_saveexec_b32 s9, s2
	s_cbranch_execz .LBB69_30
; %bb.29:                               ;   in Loop: Header=BB69_7 Depth=1
	ds_load_2addr_stride64_b64 v[16:19], v35 offset1:1
	s_waitcnt lgkmcnt(0)
	v_cmp_lt_i64_e32 vcc_lo, v[18:19], v[16:17]
	v_dual_cndmask_b32 v17, v17, v19 :: v_dual_cndmask_b32 v16, v16, v18
	ds_store_b64 v35, v[16:17]
.LBB69_30:                              ;   in Loop: Header=BB69_7 Depth=1
	s_or_b32 exec_lo, exec_lo, s9
	s_waitcnt lgkmcnt(0)
	s_barrier
	buffer_gl0_inv
	s_and_saveexec_b32 s9, s3
	s_cbranch_execz .LBB69_32
; %bb.31:                               ;   in Loop: Header=BB69_7 Depth=1
	ds_load_2addr_b64 v[16:19], v35 offset1:32
	s_waitcnt lgkmcnt(0)
	v_cmp_lt_i64_e32 vcc_lo, v[18:19], v[16:17]
	v_dual_cndmask_b32 v17, v17, v19 :: v_dual_cndmask_b32 v16, v16, v18
	ds_store_b64 v35, v[16:17]
.LBB69_32:                              ;   in Loop: Header=BB69_7 Depth=1
	s_or_b32 exec_lo, exec_lo, s9
	s_waitcnt lgkmcnt(0)
	s_barrier
	buffer_gl0_inv
	s_and_saveexec_b32 s9, s4
	s_cbranch_execz .LBB69_34
; %bb.33:                               ;   in Loop: Header=BB69_7 Depth=1
	ds_load_2addr_b64 v[16:19], v35 offset1:16
	s_waitcnt lgkmcnt(0)
	v_cmp_lt_i64_e32 vcc_lo, v[18:19], v[16:17]
	v_dual_cndmask_b32 v17, v17, v19 :: v_dual_cndmask_b32 v16, v16, v18
	ds_store_b64 v35, v[16:17]
.LBB69_34:                              ;   in Loop: Header=BB69_7 Depth=1
	;; [unrolled: 13-line block ×5, first 2 shown]
	s_or_b32 exec_lo, exec_lo, s9
	s_waitcnt lgkmcnt(0)
	s_barrier
	buffer_gl0_inv
	s_and_saveexec_b32 s9, s8
	s_cbranch_execz .LBB69_6
; %bb.41:                               ;   in Loop: Header=BB69_7 Depth=1
	ds_load_b128 v[16:19], v3
	s_waitcnt lgkmcnt(0)
	v_cmp_lt_i64_e32 vcc_lo, v[18:19], v[16:17]
	v_dual_cndmask_b32 v17, v17, v19 :: v_dual_cndmask_b32 v16, v16, v18
	ds_store_b64 v3, v[16:17]
	s_branch .LBB69_6
.LBB69_42:                              ;   in Loop: Header=BB69_7 Depth=1
	ds_load_b32 v23, v0
	v_add_co_u32 v21, vcc_lo, v4, v6
	v_add_co_ci_u32_e32 v22, vcc_lo, v18, v7, vcc_lo
	s_delay_alu instid0(VALU_DEP_2) | instskip(NEXT) | instid1(VALU_DEP_2)
	v_cndmask_b32_e64 v21, v21, v19, s0
	v_cndmask_b32_e64 v22, v22, v20, s0
	s_waitcnt lgkmcnt(0)
	global_store_b32 v[21:22], v23, off
	s_or_b32 exec_lo, exec_lo, s9
	s_and_saveexec_b32 s9, s34
	s_cbranch_execz .LBB69_22
.LBB69_43:                              ;   in Loop: Header=BB69_7 Depth=1
	ds_load_b32 v23, v0 offset:32
	v_add_co_u32 v21, vcc_lo, v19, 32
	v_add_co_ci_u32_e32 v22, vcc_lo, 0, v20, vcc_lo
	v_add_co_u32 v24, vcc_lo, v4, v8
	v_add_co_ci_u32_e32 v25, vcc_lo, v18, v9, vcc_lo
	s_delay_alu instid0(VALU_DEP_2) | instskip(NEXT) | instid1(VALU_DEP_2)
	v_cndmask_b32_e64 v21, v24, v21, s0
	v_cndmask_b32_e64 v22, v25, v22, s0
	s_waitcnt lgkmcnt(0)
	global_store_b32 v[21:22], v23, off
	s_or_b32 exec_lo, exec_lo, s9
	s_and_saveexec_b32 s9, s35
	s_cbranch_execz .LBB69_23
.LBB69_44:                              ;   in Loop: Header=BB69_7 Depth=1
	ds_load_b32 v23, v0 offset:64
	v_add_co_u32 v21, vcc_lo, v19, 64
	v_add_co_ci_u32_e32 v22, vcc_lo, 0, v20, vcc_lo
	v_add_co_u32 v24, vcc_lo, v4, v10
	v_add_co_ci_u32_e32 v25, vcc_lo, v18, v11, vcc_lo
	s_delay_alu instid0(VALU_DEP_2) | instskip(NEXT) | instid1(VALU_DEP_2)
	v_cndmask_b32_e64 v21, v24, v21, s0
	v_cndmask_b32_e64 v22, v25, v22, s0
	s_waitcnt lgkmcnt(0)
	global_store_b32 v[21:22], v23, off
	s_or_b32 exec_lo, exec_lo, s9
	s_and_saveexec_b32 s9, s36
	s_cbranch_execnz .LBB69_24
	s_branch .LBB69_25
.LBB69_45:
	s_endpgm
	.section	.rodata,"a",@progbits
	.p2align	6, 0x0
	.amdhsa_kernel _ZN9rocsparseL38csr2bsr_block_per_row_multipass_kernelILj256ELj32EfllEEv20rocsparse_direction_T3_S2_S2_S2_S2_21rocsparse_index_base_PKT1_PKT2_PKS2_S3_PS4_PS7_PS2_
		.amdhsa_group_segment_fixed_size 4100
		.amdhsa_private_segment_fixed_size 0
		.amdhsa_kernarg_size 112
		.amdhsa_user_sgpr_count 15
		.amdhsa_user_sgpr_dispatch_ptr 0
		.amdhsa_user_sgpr_queue_ptr 0
		.amdhsa_user_sgpr_kernarg_segment_ptr 1
		.amdhsa_user_sgpr_dispatch_id 0
		.amdhsa_user_sgpr_private_segment_size 0
		.amdhsa_wavefront_size32 1
		.amdhsa_uses_dynamic_stack 0
		.amdhsa_enable_private_segment 0
		.amdhsa_system_sgpr_workgroup_id_x 1
		.amdhsa_system_sgpr_workgroup_id_y 0
		.amdhsa_system_sgpr_workgroup_id_z 0
		.amdhsa_system_sgpr_workgroup_info 0
		.amdhsa_system_vgpr_workitem_id 0
		.amdhsa_next_free_vgpr 47
		.amdhsa_next_free_sgpr 41
		.amdhsa_reserve_vcc 1
		.amdhsa_float_round_mode_32 0
		.amdhsa_float_round_mode_16_64 0
		.amdhsa_float_denorm_mode_32 3
		.amdhsa_float_denorm_mode_16_64 3
		.amdhsa_dx10_clamp 1
		.amdhsa_ieee_mode 1
		.amdhsa_fp16_overflow 0
		.amdhsa_workgroup_processor_mode 1
		.amdhsa_memory_ordered 1
		.amdhsa_forward_progress 0
		.amdhsa_shared_vgpr_count 0
		.amdhsa_exception_fp_ieee_invalid_op 0
		.amdhsa_exception_fp_denorm_src 0
		.amdhsa_exception_fp_ieee_div_zero 0
		.amdhsa_exception_fp_ieee_overflow 0
		.amdhsa_exception_fp_ieee_underflow 0
		.amdhsa_exception_fp_ieee_inexact 0
		.amdhsa_exception_int_div_zero 0
	.end_amdhsa_kernel
	.section	.text._ZN9rocsparseL38csr2bsr_block_per_row_multipass_kernelILj256ELj32EfllEEv20rocsparse_direction_T3_S2_S2_S2_S2_21rocsparse_index_base_PKT1_PKT2_PKS2_S3_PS4_PS7_PS2_,"axG",@progbits,_ZN9rocsparseL38csr2bsr_block_per_row_multipass_kernelILj256ELj32EfllEEv20rocsparse_direction_T3_S2_S2_S2_S2_21rocsparse_index_base_PKT1_PKT2_PKS2_S3_PS4_PS7_PS2_,comdat
.Lfunc_end69:
	.size	_ZN9rocsparseL38csr2bsr_block_per_row_multipass_kernelILj256ELj32EfllEEv20rocsparse_direction_T3_S2_S2_S2_S2_21rocsparse_index_base_PKT1_PKT2_PKS2_S3_PS4_PS7_PS2_, .Lfunc_end69-_ZN9rocsparseL38csr2bsr_block_per_row_multipass_kernelILj256ELj32EfllEEv20rocsparse_direction_T3_S2_S2_S2_S2_21rocsparse_index_base_PKT1_PKT2_PKS2_S3_PS4_PS7_PS2_
                                        ; -- End function
	.section	.AMDGPU.csdata,"",@progbits
; Kernel info:
; codeLenInByte = 3444
; NumSgprs: 43
; NumVgprs: 47
; ScratchSize: 0
; MemoryBound: 0
; FloatMode: 240
; IeeeMode: 1
; LDSByteSize: 4100 bytes/workgroup (compile time only)
; SGPRBlocks: 5
; VGPRBlocks: 5
; NumSGPRsForWavesPerEU: 43
; NumVGPRsForWavesPerEU: 47
; Occupancy: 16
; WaveLimiterHint : 1
; COMPUTE_PGM_RSRC2:SCRATCH_EN: 0
; COMPUTE_PGM_RSRC2:USER_SGPR: 15
; COMPUTE_PGM_RSRC2:TRAP_HANDLER: 0
; COMPUTE_PGM_RSRC2:TGID_X_EN: 1
; COMPUTE_PGM_RSRC2:TGID_Y_EN: 0
; COMPUTE_PGM_RSRC2:TGID_Z_EN: 0
; COMPUTE_PGM_RSRC2:TIDIG_COMP_CNT: 0
	.section	.text._ZN9rocsparseL38csr2bsr_block_per_row_multipass_kernelILj256ELj64EfllEEv20rocsparse_direction_T3_S2_S2_S2_S2_21rocsparse_index_base_PKT1_PKT2_PKS2_S3_PS4_PS7_PS2_,"axG",@progbits,_ZN9rocsparseL38csr2bsr_block_per_row_multipass_kernelILj256ELj64EfllEEv20rocsparse_direction_T3_S2_S2_S2_S2_21rocsparse_index_base_PKT1_PKT2_PKS2_S3_PS4_PS7_PS2_,comdat
	.globl	_ZN9rocsparseL38csr2bsr_block_per_row_multipass_kernelILj256ELj64EfllEEv20rocsparse_direction_T3_S2_S2_S2_S2_21rocsparse_index_base_PKT1_PKT2_PKS2_S3_PS4_PS7_PS2_ ; -- Begin function _ZN9rocsparseL38csr2bsr_block_per_row_multipass_kernelILj256ELj64EfllEEv20rocsparse_direction_T3_S2_S2_S2_S2_21rocsparse_index_base_PKT1_PKT2_PKS2_S3_PS4_PS7_PS2_
	.p2align	8
	.type	_ZN9rocsparseL38csr2bsr_block_per_row_multipass_kernelILj256ELj64EfllEEv20rocsparse_direction_T3_S2_S2_S2_S2_21rocsparse_index_base_PKT1_PKT2_PKS2_S3_PS4_PS7_PS2_,@function
_ZN9rocsparseL38csr2bsr_block_per_row_multipass_kernelILj256ELj64EfllEEv20rocsparse_direction_T3_S2_S2_S2_S2_21rocsparse_index_base_PKT1_PKT2_PKS2_S3_PS4_PS7_PS2_: ; @_ZN9rocsparseL38csr2bsr_block_per_row_multipass_kernelILj256ELj64EfllEEv20rocsparse_direction_T3_S2_S2_S2_S2_21rocsparse_index_base_PKT1_PKT2_PKS2_S3_PS4_PS7_PS2_
; %bb.0:
	s_mov_b32 s2, s15
	s_clause 0x1
	s_load_b128 s[12:15], s[0:1], 0x20
	s_load_b64 s[6:7], s[0:1], 0x8
	v_mov_b32_e32 v5, 0
	v_lshrrev_b32_e32 v4, 2, v0
	v_mov_b32_e32 v1, 0
	v_mov_b32_e32 v2, 0
	s_clause 0x1
	s_load_b32 s28, s[0:1], 0x30
	s_load_b64 s[4:5], s[0:1], 0x40
	s_ashr_i32 s3, s2, 31
	v_dual_mov_b32 v39, v2 :: v_dual_mov_b32 v38, v1
	s_waitcnt lgkmcnt(0)
	v_mad_u64_u32 v[6:7], null, s2, s14, v[4:5]
	s_mul_i32 s8, s2, s15
	s_mul_i32 s9, s3, s14
	s_delay_alu instid0(VALU_DEP_1) | instid1(SALU_CYCLE_1)
	v_add3_u32 v7, s8, s9, v7
	v_cmp_gt_i64_e64 s9, s[14:15], v[4:5]
	s_delay_alu instid0(VALU_DEP_2) | instskip(NEXT) | instid1(VALU_DEP_2)
	v_cmp_gt_i64_e32 vcc_lo, s[6:7], v[6:7]
	s_and_b32 s6, s9, vcc_lo
	s_delay_alu instid0(SALU_CYCLE_1)
	s_and_saveexec_b32 s7, s6
	s_cbranch_execnz .LBB70_3
; %bb.1:
	s_or_b32 exec_lo, exec_lo, s7
	s_and_saveexec_b32 s7, s6
	s_cbranch_execnz .LBB70_4
.LBB70_2:
	s_or_b32 exec_lo, exec_lo, s7
	v_cmp_lt_i64_e64 s4, s[12:13], 1
	s_delay_alu instid0(VALU_DEP_1)
	s_and_b32 vcc_lo, exec_lo, s4
	s_cbranch_vccz .LBB70_5
	s_branch .LBB70_69
.LBB70_3:
	v_lshlrev_b64 v[8:9], 3, v[6:7]
	s_delay_alu instid0(VALU_DEP_1) | instskip(NEXT) | instid1(VALU_DEP_2)
	v_add_co_u32 v8, vcc_lo, s4, v8
	v_add_co_ci_u32_e32 v9, vcc_lo, s5, v9, vcc_lo
	global_load_b64 v[8:9], v[8:9], off
	s_waitcnt vmcnt(0)
	v_sub_co_u32 v38, vcc_lo, v8, s28
	v_subrev_co_ci_u32_e32 v39, vcc_lo, 0, v9, vcc_lo
	s_or_b32 exec_lo, exec_lo, s7
	s_and_saveexec_b32 s7, s6
	s_cbranch_execz .LBB70_2
.LBB70_4:
	v_lshlrev_b64 v[1:2], 3, v[6:7]
	s_delay_alu instid0(VALU_DEP_1) | instskip(NEXT) | instid1(VALU_DEP_2)
	v_add_co_u32 v1, vcc_lo, s4, v1
	v_add_co_ci_u32_e32 v2, vcc_lo, s5, v2, vcc_lo
	global_load_b64 v[1:2], v[1:2], off offset:8
	s_waitcnt vmcnt(0)
	v_sub_co_u32 v1, vcc_lo, v1, s28
	v_subrev_co_ci_u32_e32 v2, vcc_lo, 0, v2, vcc_lo
	s_or_b32 exec_lo, exec_lo, s7
	v_cmp_lt_i64_e64 s4, s[12:13], 1
	s_delay_alu instid0(VALU_DEP_1)
	s_and_b32 vcc_lo, exec_lo, s4
	s_cbranch_vccnz .LBB70_69
.LBB70_5:
	v_mad_u64_u32 v[7:8], null, v4, s14, 0
	v_mbcnt_lo_u32_b32 v11, -1, 0
	s_clause 0x2
	s_load_b128 s[4:7], s[0:1], 0x58
	s_load_b64 s[16:17], s[0:1], 0x68
	s_load_b32 s29, s[0:1], 0x50
	v_and_b32_e32 v5, 3, v0
	v_dual_mov_b32 v3, 0 :: v_dual_lshlrev_b32 v10, 2, v4
	v_xor_b32_e32 v12, 2, v11
	v_mov_b32_e32 v6, v8
	s_mul_i32 s8, s14, s15
	s_mul_hi_u32 s10, s14, s14
	s_clause 0x2
	s_load_b64 s[18:19], s[0:1], 0x48
	s_load_b64 s[20:21], s[0:1], 0x38
	s_load_b32 s11, s[0:1], 0x0
	v_cmp_gt_i32_e32 vcc_lo, 32, v12
	v_mad_u64_u32 v[8:9], null, v4, s15, v[6:7]
	v_xor_b32_e32 v9, 1, v11
	v_lshlrev_b32_e32 v50, 6, v4
	v_cndmask_b32_e32 v4, v11, v12, vcc_lo
	s_lshl_b64 s[0:1], s[2:3], 3
	s_add_i32 s2, s10, s8
	v_cmp_gt_i32_e32 vcc_lo, 32, v9
	v_lshlrev_b64 v[7:8], 2, v[7:8]
	s_add_i32 s31, s2, s8
	s_waitcnt lgkmcnt(0)
	s_add_u32 s0, s6, s0
	s_addc_u32 s1, s7, s1
	v_cndmask_b32_e32 v9, v11, v9, vcc_lo
	s_load_b64 s[0:1], s[0:1], 0x0
	v_mov_b32_e32 v6, v3
	v_lshl_or_b32 v51, v11, 2, 12
	v_lshlrev_b32_e32 v11, 2, v5
	v_lshlrev_b32_e32 v53, 2, v9
	;; [unrolled: 1-line block ×3, first 2 shown]
	v_add_co_u32 v4, vcc_lo, s4, v7
	v_add_co_ci_u32_e32 v7, vcc_lo, s5, v8, vcc_lo
	v_add_co_u32 v54, s2, s4, v10
	s_delay_alu instid0(VALU_DEP_3) | instskip(NEXT) | instid1(VALU_DEP_3)
	v_add_co_u32 v56, vcc_lo, v4, v11
	v_add_co_ci_u32_e32 v57, vcc_lo, 0, v7, vcc_lo
	v_or_b32_e32 v7, 4, v5
	v_mad_u64_u32 v[9:10], null, v5, s14, 0
	v_or_b32_e32 v4, v50, v5
	s_waitcnt lgkmcnt(0)
	s_sub_u32 s22, s0, s29
	v_mad_u64_u32 v[11:12], null, v7, s14, 0
	v_add_co_ci_u32_e64 v55, null, s5, 0, s2
	s_subb_u32 s23, s1, 0
	v_lshlrev_b32_e32 v58, 3, v0
	v_cmp_gt_u32_e64 s1, 0x80, v0
	v_cmp_gt_u32_e64 s2, 64, v0
	;; [unrolled: 1-line block ×7, first 2 shown]
	v_cmp_eq_u32_e64 s8, 0, v0
	v_lshlrev_b32_e32 v0, 2, v4
	v_mov_b32_e32 v4, v10
	v_cmp_gt_i64_e32 vcc_lo, s[14:15], v[5:6]
	v_mov_b32_e32 v6, v12
	v_mov_b32_e32 v8, v3
	s_cmp_eq_u32 s11, 0
	v_mad_u64_u32 v[12:13], null, v5, s15, v[4:5]
	s_delay_alu instid0(VALU_DEP_3)
	v_mad_u64_u32 v[15:16], null, v7, s15, v[6:7]
	v_or_b32_e32 v6, 12, v5
	v_or_b32_e32 v13, 8, v5
	v_cmp_gt_i64_e64 s10, s[14:15], v[7:8]
	v_mov_b32_e32 v7, v3
	s_cselect_b32 s0, -1, 0
	v_mad_u64_u32 v[18:19], null, v6, s14, 0
	v_mad_u64_u32 v[16:17], null, v13, s14, 0
	v_mov_b32_e32 v14, v3
	s_and_b32 s34, s9, s10
	v_cmp_gt_i64_e64 s10, s[14:15], v[6:7]
	v_or_b32_e32 v7, 16, v5
	v_mov_b32_e32 v8, v19
	s_and_b32 s33, s9, vcc_lo
	v_mov_b32_e32 v4, v17
	v_mov_b32_e32 v10, v12
	;; [unrolled: 1-line block ×3, first 2 shown]
	v_mad_u64_u32 v[19:20], null, v6, s15, v[8:9]
	v_cmp_gt_i64_e32 vcc_lo, s[14:15], v[13:14]
	v_mad_u64_u32 v[14:15], null, v13, s15, v[4:5]
	v_or_b32_e32 v13, 20, v5
	v_mad_u64_u32 v[20:21], null, v7, s14, 0
	v_mov_b32_e32 v8, v3
	s_and_b32 s35, s9, vcc_lo
	s_delay_alu instid0(VALU_DEP_3) | instskip(SKIP_1) | instid1(VALU_DEP_4)
	v_mad_u64_u32 v[22:23], null, v13, s14, 0
	v_dual_mov_b32 v17, v14 :: v_dual_mov_b32 v14, v3
	v_dual_mov_b32 v4, v21 :: v_dual_mov_b32 v43, v3
	v_cmp_gt_i64_e32 vcc_lo, s[14:15], v[7:8]
	s_and_b32 s36, s9, s10
	s_delay_alu instid0(VALU_DEP_4) | instskip(NEXT) | instid1(VALU_DEP_3)
	v_mov_b32_e32 v6, v23
	v_mad_u64_u32 v[23:24], null, v7, s15, v[4:5]
	v_or_b32_e32 v7, 24, v5
	v_cmp_gt_i64_e64 s10, s[14:15], v[13:14]
	s_and_b32 s37, s9, vcc_lo
	v_or_b32_e32 v42, 60, v5
	s_mul_i32 s30, s14, s14
	v_mad_u64_u32 v[14:15], null, v13, s15, v[6:7]
	v_or_b32_e32 v13, 28, v5
	v_mad_u64_u32 v[24:25], null, v7, s14, 0
	v_mov_b32_e32 v21, v23
	v_cmp_gt_i64_e32 vcc_lo, s[14:15], v[7:8]
	s_delay_alu instid0(VALU_DEP_4)
	v_mad_u64_u32 v[26:27], null, v13, s14, 0
	v_dual_mov_b32 v23, v14 :: v_dual_mov_b32 v14, v3
	v_mov_b32_e32 v4, v25
	s_and_b32 s38, s9, s10
	s_and_b32 s39, s9, vcc_lo
	v_mad_u64_u32 v[46:47], null, v42, s14, 0
	s_delay_alu instid0(VALU_DEP_4) | instskip(SKIP_3) | instid1(VALU_DEP_2)
	v_mov_b32_e32 v6, v27
	v_mad_u64_u32 v[27:28], null, v7, s15, v[4:5]
	v_or_b32_e32 v7, 32, v5
	v_cmp_gt_i64_e64 s10, s[14:15], v[13:14]
	v_mad_u64_u32 v[14:15], null, v13, s15, v[6:7]
	v_or_b32_e32 v13, 36, v5
	v_mad_u64_u32 v[28:29], null, v7, s14, 0
	v_cmp_gt_i64_e32 vcc_lo, s[14:15], v[7:8]
	v_mov_b32_e32 v25, v27
	s_delay_alu instid0(VALU_DEP_4) | instskip(SKIP_4) | instid1(VALU_DEP_3)
	v_mad_u64_u32 v[30:31], null, v13, s14, 0
	v_dual_mov_b32 v27, v14 :: v_dual_mov_b32 v14, v3
	v_mov_b32_e32 v4, v29
	s_and_b32 s40, s9, s10
	s_and_b32 s41, s9, vcc_lo
	v_mov_b32_e32 v6, v31
	s_delay_alu instid0(VALU_DEP_2) | instskip(SKIP_2) | instid1(VALU_DEP_2)
	v_mad_u64_u32 v[31:32], null, v7, s15, v[4:5]
	v_or_b32_e32 v7, 40, v5
	v_cmp_gt_i64_e64 s10, s[14:15], v[13:14]
	v_mad_u64_u32 v[32:33], null, v7, s14, 0
	v_mad_u64_u32 v[14:15], null, v13, s15, v[6:7]
	v_or_b32_e32 v13, 44, v5
	v_or_b32_e32 v6, 48, v5
	v_mov_b32_e32 v29, v31
	s_and_b32 s42, s9, s10
	v_mov_b32_e32 v4, v33
	v_mad_u64_u32 v[34:35], null, v13, s14, 0
	v_dual_mov_b32 v31, v14 :: v_dual_mov_b32 v14, v3
	s_delay_alu instid0(VALU_DEP_3) | instskip(NEXT) | instid1(VALU_DEP_3)
	v_mad_u64_u32 v[36:37], null, v7, s15, v[4:5]
	v_mov_b32_e32 v4, v35
	s_delay_alu instid0(VALU_DEP_3) | instskip(NEXT) | instid1(VALU_DEP_3)
	v_cmp_gt_i64_e64 s10, s[14:15], v[13:14]
	v_mov_b32_e32 v33, v36
	v_mad_u64_u32 v[36:37], null, v6, s14, 0
	s_delay_alu instid0(VALU_DEP_4) | instskip(SKIP_3) | instid1(VALU_DEP_4)
	v_mad_u64_u32 v[14:15], null, v13, s15, v[4:5]
	v_or_b32_e32 v13, 56, v5
	s_and_b32 s44, s9, s10
	v_cmp_gt_i64_e64 s10, s[14:15], v[42:43]
	v_mov_b32_e32 v4, v37
	s_delay_alu instid0(VALU_DEP_3) | instskip(SKIP_1) | instid1(VALU_DEP_4)
	v_mad_u64_u32 v[44:45], null, v13, s14, 0
	v_mov_b32_e32 v35, v14
	s_and_b32 s48, s9, s10
	s_delay_alu instid0(VALU_DEP_3) | instskip(SKIP_1) | instid1(VALU_DEP_1)
	v_mad_u64_u32 v[48:49], null, v6, s15, v[4:5]
	s_mov_b64 s[10:11], 0
	v_dual_mov_b32 v4, v45 :: v_dual_mov_b32 v37, v48
	v_cmp_gt_i64_e32 vcc_lo, s[14:15], v[7:8]
	v_mov_b32_e32 v7, v3
	s_and_b32 s43, s9, vcc_lo
	s_delay_alu instid0(VALU_DEP_1) | instskip(SKIP_2) | instid1(VALU_DEP_2)
	v_cmp_gt_i64_e32 vcc_lo, s[14:15], v[6:7]
	v_or_b32_e32 v7, 52, v5
	v_mov_b32_e32 v6, v47
	v_mad_u64_u32 v[40:41], null, v7, s14, 0
	s_and_b32 s45, s9, vcc_lo
	v_cmp_gt_i64_e32 vcc_lo, s[14:15], v[7:8]
	s_delay_alu instid0(VALU_DEP_2) | instskip(SKIP_1) | instid1(VALU_DEP_1)
	v_mov_b32_e32 v14, v41
	s_and_b32 s46, s9, vcc_lo
	v_mad_u64_u32 v[59:60], null, v7, s15, v[14:15]
	v_mad_u64_u32 v[7:8], null, v13, s15, v[4:5]
	v_mov_b32_e32 v14, v3
	s_delay_alu instid0(VALU_DEP_3) | instskip(NEXT) | instid1(VALU_DEP_2)
	v_mov_b32_e32 v41, v59
	v_cmp_gt_i64_e32 vcc_lo, s[14:15], v[13:14]
	s_delay_alu instid0(VALU_DEP_4)
	v_mov_b32_e32 v45, v7
	v_mad_u64_u32 v[60:61], null, v42, s15, v[6:7]
	v_lshlrev_b64 v[6:7], 2, v[9:10]
	v_lshlrev_b64 v[8:9], 2, v[11:12]
	;; [unrolled: 1-line block ×6, first 2 shown]
	v_mov_b32_e32 v47, v60
	v_lshlrev_b64 v[18:19], 2, v[24:25]
	v_lshlrev_b64 v[20:21], 2, v[26:27]
	v_lshlrev_b64 v[22:23], 2, v[28:29]
	v_lshlrev_b64 v[24:25], 2, v[30:31]
	v_lshlrev_b64 v[26:27], 2, v[32:33]
	v_lshlrev_b64 v[28:29], 2, v[34:35]
	v_lshlrev_b64 v[30:31], 2, v[36:37]
	v_lshlrev_b64 v[32:33], 2, v[40:41]
	v_lshlrev_b64 v[34:35], 2, v[44:45]
	v_lshlrev_b64 v[36:37], 2, v[46:47]
	v_mov_b32_e32 v59, 1
	s_and_b32 s47, s9, vcc_lo
	s_branch .LBB70_7
.LBB70_6:                               ;   in Loop: Header=BB70_7 Depth=1
	s_or_b32 exec_lo, exec_lo, s9
	s_waitcnt lgkmcnt(0)
	s_barrier
	buffer_gl0_inv
	ds_load_b64 v[40:41], v3
	s_add_u32 s22, s24, s22
	s_addc_u32 s23, s25, s23
	s_waitcnt lgkmcnt(0)
	s_barrier
	buffer_gl0_inv
	v_cmp_gt_i64_e32 vcc_lo, s[12:13], v[40:41]
	v_readfirstlane_b32 s10, v40
	v_readfirstlane_b32 s11, v41
	s_cbranch_vccz .LBB70_69
.LBB70_7:                               ; =>This Loop Header: Depth=1
                                        ;     Child Loop BB70_10 Depth 2
	v_add_co_u32 v38, vcc_lo, v38, v5
	v_add_co_ci_u32_e32 v39, vcc_lo, 0, v39, vcc_lo
	v_dual_mov_b32 v41, s13 :: v_dual_mov_b32 v40, s12
	v_dual_mov_b32 v49, v2 :: v_dual_mov_b32 v48, v1
	s_mov_b32 s49, exec_lo
	ds_store_b8 v3, v3 offset:16384
	ds_store_2addr_b32 v0, v3, v3 offset1:4
	ds_store_2addr_b32 v0, v3, v3 offset0:8 offset1:12
	ds_store_2addr_b32 v0, v3, v3 offset0:16 offset1:20
	;; [unrolled: 1-line block ×7, first 2 shown]
	s_waitcnt lgkmcnt(0)
	s_barrier
	buffer_gl0_inv
	v_cmpx_lt_i64_e64 v[38:39], v[1:2]
	s_cbranch_execz .LBB70_19
; %bb.8:                                ;   in Loop: Header=BB70_7 Depth=1
	v_lshlrev_b64 v[40:41], 2, v[38:39]
	v_lshlrev_b64 v[44:45], 3, v[38:39]
	v_dual_mov_b32 v47, v2 :: v_dual_mov_b32 v46, v1
	s_mul_i32 s51, s10, s14
	s_mov_b32 s50, 0
	s_delay_alu instid0(VALU_DEP_3)
	v_add_co_u32 v42, vcc_lo, s20, v40
	v_add_co_ci_u32_e32 v43, vcc_lo, s21, v41, vcc_lo
	v_add_co_u32 v44, vcc_lo, s18, v44
	v_add_co_ci_u32_e32 v45, vcc_lo, s19, v45, vcc_lo
	v_dual_mov_b32 v41, s13 :: v_dual_mov_b32 v40, s12
	s_branch .LBB70_10
.LBB70_9:                               ;   in Loop: Header=BB70_10 Depth=2
	s_or_b32 exec_lo, exec_lo, s9
	v_add_co_u32 v38, s9, v38, 4
	s_delay_alu instid0(VALU_DEP_1) | instskip(SKIP_2) | instid1(VALU_DEP_2)
	v_add_co_ci_u32_e64 v39, s9, 0, v39, s9
	s_xor_b32 s24, vcc_lo, -1
	v_add_co_u32 v42, vcc_lo, v42, 16
	v_cmp_ge_i64_e64 s9, v[38:39], v[1:2]
	v_add_co_ci_u32_e32 v43, vcc_lo, 0, v43, vcc_lo
	v_add_co_u32 v44, vcc_lo, v44, 32
	v_add_co_ci_u32_e32 v45, vcc_lo, 0, v45, vcc_lo
	s_delay_alu instid0(VALU_DEP_4) | instskip(SKIP_2) | instid1(SALU_CYCLE_1)
	s_or_b32 s9, s24, s9
	v_dual_mov_b32 v46, v48 :: v_dual_mov_b32 v47, v49
	s_and_b32 s9, exec_lo, s9
	s_or_b32 s50, s9, s50
	s_delay_alu instid0(SALU_CYCLE_1)
	s_and_not1_b32 exec_lo, exec_lo, s50
	s_cbranch_execz .LBB70_18
.LBB70_10:                              ;   Parent Loop BB70_7 Depth=1
                                        ; =>  This Inner Loop Header: Depth=2
	global_load_b64 v[48:49], v[44:45], off
	s_mov_b32 s9, exec_lo
	s_waitcnt vmcnt(0)
	v_sub_co_u32 v60, vcc_lo, v48, s28
	v_subrev_co_ci_u32_e32 v61, vcc_lo, 0, v49, vcc_lo
                                        ; implicit-def: $vgpr48_vgpr49
	s_delay_alu instid0(VALU_DEP_1) | instskip(NEXT) | instid1(VALU_DEP_1)
	v_or_b32_e32 v4, s15, v61
	v_cmpx_ne_u64_e32 0, v[3:4]
	s_xor_b32 s52, exec_lo, s9
	s_cbranch_execz .LBB70_12
; %bb.11:                               ;   in Loop: Header=BB70_10 Depth=2
	s_ashr_i32 s24, s15, 31
	s_delay_alu instid0(SALU_CYCLE_1) | instskip(SKIP_2) | instid1(SALU_CYCLE_1)
	s_add_u32 s26, s14, s24
	s_mov_b32 s25, s24
	s_addc_u32 s27, s15, s24
	s_xor_b64 s[26:27], s[26:27], s[24:25]
	s_delay_alu instid0(SALU_CYCLE_1) | instskip(SKIP_3) | instid1(VALU_DEP_1)
	v_cvt_f32_u32_e32 v4, s26
	v_cvt_f32_u32_e32 v48, s27
	s_sub_u32 s9, 0, s26
	s_subb_u32 s25, 0, s27
	v_fmac_f32_e32 v4, 0x4f800000, v48
	s_delay_alu instid0(VALU_DEP_1) | instskip(SKIP_2) | instid1(VALU_DEP_1)
	v_rcp_f32_e32 v4, v4
	s_waitcnt_depctr 0xfff
	v_mul_f32_e32 v4, 0x5f7ffffc, v4
	v_mul_f32_e32 v48, 0x2f800000, v4
	s_delay_alu instid0(VALU_DEP_1) | instskip(NEXT) | instid1(VALU_DEP_1)
	v_trunc_f32_e32 v48, v48
	v_fmac_f32_e32 v4, 0xcf800000, v48
	v_cvt_u32_f32_e32 v48, v48
	s_delay_alu instid0(VALU_DEP_2) | instskip(NEXT) | instid1(VALU_DEP_2)
	v_cvt_u32_f32_e32 v4, v4
	v_mul_lo_u32 v49, s9, v48
	s_delay_alu instid0(VALU_DEP_2) | instskip(SKIP_1) | instid1(VALU_DEP_2)
	v_mul_hi_u32 v62, s9, v4
	v_mul_lo_u32 v63, s25, v4
	v_add_nc_u32_e32 v49, v62, v49
	v_mul_lo_u32 v62, s9, v4
	s_delay_alu instid0(VALU_DEP_2) | instskip(NEXT) | instid1(VALU_DEP_2)
	v_add_nc_u32_e32 v49, v49, v63
	v_mul_hi_u32 v63, v4, v62
	s_delay_alu instid0(VALU_DEP_2)
	v_mul_lo_u32 v64, v4, v49
	v_mul_hi_u32 v65, v4, v49
	v_mul_hi_u32 v66, v48, v62
	v_mul_lo_u32 v62, v48, v62
	v_mul_hi_u32 v67, v48, v49
	v_mul_lo_u32 v49, v48, v49
	v_add_co_u32 v63, vcc_lo, v63, v64
	v_add_co_ci_u32_e32 v64, vcc_lo, 0, v65, vcc_lo
	s_delay_alu instid0(VALU_DEP_2) | instskip(NEXT) | instid1(VALU_DEP_2)
	v_add_co_u32 v62, vcc_lo, v63, v62
	v_add_co_ci_u32_e32 v62, vcc_lo, v64, v66, vcc_lo
	v_add_co_ci_u32_e32 v63, vcc_lo, 0, v67, vcc_lo
	v_ashrrev_i32_e32 v66, 31, v61
	s_delay_alu instid0(VALU_DEP_3) | instskip(NEXT) | instid1(VALU_DEP_3)
	v_add_co_u32 v49, vcc_lo, v62, v49
	v_add_co_ci_u32_e32 v62, vcc_lo, 0, v63, vcc_lo
	s_delay_alu instid0(VALU_DEP_2) | instskip(NEXT) | instid1(VALU_DEP_2)
	v_add_co_u32 v4, vcc_lo, v4, v49
	v_add_co_ci_u32_e32 v48, vcc_lo, v48, v62, vcc_lo
	s_delay_alu instid0(VALU_DEP_2) | instskip(SKIP_1) | instid1(VALU_DEP_3)
	v_mul_hi_u32 v49, s9, v4
	v_mul_lo_u32 v63, s25, v4
	v_mul_lo_u32 v62, s9, v48
	s_delay_alu instid0(VALU_DEP_1) | instskip(SKIP_1) | instid1(VALU_DEP_2)
	v_add_nc_u32_e32 v49, v49, v62
	v_mul_lo_u32 v62, s9, v4
	v_add_nc_u32_e32 v49, v49, v63
	s_delay_alu instid0(VALU_DEP_2) | instskip(NEXT) | instid1(VALU_DEP_2)
	v_mul_hi_u32 v63, v4, v62
	v_mul_lo_u32 v64, v4, v49
	v_mul_hi_u32 v65, v4, v49
	v_mul_hi_u32 v67, v48, v62
	v_mul_lo_u32 v62, v48, v62
	v_mul_hi_u32 v68, v48, v49
	v_mul_lo_u32 v49, v48, v49
	v_add_co_u32 v63, vcc_lo, v63, v64
	v_add_co_ci_u32_e32 v64, vcc_lo, 0, v65, vcc_lo
	s_delay_alu instid0(VALU_DEP_2) | instskip(NEXT) | instid1(VALU_DEP_2)
	v_add_co_u32 v62, vcc_lo, v63, v62
	v_add_co_ci_u32_e32 v62, vcc_lo, v64, v67, vcc_lo
	v_add_co_ci_u32_e32 v63, vcc_lo, 0, v68, vcc_lo
	v_add_co_u32 v64, vcc_lo, v60, v66
	v_add_co_ci_u32_e32 v61, vcc_lo, v61, v66, vcc_lo
	s_delay_alu instid0(VALU_DEP_4) | instskip(NEXT) | instid1(VALU_DEP_4)
	v_add_co_u32 v49, vcc_lo, v62, v49
	v_add_co_ci_u32_e32 v62, vcc_lo, 0, v63, vcc_lo
	s_delay_alu instid0(VALU_DEP_4) | instskip(NEXT) | instid1(VALU_DEP_3)
	v_xor_b32_e32 v65, v64, v66
	v_add_co_u32 v4, vcc_lo, v4, v49
	s_delay_alu instid0(VALU_DEP_3) | instskip(SKIP_1) | instid1(VALU_DEP_3)
	v_add_co_ci_u32_e32 v67, vcc_lo, v48, v62, vcc_lo
	v_xor_b32_e32 v68, v61, v66
	v_mul_hi_u32 v69, v65, v4
	s_delay_alu instid0(VALU_DEP_3) | instskip(NEXT) | instid1(VALU_DEP_3)
	v_mad_u64_u32 v[48:49], null, v65, v67, 0
	v_mad_u64_u32 v[61:62], null, v68, v4, 0
	;; [unrolled: 1-line block ×3, first 2 shown]
	s_delay_alu instid0(VALU_DEP_3) | instskip(NEXT) | instid1(VALU_DEP_4)
	v_add_co_u32 v4, vcc_lo, v69, v48
	v_add_co_ci_u32_e32 v48, vcc_lo, 0, v49, vcc_lo
	s_delay_alu instid0(VALU_DEP_2) | instskip(NEXT) | instid1(VALU_DEP_2)
	v_add_co_u32 v4, vcc_lo, v4, v61
	v_add_co_ci_u32_e32 v4, vcc_lo, v48, v62, vcc_lo
	v_add_co_ci_u32_e32 v48, vcc_lo, 0, v64, vcc_lo
	s_delay_alu instid0(VALU_DEP_2) | instskip(NEXT) | instid1(VALU_DEP_2)
	v_add_co_u32 v4, vcc_lo, v4, v63
	v_add_co_ci_u32_e32 v61, vcc_lo, 0, v48, vcc_lo
	s_delay_alu instid0(VALU_DEP_2) | instskip(SKIP_1) | instid1(VALU_DEP_3)
	v_mul_lo_u32 v62, s27, v4
	v_mad_u64_u32 v[48:49], null, s26, v4, 0
	v_mul_lo_u32 v63, s26, v61
	s_delay_alu instid0(VALU_DEP_2) | instskip(NEXT) | instid1(VALU_DEP_2)
	v_sub_co_u32 v48, vcc_lo, v65, v48
	v_add3_u32 v49, v49, v63, v62
	s_delay_alu instid0(VALU_DEP_1) | instskip(NEXT) | instid1(VALU_DEP_1)
	v_sub_nc_u32_e32 v62, v68, v49
	v_subrev_co_ci_u32_e64 v62, s9, s27, v62, vcc_lo
	v_add_co_u32 v63, s9, v4, 2
	s_delay_alu instid0(VALU_DEP_1) | instskip(SKIP_3) | instid1(VALU_DEP_3)
	v_add_co_ci_u32_e64 v64, s9, 0, v61, s9
	v_sub_co_u32 v65, s9, v48, s26
	v_sub_co_ci_u32_e32 v49, vcc_lo, v68, v49, vcc_lo
	v_subrev_co_ci_u32_e64 v62, s9, 0, v62, s9
	v_cmp_le_u32_e32 vcc_lo, s26, v65
	s_delay_alu instid0(VALU_DEP_3) | instskip(SKIP_1) | instid1(VALU_DEP_4)
	v_cmp_eq_u32_e64 s9, s27, v49
	v_cndmask_b32_e64 v65, 0, -1, vcc_lo
	v_cmp_le_u32_e32 vcc_lo, s27, v62
	v_cndmask_b32_e64 v67, 0, -1, vcc_lo
	v_cmp_le_u32_e32 vcc_lo, s26, v48
	v_cndmask_b32_e64 v48, 0, -1, vcc_lo
	v_cmp_le_u32_e32 vcc_lo, s27, v49
	v_cndmask_b32_e64 v68, 0, -1, vcc_lo
	v_cmp_eq_u32_e32 vcc_lo, s27, v62
	s_delay_alu instid0(VALU_DEP_2) | instskip(SKIP_3) | instid1(VALU_DEP_3)
	v_cndmask_b32_e64 v48, v68, v48, s9
	v_cndmask_b32_e32 v62, v67, v65, vcc_lo
	v_add_co_u32 v65, vcc_lo, v4, 1
	v_add_co_ci_u32_e32 v67, vcc_lo, 0, v61, vcc_lo
	v_cmp_ne_u32_e32 vcc_lo, 0, v62
	s_delay_alu instid0(VALU_DEP_2) | instskip(SKIP_2) | instid1(VALU_DEP_3)
	v_dual_cndmask_b32 v49, v67, v64 :: v_dual_cndmask_b32 v62, v65, v63
	v_cmp_ne_u32_e32 vcc_lo, 0, v48
	v_xor_b32_e32 v63, s24, v66
	v_cndmask_b32_e32 v4, v4, v62, vcc_lo
	s_delay_alu instid0(VALU_DEP_4) | instskip(NEXT) | instid1(VALU_DEP_2)
	v_cndmask_b32_e32 v48, v61, v49, vcc_lo
	v_xor_b32_e32 v4, v4, v63
	s_delay_alu instid0(VALU_DEP_2) | instskip(NEXT) | instid1(VALU_DEP_2)
	v_xor_b32_e32 v49, v48, v63
	v_sub_co_u32 v48, vcc_lo, v4, v63
	s_delay_alu instid0(VALU_DEP_2)
	v_sub_co_ci_u32_e32 v49, vcc_lo, v49, v63, vcc_lo
.LBB70_12:                              ;   in Loop: Header=BB70_10 Depth=2
	s_and_not1_saveexec_b32 s9, s52
	s_cbranch_execz .LBB70_14
; %bb.13:                               ;   in Loop: Header=BB70_10 Depth=2
	v_cvt_f32_u32_e32 v4, s14
	s_sub_i32 s24, 0, s14
	s_delay_alu instid0(VALU_DEP_1) | instskip(SKIP_2) | instid1(VALU_DEP_1)
	v_rcp_iflag_f32_e32 v4, v4
	s_waitcnt_depctr 0xfff
	v_mul_f32_e32 v4, 0x4f7ffffe, v4
	v_cvt_u32_f32_e32 v4, v4
	s_delay_alu instid0(VALU_DEP_1) | instskip(NEXT) | instid1(VALU_DEP_1)
	v_mul_lo_u32 v48, s24, v4
	v_mul_hi_u32 v48, v4, v48
	s_delay_alu instid0(VALU_DEP_1) | instskip(NEXT) | instid1(VALU_DEP_1)
	v_add_nc_u32_e32 v4, v4, v48
	v_mul_hi_u32 v4, v60, v4
	s_delay_alu instid0(VALU_DEP_1) | instskip(NEXT) | instid1(VALU_DEP_1)
	v_mul_lo_u32 v48, v4, s14
	v_sub_nc_u32_e32 v48, v60, v48
	s_delay_alu instid0(VALU_DEP_1) | instskip(SKIP_1) | instid1(VALU_DEP_2)
	v_subrev_nc_u32_e32 v61, s14, v48
	v_cmp_le_u32_e32 vcc_lo, s14, v48
	v_dual_cndmask_b32 v48, v48, v61 :: v_dual_add_nc_u32 v49, 1, v4
	s_delay_alu instid0(VALU_DEP_1) | instskip(NEXT) | instid1(VALU_DEP_2)
	v_cndmask_b32_e32 v4, v4, v49, vcc_lo
	v_cmp_le_u32_e32 vcc_lo, s14, v48
	s_delay_alu instid0(VALU_DEP_2) | instskip(NEXT) | instid1(VALU_DEP_1)
	v_add_nc_u32_e32 v49, 1, v4
	v_dual_cndmask_b32 v48, v4, v49 :: v_dual_mov_b32 v49, v3
.LBB70_14:                              ;   in Loop: Header=BB70_10 Depth=2
	s_or_b32 exec_lo, exec_lo, s9
	s_delay_alu instid0(VALU_DEP_1)
	v_cmp_eq_u64_e32 vcc_lo, s[10:11], v[48:49]
	s_mov_b32 s24, exec_lo
	v_cmpx_ne_u64_e64 s[10:11], v[48:49]
	s_xor_b32 s24, exec_lo, s24
; %bb.15:                               ;   in Loop: Header=BB70_10 Depth=2
	v_cmp_lt_i64_e64 s9, v[48:49], v[40:41]
                                        ; implicit-def: $vgpr60
                                        ; implicit-def: $vgpr46_vgpr47
	s_delay_alu instid0(VALU_DEP_1)
	v_cndmask_b32_e64 v41, v41, v49, s9
	v_cndmask_b32_e64 v40, v40, v48, s9
; %bb.16:                               ;   in Loop: Header=BB70_10 Depth=2
	s_or_saveexec_b32 s9, s24
	v_dual_mov_b32 v49, v39 :: v_dual_mov_b32 v48, v38
	s_xor_b32 exec_lo, exec_lo, s9
	s_cbranch_execz .LBB70_9
; %bb.17:                               ;   in Loop: Header=BB70_10 Depth=2
	global_load_b32 v4, v[42:43], off
	v_subrev_nc_u32_e32 v48, s51, v60
	s_delay_alu instid0(VALU_DEP_1)
	v_add_lshl_u32 v60, v50, v48, 2
	v_dual_mov_b32 v49, v47 :: v_dual_mov_b32 v48, v46
	ds_store_b8 v3, v59 offset:16384
	s_waitcnt vmcnt(0)
	ds_store_b32 v60, v4
	s_branch .LBB70_9
.LBB70_18:                              ;   in Loop: Header=BB70_7 Depth=1
	s_or_b32 exec_lo, exec_lo, s50
.LBB70_19:                              ;   in Loop: Header=BB70_7 Depth=1
	s_delay_alu instid0(SALU_CYCLE_1)
	s_or_b32 exec_lo, exec_lo, s49
	ds_bpermute_b32 v38, v52, v48
	ds_bpermute_b32 v39, v52, v49
	s_waitcnt lgkmcnt(0)
	s_barrier
	buffer_gl0_inv
	ds_load_u8 v4, v3 offset:16384
	s_mov_b64 s[24:25], 0
	v_cmp_lt_i64_e32 vcc_lo, v[38:39], v[48:49]
	v_dual_cndmask_b32 v39, v49, v39 :: v_dual_cndmask_b32 v38, v48, v38
	ds_bpermute_b32 v43, v53, v39
	ds_bpermute_b32 v42, v53, v38
	s_waitcnt lgkmcnt(0)
	v_cmp_lt_i64_e32 vcc_lo, v[42:43], v[38:39]
	v_dual_cndmask_b32 v39, v39, v43 :: v_dual_cndmask_b32 v38, v38, v42
	v_cmp_eq_u32_e32 vcc_lo, 0, v4
	ds_bpermute_b32 v39, v51, v39
	ds_bpermute_b32 v38, v51, v38
	s_cbranch_vccnz .LBB70_38
; %bb.20:                               ;   in Loop: Header=BB70_7 Depth=1
	s_add_u32 s10, s10, s29
	s_addc_u32 s11, s11, 0
	s_lshl_b64 s[24:25], s[22:23], 3
	s_mul_i32 s9, s30, s23
	s_mul_hi_u32 s26, s30, s22
	s_add_u32 s24, s16, s24
	s_addc_u32 s25, s17, s25
	s_add_i32 s9, s26, s9
	s_mul_i32 s26, s31, s22
	v_dual_mov_b32 v46, s11 :: v_dual_mov_b32 v45, s10
	s_add_i32 s27, s9, s26
	s_mul_i32 s26, s30, s22
	s_delay_alu instid0(SALU_CYCLE_1)
	s_lshl_b64 s[10:11], s[26:27], 2
	global_store_b64 v3, v[45:46], s[24:25]
	v_add_co_u32 v4, vcc_lo, v54, s10
	v_add_co_ci_u32_e32 v42, vcc_lo, s11, v55, vcc_lo
	v_add_co_u32 v43, vcc_lo, v56, s10
	v_add_co_ci_u32_e32 v44, vcc_lo, s11, v57, vcc_lo
	s_and_saveexec_b32 s9, s33
	s_cbranch_execnz .LBB70_54
; %bb.21:                               ;   in Loop: Header=BB70_7 Depth=1
	s_or_b32 exec_lo, exec_lo, s9
	s_and_saveexec_b32 s9, s34
	s_cbranch_execnz .LBB70_55
.LBB70_22:                              ;   in Loop: Header=BB70_7 Depth=1
	s_or_b32 exec_lo, exec_lo, s9
	s_and_saveexec_b32 s9, s35
	s_cbranch_execnz .LBB70_56
.LBB70_23:                              ;   in Loop: Header=BB70_7 Depth=1
	s_or_b32 exec_lo, exec_lo, s9
	s_and_saveexec_b32 s9, s36
	s_cbranch_execnz .LBB70_57
.LBB70_24:                              ;   in Loop: Header=BB70_7 Depth=1
	s_or_b32 exec_lo, exec_lo, s9
	s_and_saveexec_b32 s9, s37
	s_cbranch_execnz .LBB70_58
.LBB70_25:                              ;   in Loop: Header=BB70_7 Depth=1
	s_or_b32 exec_lo, exec_lo, s9
	s_and_saveexec_b32 s9, s38
	s_cbranch_execnz .LBB70_59
.LBB70_26:                              ;   in Loop: Header=BB70_7 Depth=1
	s_or_b32 exec_lo, exec_lo, s9
	s_and_saveexec_b32 s9, s39
	s_cbranch_execnz .LBB70_60
.LBB70_27:                              ;   in Loop: Header=BB70_7 Depth=1
	s_or_b32 exec_lo, exec_lo, s9
	s_and_saveexec_b32 s9, s40
	s_cbranch_execnz .LBB70_61
.LBB70_28:                              ;   in Loop: Header=BB70_7 Depth=1
	s_or_b32 exec_lo, exec_lo, s9
	s_and_saveexec_b32 s9, s41
	s_cbranch_execnz .LBB70_62
.LBB70_29:                              ;   in Loop: Header=BB70_7 Depth=1
	s_or_b32 exec_lo, exec_lo, s9
	s_and_saveexec_b32 s9, s42
	s_cbranch_execnz .LBB70_63
.LBB70_30:                              ;   in Loop: Header=BB70_7 Depth=1
	s_or_b32 exec_lo, exec_lo, s9
	s_and_saveexec_b32 s9, s43
	s_cbranch_execnz .LBB70_64
.LBB70_31:                              ;   in Loop: Header=BB70_7 Depth=1
	s_or_b32 exec_lo, exec_lo, s9
	s_and_saveexec_b32 s9, s44
	s_cbranch_execnz .LBB70_65
.LBB70_32:                              ;   in Loop: Header=BB70_7 Depth=1
	s_or_b32 exec_lo, exec_lo, s9
	s_and_saveexec_b32 s9, s45
	s_cbranch_execnz .LBB70_66
.LBB70_33:                              ;   in Loop: Header=BB70_7 Depth=1
	s_or_b32 exec_lo, exec_lo, s9
	s_and_saveexec_b32 s9, s46
	s_cbranch_execnz .LBB70_67
.LBB70_34:                              ;   in Loop: Header=BB70_7 Depth=1
	s_or_b32 exec_lo, exec_lo, s9
	s_and_saveexec_b32 s9, s47
	s_cbranch_execnz .LBB70_68
.LBB70_35:                              ;   in Loop: Header=BB70_7 Depth=1
	s_or_b32 exec_lo, exec_lo, s9
	s_and_saveexec_b32 s9, s48
	s_cbranch_execz .LBB70_37
.LBB70_36:                              ;   in Loop: Header=BB70_7 Depth=1
	ds_load_b32 v45, v0 offset:240
	v_add_co_u32 v46, vcc_lo, 0xf0, v43
	v_add_co_ci_u32_e32 v43, vcc_lo, 0, v44, vcc_lo
	v_add_co_u32 v4, vcc_lo, v4, v36
	v_add_co_ci_u32_e32 v42, vcc_lo, v42, v37, vcc_lo
	s_delay_alu instid0(VALU_DEP_1) | instskip(NEXT) | instid1(VALU_DEP_3)
	v_cndmask_b32_e64 v43, v42, v43, s0
	v_cndmask_b32_e64 v42, v4, v46, s0
	s_waitcnt lgkmcnt(0)
	global_store_b32 v[42:43], v45, off
.LBB70_37:                              ;   in Loop: Header=BB70_7 Depth=1
	s_or_b32 exec_lo, exec_lo, s9
	s_mov_b64 s[24:25], 1
.LBB70_38:                              ;   in Loop: Header=BB70_7 Depth=1
	s_waitcnt lgkmcnt(0)
	s_waitcnt_vscnt null, 0x0
	s_barrier
	buffer_gl0_inv
	ds_store_b64 v58, v[40:41]
	s_waitcnt lgkmcnt(0)
	s_barrier
	buffer_gl0_inv
	s_and_saveexec_b32 s9, s1
	s_cbranch_execz .LBB70_40
; %bb.39:                               ;   in Loop: Header=BB70_7 Depth=1
	ds_load_2addr_stride64_b64 v[40:43], v58 offset1:2
	s_waitcnt lgkmcnt(0)
	v_cmp_lt_i64_e32 vcc_lo, v[42:43], v[40:41]
	v_dual_cndmask_b32 v41, v41, v43 :: v_dual_cndmask_b32 v40, v40, v42
	ds_store_b64 v58, v[40:41]
.LBB70_40:                              ;   in Loop: Header=BB70_7 Depth=1
	s_or_b32 exec_lo, exec_lo, s9
	s_waitcnt lgkmcnt(0)
	s_barrier
	buffer_gl0_inv
	s_and_saveexec_b32 s9, s2
	s_cbranch_execz .LBB70_42
; %bb.41:                               ;   in Loop: Header=BB70_7 Depth=1
	ds_load_2addr_stride64_b64 v[40:43], v58 offset1:1
	s_waitcnt lgkmcnt(0)
	v_cmp_lt_i64_e32 vcc_lo, v[42:43], v[40:41]
	v_dual_cndmask_b32 v41, v41, v43 :: v_dual_cndmask_b32 v40, v40, v42
	ds_store_b64 v58, v[40:41]
.LBB70_42:                              ;   in Loop: Header=BB70_7 Depth=1
	s_or_b32 exec_lo, exec_lo, s9
	s_waitcnt lgkmcnt(0)
	s_barrier
	buffer_gl0_inv
	s_and_saveexec_b32 s9, s3
	s_cbranch_execz .LBB70_44
; %bb.43:                               ;   in Loop: Header=BB70_7 Depth=1
	ds_load_2addr_b64 v[40:43], v58 offset1:32
	s_waitcnt lgkmcnt(0)
	v_cmp_lt_i64_e32 vcc_lo, v[42:43], v[40:41]
	v_dual_cndmask_b32 v41, v41, v43 :: v_dual_cndmask_b32 v40, v40, v42
	ds_store_b64 v58, v[40:41]
.LBB70_44:                              ;   in Loop: Header=BB70_7 Depth=1
	s_or_b32 exec_lo, exec_lo, s9
	s_waitcnt lgkmcnt(0)
	s_barrier
	buffer_gl0_inv
	s_and_saveexec_b32 s9, s4
	s_cbranch_execz .LBB70_46
; %bb.45:                               ;   in Loop: Header=BB70_7 Depth=1
	ds_load_2addr_b64 v[40:43], v58 offset1:16
	s_waitcnt lgkmcnt(0)
	v_cmp_lt_i64_e32 vcc_lo, v[42:43], v[40:41]
	v_dual_cndmask_b32 v41, v41, v43 :: v_dual_cndmask_b32 v40, v40, v42
	ds_store_b64 v58, v[40:41]
.LBB70_46:                              ;   in Loop: Header=BB70_7 Depth=1
	;; [unrolled: 13-line block ×5, first 2 shown]
	s_or_b32 exec_lo, exec_lo, s9
	s_waitcnt lgkmcnt(0)
	s_barrier
	buffer_gl0_inv
	s_and_saveexec_b32 s9, s8
	s_cbranch_execz .LBB70_6
; %bb.53:                               ;   in Loop: Header=BB70_7 Depth=1
	ds_load_b128 v[40:43], v3
	s_waitcnt lgkmcnt(0)
	v_cmp_lt_i64_e32 vcc_lo, v[42:43], v[40:41]
	v_dual_cndmask_b32 v41, v41, v43 :: v_dual_cndmask_b32 v40, v40, v42
	ds_store_b64 v3, v[40:41]
	s_branch .LBB70_6
.LBB70_54:                              ;   in Loop: Header=BB70_7 Depth=1
	ds_load_b32 v47, v0
	v_add_co_u32 v45, vcc_lo, v4, v6
	v_add_co_ci_u32_e32 v46, vcc_lo, v42, v7, vcc_lo
	s_delay_alu instid0(VALU_DEP_2) | instskip(NEXT) | instid1(VALU_DEP_2)
	v_cndmask_b32_e64 v45, v45, v43, s0
	v_cndmask_b32_e64 v46, v46, v44, s0
	s_waitcnt lgkmcnt(0)
	global_store_b32 v[45:46], v47, off
	s_or_b32 exec_lo, exec_lo, s9
	s_and_saveexec_b32 s9, s34
	s_cbranch_execz .LBB70_22
.LBB70_55:                              ;   in Loop: Header=BB70_7 Depth=1
	ds_load_b32 v47, v0 offset:16
	v_add_co_u32 v45, vcc_lo, v43, 16
	v_add_co_ci_u32_e32 v46, vcc_lo, 0, v44, vcc_lo
	v_add_co_u32 v48, vcc_lo, v4, v8
	v_add_co_ci_u32_e32 v49, vcc_lo, v42, v9, vcc_lo
	s_delay_alu instid0(VALU_DEP_2) | instskip(NEXT) | instid1(VALU_DEP_2)
	v_cndmask_b32_e64 v45, v48, v45, s0
	v_cndmask_b32_e64 v46, v49, v46, s0
	s_waitcnt lgkmcnt(0)
	global_store_b32 v[45:46], v47, off
	s_or_b32 exec_lo, exec_lo, s9
	s_and_saveexec_b32 s9, s35
	s_cbranch_execz .LBB70_23
.LBB70_56:                              ;   in Loop: Header=BB70_7 Depth=1
	ds_load_b32 v47, v0 offset:32
	v_add_co_u32 v45, vcc_lo, v43, 32
	v_add_co_ci_u32_e32 v46, vcc_lo, 0, v44, vcc_lo
	v_add_co_u32 v48, vcc_lo, v4, v10
	v_add_co_ci_u32_e32 v49, vcc_lo, v42, v11, vcc_lo
	s_delay_alu instid0(VALU_DEP_2) | instskip(NEXT) | instid1(VALU_DEP_2)
	v_cndmask_b32_e64 v45, v48, v45, s0
	v_cndmask_b32_e64 v46, v49, v46, s0
	s_waitcnt lgkmcnt(0)
	global_store_b32 v[45:46], v47, off
	s_or_b32 exec_lo, exec_lo, s9
	s_and_saveexec_b32 s9, s36
	s_cbranch_execz .LBB70_24
.LBB70_57:                              ;   in Loop: Header=BB70_7 Depth=1
	ds_load_b32 v47, v0 offset:48
	v_add_co_u32 v45, vcc_lo, v43, 48
	v_add_co_ci_u32_e32 v46, vcc_lo, 0, v44, vcc_lo
	v_add_co_u32 v48, vcc_lo, v4, v12
	v_add_co_ci_u32_e32 v49, vcc_lo, v42, v13, vcc_lo
	s_delay_alu instid0(VALU_DEP_2) | instskip(NEXT) | instid1(VALU_DEP_2)
	v_cndmask_b32_e64 v45, v48, v45, s0
	v_cndmask_b32_e64 v46, v49, v46, s0
	s_waitcnt lgkmcnt(0)
	global_store_b32 v[45:46], v47, off
	s_or_b32 exec_lo, exec_lo, s9
	s_and_saveexec_b32 s9, s37
	s_cbranch_execz .LBB70_25
.LBB70_58:                              ;   in Loop: Header=BB70_7 Depth=1
	ds_load_b32 v47, v0 offset:64
	v_add_co_u32 v45, vcc_lo, v43, 64
	v_add_co_ci_u32_e32 v46, vcc_lo, 0, v44, vcc_lo
	v_add_co_u32 v48, vcc_lo, v4, v14
	v_add_co_ci_u32_e32 v49, vcc_lo, v42, v15, vcc_lo
	s_delay_alu instid0(VALU_DEP_2) | instskip(NEXT) | instid1(VALU_DEP_2)
	v_cndmask_b32_e64 v45, v48, v45, s0
	v_cndmask_b32_e64 v46, v49, v46, s0
	s_waitcnt lgkmcnt(0)
	global_store_b32 v[45:46], v47, off
	s_or_b32 exec_lo, exec_lo, s9
	s_and_saveexec_b32 s9, s38
	s_cbranch_execz .LBB70_26
.LBB70_59:                              ;   in Loop: Header=BB70_7 Depth=1
	ds_load_b32 v47, v0 offset:80
	v_add_co_u32 v45, vcc_lo, 0x50, v43
	v_add_co_ci_u32_e32 v46, vcc_lo, 0, v44, vcc_lo
	v_add_co_u32 v48, vcc_lo, v4, v16
	v_add_co_ci_u32_e32 v49, vcc_lo, v42, v17, vcc_lo
	s_delay_alu instid0(VALU_DEP_2) | instskip(NEXT) | instid1(VALU_DEP_2)
	v_cndmask_b32_e64 v45, v48, v45, s0
	v_cndmask_b32_e64 v46, v49, v46, s0
	s_waitcnt lgkmcnt(0)
	global_store_b32 v[45:46], v47, off
	s_or_b32 exec_lo, exec_lo, s9
	s_and_saveexec_b32 s9, s39
	s_cbranch_execz .LBB70_27
.LBB70_60:                              ;   in Loop: Header=BB70_7 Depth=1
	ds_load_b32 v47, v0 offset:96
	v_add_co_u32 v45, vcc_lo, 0x60, v43
	v_add_co_ci_u32_e32 v46, vcc_lo, 0, v44, vcc_lo
	v_add_co_u32 v48, vcc_lo, v4, v18
	v_add_co_ci_u32_e32 v49, vcc_lo, v42, v19, vcc_lo
	s_delay_alu instid0(VALU_DEP_2) | instskip(NEXT) | instid1(VALU_DEP_2)
	v_cndmask_b32_e64 v45, v48, v45, s0
	v_cndmask_b32_e64 v46, v49, v46, s0
	s_waitcnt lgkmcnt(0)
	global_store_b32 v[45:46], v47, off
	s_or_b32 exec_lo, exec_lo, s9
	s_and_saveexec_b32 s9, s40
	s_cbranch_execz .LBB70_28
.LBB70_61:                              ;   in Loop: Header=BB70_7 Depth=1
	ds_load_b32 v47, v0 offset:112
	v_add_co_u32 v45, vcc_lo, 0x70, v43
	v_add_co_ci_u32_e32 v46, vcc_lo, 0, v44, vcc_lo
	v_add_co_u32 v48, vcc_lo, v4, v20
	v_add_co_ci_u32_e32 v49, vcc_lo, v42, v21, vcc_lo
	s_delay_alu instid0(VALU_DEP_2) | instskip(NEXT) | instid1(VALU_DEP_2)
	v_cndmask_b32_e64 v45, v48, v45, s0
	v_cndmask_b32_e64 v46, v49, v46, s0
	s_waitcnt lgkmcnt(0)
	global_store_b32 v[45:46], v47, off
	s_or_b32 exec_lo, exec_lo, s9
	s_and_saveexec_b32 s9, s41
	s_cbranch_execz .LBB70_29
.LBB70_62:                              ;   in Loop: Header=BB70_7 Depth=1
	ds_load_b32 v47, v0 offset:128
	v_add_co_u32 v45, vcc_lo, 0x80, v43
	v_add_co_ci_u32_e32 v46, vcc_lo, 0, v44, vcc_lo
	v_add_co_u32 v48, vcc_lo, v4, v22
	v_add_co_ci_u32_e32 v49, vcc_lo, v42, v23, vcc_lo
	s_delay_alu instid0(VALU_DEP_2) | instskip(NEXT) | instid1(VALU_DEP_2)
	v_cndmask_b32_e64 v45, v48, v45, s0
	v_cndmask_b32_e64 v46, v49, v46, s0
	s_waitcnt lgkmcnt(0)
	global_store_b32 v[45:46], v47, off
	s_or_b32 exec_lo, exec_lo, s9
	s_and_saveexec_b32 s9, s42
	s_cbranch_execz .LBB70_30
.LBB70_63:                              ;   in Loop: Header=BB70_7 Depth=1
	ds_load_b32 v47, v0 offset:144
	v_add_co_u32 v45, vcc_lo, 0x90, v43
	v_add_co_ci_u32_e32 v46, vcc_lo, 0, v44, vcc_lo
	v_add_co_u32 v48, vcc_lo, v4, v24
	v_add_co_ci_u32_e32 v49, vcc_lo, v42, v25, vcc_lo
	s_delay_alu instid0(VALU_DEP_2) | instskip(NEXT) | instid1(VALU_DEP_2)
	v_cndmask_b32_e64 v45, v48, v45, s0
	v_cndmask_b32_e64 v46, v49, v46, s0
	s_waitcnt lgkmcnt(0)
	global_store_b32 v[45:46], v47, off
	s_or_b32 exec_lo, exec_lo, s9
	s_and_saveexec_b32 s9, s43
	s_cbranch_execz .LBB70_31
.LBB70_64:                              ;   in Loop: Header=BB70_7 Depth=1
	ds_load_b32 v47, v0 offset:160
	v_add_co_u32 v45, vcc_lo, 0xa0, v43
	v_add_co_ci_u32_e32 v46, vcc_lo, 0, v44, vcc_lo
	v_add_co_u32 v48, vcc_lo, v4, v26
	v_add_co_ci_u32_e32 v49, vcc_lo, v42, v27, vcc_lo
	s_delay_alu instid0(VALU_DEP_2) | instskip(NEXT) | instid1(VALU_DEP_2)
	v_cndmask_b32_e64 v45, v48, v45, s0
	v_cndmask_b32_e64 v46, v49, v46, s0
	s_waitcnt lgkmcnt(0)
	global_store_b32 v[45:46], v47, off
	s_or_b32 exec_lo, exec_lo, s9
	s_and_saveexec_b32 s9, s44
	s_cbranch_execz .LBB70_32
.LBB70_65:                              ;   in Loop: Header=BB70_7 Depth=1
	ds_load_b32 v47, v0 offset:176
	v_add_co_u32 v45, vcc_lo, 0xb0, v43
	v_add_co_ci_u32_e32 v46, vcc_lo, 0, v44, vcc_lo
	v_add_co_u32 v48, vcc_lo, v4, v28
	v_add_co_ci_u32_e32 v49, vcc_lo, v42, v29, vcc_lo
	s_delay_alu instid0(VALU_DEP_2) | instskip(NEXT) | instid1(VALU_DEP_2)
	v_cndmask_b32_e64 v45, v48, v45, s0
	v_cndmask_b32_e64 v46, v49, v46, s0
	s_waitcnt lgkmcnt(0)
	global_store_b32 v[45:46], v47, off
	s_or_b32 exec_lo, exec_lo, s9
	s_and_saveexec_b32 s9, s45
	s_cbranch_execz .LBB70_33
.LBB70_66:                              ;   in Loop: Header=BB70_7 Depth=1
	ds_load_b32 v47, v0 offset:192
	v_add_co_u32 v45, vcc_lo, 0xc0, v43
	v_add_co_ci_u32_e32 v46, vcc_lo, 0, v44, vcc_lo
	v_add_co_u32 v48, vcc_lo, v4, v30
	v_add_co_ci_u32_e32 v49, vcc_lo, v42, v31, vcc_lo
	s_delay_alu instid0(VALU_DEP_2) | instskip(NEXT) | instid1(VALU_DEP_2)
	v_cndmask_b32_e64 v45, v48, v45, s0
	v_cndmask_b32_e64 v46, v49, v46, s0
	s_waitcnt lgkmcnt(0)
	global_store_b32 v[45:46], v47, off
	s_or_b32 exec_lo, exec_lo, s9
	s_and_saveexec_b32 s9, s46
	s_cbranch_execz .LBB70_34
.LBB70_67:                              ;   in Loop: Header=BB70_7 Depth=1
	ds_load_b32 v47, v0 offset:208
	v_add_co_u32 v45, vcc_lo, 0xd0, v43
	v_add_co_ci_u32_e32 v46, vcc_lo, 0, v44, vcc_lo
	v_add_co_u32 v48, vcc_lo, v4, v32
	v_add_co_ci_u32_e32 v49, vcc_lo, v42, v33, vcc_lo
	s_delay_alu instid0(VALU_DEP_2) | instskip(NEXT) | instid1(VALU_DEP_2)
	v_cndmask_b32_e64 v45, v48, v45, s0
	v_cndmask_b32_e64 v46, v49, v46, s0
	s_waitcnt lgkmcnt(0)
	global_store_b32 v[45:46], v47, off
	s_or_b32 exec_lo, exec_lo, s9
	s_and_saveexec_b32 s9, s47
	s_cbranch_execz .LBB70_35
.LBB70_68:                              ;   in Loop: Header=BB70_7 Depth=1
	ds_load_b32 v47, v0 offset:224
	v_add_co_u32 v45, vcc_lo, 0xe0, v43
	v_add_co_ci_u32_e32 v46, vcc_lo, 0, v44, vcc_lo
	v_add_co_u32 v48, vcc_lo, v4, v34
	v_add_co_ci_u32_e32 v49, vcc_lo, v42, v35, vcc_lo
	s_delay_alu instid0(VALU_DEP_2) | instskip(NEXT) | instid1(VALU_DEP_2)
	v_cndmask_b32_e64 v45, v48, v45, s0
	v_cndmask_b32_e64 v46, v49, v46, s0
	s_waitcnt lgkmcnt(0)
	global_store_b32 v[45:46], v47, off
	s_or_b32 exec_lo, exec_lo, s9
	s_and_saveexec_b32 s9, s48
	s_cbranch_execnz .LBB70_36
	s_branch .LBB70_37
.LBB70_69:
	s_endpgm
	.section	.rodata,"a",@progbits
	.p2align	6, 0x0
	.amdhsa_kernel _ZN9rocsparseL38csr2bsr_block_per_row_multipass_kernelILj256ELj64EfllEEv20rocsparse_direction_T3_S2_S2_S2_S2_21rocsparse_index_base_PKT1_PKT2_PKS2_S3_PS4_PS7_PS2_
		.amdhsa_group_segment_fixed_size 16388
		.amdhsa_private_segment_fixed_size 0
		.amdhsa_kernarg_size 112
		.amdhsa_user_sgpr_count 15
		.amdhsa_user_sgpr_dispatch_ptr 0
		.amdhsa_user_sgpr_queue_ptr 0
		.amdhsa_user_sgpr_kernarg_segment_ptr 1
		.amdhsa_user_sgpr_dispatch_id 0
		.amdhsa_user_sgpr_private_segment_size 0
		.amdhsa_wavefront_size32 1
		.amdhsa_uses_dynamic_stack 0
		.amdhsa_enable_private_segment 0
		.amdhsa_system_sgpr_workgroup_id_x 1
		.amdhsa_system_sgpr_workgroup_id_y 0
		.amdhsa_system_sgpr_workgroup_id_z 0
		.amdhsa_system_sgpr_workgroup_info 0
		.amdhsa_system_vgpr_workitem_id 0
		.amdhsa_next_free_vgpr 70
		.amdhsa_next_free_sgpr 53
		.amdhsa_reserve_vcc 1
		.amdhsa_float_round_mode_32 0
		.amdhsa_float_round_mode_16_64 0
		.amdhsa_float_denorm_mode_32 3
		.amdhsa_float_denorm_mode_16_64 3
		.amdhsa_dx10_clamp 1
		.amdhsa_ieee_mode 1
		.amdhsa_fp16_overflow 0
		.amdhsa_workgroup_processor_mode 1
		.amdhsa_memory_ordered 1
		.amdhsa_forward_progress 0
		.amdhsa_shared_vgpr_count 0
		.amdhsa_exception_fp_ieee_invalid_op 0
		.amdhsa_exception_fp_denorm_src 0
		.amdhsa_exception_fp_ieee_div_zero 0
		.amdhsa_exception_fp_ieee_overflow 0
		.amdhsa_exception_fp_ieee_underflow 0
		.amdhsa_exception_fp_ieee_inexact 0
		.amdhsa_exception_int_div_zero 0
	.end_amdhsa_kernel
	.section	.text._ZN9rocsparseL38csr2bsr_block_per_row_multipass_kernelILj256ELj64EfllEEv20rocsparse_direction_T3_S2_S2_S2_S2_21rocsparse_index_base_PKT1_PKT2_PKS2_S3_PS4_PS7_PS2_,"axG",@progbits,_ZN9rocsparseL38csr2bsr_block_per_row_multipass_kernelILj256ELj64EfllEEv20rocsparse_direction_T3_S2_S2_S2_S2_21rocsparse_index_base_PKT1_PKT2_PKS2_S3_PS4_PS7_PS2_,comdat
.Lfunc_end70:
	.size	_ZN9rocsparseL38csr2bsr_block_per_row_multipass_kernelILj256ELj64EfllEEv20rocsparse_direction_T3_S2_S2_S2_S2_21rocsparse_index_base_PKT1_PKT2_PKS2_S3_PS4_PS7_PS2_, .Lfunc_end70-_ZN9rocsparseL38csr2bsr_block_per_row_multipass_kernelILj256ELj64EfllEEv20rocsparse_direction_T3_S2_S2_S2_S2_21rocsparse_index_base_PKT1_PKT2_PKS2_S3_PS4_PS7_PS2_
                                        ; -- End function
	.section	.AMDGPU.csdata,"",@progbits
; Kernel info:
; codeLenInByte = 5176
; NumSgprs: 55
; NumVgprs: 70
; ScratchSize: 0
; MemoryBound: 0
; FloatMode: 240
; IeeeMode: 1
; LDSByteSize: 16388 bytes/workgroup (compile time only)
; SGPRBlocks: 6
; VGPRBlocks: 8
; NumSGPRsForWavesPerEU: 55
; NumVGPRsForWavesPerEU: 70
; Occupancy: 14
; WaveLimiterHint : 1
; COMPUTE_PGM_RSRC2:SCRATCH_EN: 0
; COMPUTE_PGM_RSRC2:USER_SGPR: 15
; COMPUTE_PGM_RSRC2:TRAP_HANDLER: 0
; COMPUTE_PGM_RSRC2:TGID_X_EN: 1
; COMPUTE_PGM_RSRC2:TGID_Y_EN: 0
; COMPUTE_PGM_RSRC2:TGID_Z_EN: 0
; COMPUTE_PGM_RSRC2:TIDIG_COMP_CNT: 0
	.section	.text._ZN9rocsparseL21csr2bsr_65_inf_kernelILj32EfllEEv20rocsparse_direction_T2_S2_S2_S2_S2_S2_21rocsparse_index_base_PKT0_PKT1_PKS2_S3_PS4_PS7_PS2_SD_SE_SC_,"axG",@progbits,_ZN9rocsparseL21csr2bsr_65_inf_kernelILj32EfllEEv20rocsparse_direction_T2_S2_S2_S2_S2_S2_21rocsparse_index_base_PKT0_PKT1_PKS2_S3_PS4_PS7_PS2_SD_SE_SC_,comdat
	.globl	_ZN9rocsparseL21csr2bsr_65_inf_kernelILj32EfllEEv20rocsparse_direction_T2_S2_S2_S2_S2_S2_21rocsparse_index_base_PKT0_PKT1_PKS2_S3_PS4_PS7_PS2_SD_SE_SC_ ; -- Begin function _ZN9rocsparseL21csr2bsr_65_inf_kernelILj32EfllEEv20rocsparse_direction_T2_S2_S2_S2_S2_S2_21rocsparse_index_base_PKT0_PKT1_PKS2_S3_PS4_PS7_PS2_SD_SE_SC_
	.p2align	8
	.type	_ZN9rocsparseL21csr2bsr_65_inf_kernelILj32EfllEEv20rocsparse_direction_T2_S2_S2_S2_S2_S2_21rocsparse_index_base_PKT0_PKT1_PKS2_S3_PS4_PS7_PS2_SD_SE_SC_,@function
_ZN9rocsparseL21csr2bsr_65_inf_kernelILj32EfllEEv20rocsparse_direction_T2_S2_S2_S2_S2_S2_21rocsparse_index_base_PKT0_PKT1_PKS2_S3_PS4_PS7_PS2_SD_SE_SC_: ; @_ZN9rocsparseL21csr2bsr_65_inf_kernelILj32EfllEEv20rocsparse_direction_T2_S2_S2_S2_S2_S2_21rocsparse_index_base_PKT0_PKT1_PKS2_S3_PS4_PS7_PS2_SD_SE_SC_
; %bb.0:
	s_clause 0x3
	s_load_b64 s[8:9], s[0:1], 0x18
	s_load_b128 s[4:7], s[0:1], 0x8
	s_load_b64 s[2:3], s[0:1], 0x78
	s_load_b32 s24, s[0:1], 0x58
	s_mov_b32 s12, s15
	s_mov_b32 s13, 0
	s_mov_b64 s[14:15], 0
	s_waitcnt lgkmcnt(0)
	v_cmp_ge_i64_e64 s8, s[12:13], s[8:9]
	s_delay_alu instid0(VALU_DEP_1)
	s_and_b32 vcc_lo, exec_lo, s8
	s_cbranch_vccnz .LBB71_2
; %bb.1:
	s_load_b64 s[8:9], s[0:1], 0x68
	s_lshl_b64 s[10:11], s[12:13], 3
	s_waitcnt lgkmcnt(0)
	s_add_u32 s8, s8, s10
	s_addc_u32 s9, s9, s11
	s_load_b64 s[8:9], s[8:9], 0x0
	s_waitcnt lgkmcnt(0)
	s_sub_u32 s14, s8, s24
	s_subb_u32 s15, s9, 0
.LBB71_2:
	s_clause 0x1
	s_load_b128 s[8:11], s[0:1], 0x28
	s_load_b32 s25, s[0:1], 0x38
	s_waitcnt lgkmcnt(0)
	v_mad_u64_u32 v[6:7], null, v0, s10, 0
	s_mul_i32 s13, s12, s11
	s_mul_hi_u32 s17, s12, s10
	s_mul_i32 s16, s12, s10
	s_add_i32 s17, s17, s13
	v_cmp_gt_i64_e64 s26, s[10:11], 0
	s_lshl_b64 s[16:17], s[16:17], 9
	s_delay_alu instid0(VALU_DEP_2)
	v_mov_b32_e32 v1, v7
	s_add_u32 s13, s2, s16
	s_addc_u32 s16, s3, s17
	s_lshl_b64 s[2:3], s[10:11], 8
	v_cmp_lt_i64_e64 s17, s[10:11], 1
	v_mad_u64_u32 v[2:3], null, v0, s11, v[1:2]
	s_add_u32 s2, s13, s2
	s_addc_u32 s3, s16, s3
	v_mov_b32_e32 v1, 0
	s_delay_alu instid0(VALU_DEP_2) | instskip(NEXT) | instid1(VALU_DEP_1)
	v_mov_b32_e32 v7, v2
	v_lshlrev_b64 v[8:9], 3, v[6:7]
	s_delay_alu instid0(VALU_DEP_1) | instskip(NEXT) | instid1(VALU_DEP_2)
	v_add_co_u32 v2, vcc_lo, s13, v8
	v_add_co_ci_u32_e32 v3, vcc_lo, s16, v9, vcc_lo
	v_add_co_u32 v4, vcc_lo, s2, v8
	v_add_co_ci_u32_e32 v5, vcc_lo, s3, v9, vcc_lo
	s_and_b32 vcc_lo, exec_lo, s17
	s_cbranch_vccnz .LBB71_7
; %bb.3:
	s_load_b64 s[16:17], s[0:1], 0x48
	s_mul_i32 s2, s12, s9
	s_mul_hi_u32 s13, s12, s8
	s_mul_i32 s3, s12, s8
	s_add_i32 s13, s13, s2
	v_add_co_u32 v10, s2, s3, v0
	s_delay_alu instid0(VALU_DEP_1) | instskip(SKIP_2) | instid1(VALU_DEP_2)
	v_add_co_ci_u32_e64 v11, null, s13, 0, s2
	s_mov_b32 s18, 0
	v_dual_mov_b32 v13, v3 :: v_dual_mov_b32 v12, v2
	v_lshlrev_b64 v[14:15], 3, v[10:11]
	s_mov_b32 s19, s18
	v_dual_mov_b32 v11, v5 :: v_dual_mov_b32 v10, v4
	v_dual_mov_b32 v19, v1 :: v_dual_mov_b32 v18, v0
	s_waitcnt lgkmcnt(0)
	s_delay_alu instid0(VALU_DEP_3) | instskip(SKIP_2) | instid1(VALU_DEP_3)
	v_add_co_u32 v16, vcc_lo, v14, s16
	v_add_co_ci_u32_e32 v17, vcc_lo, s17, v15, vcc_lo
	v_dual_mov_b32 v14, s18 :: v_dual_mov_b32 v15, s19
	v_add_co_u32 v16, vcc_lo, v16, 8
	s_delay_alu instid0(VALU_DEP_3)
	v_add_co_ci_u32_e32 v17, vcc_lo, 0, v17, vcc_lo
	s_mov_b64 s[16:17], s[10:11]
	s_set_inst_prefetch_distance 0x1
	s_branch .LBB71_5
	.p2align	6
.LBB71_4:                               ;   in Loop: Header=BB71_5 Depth=1
	s_or_b32 exec_lo, exec_lo, s2
	v_add_co_u32 v18, vcc_lo, v18, 32
	v_add_co_ci_u32_e32 v19, vcc_lo, 0, v19, vcc_lo
	v_add_co_u32 v12, vcc_lo, v12, 8
	v_add_co_ci_u32_e32 v13, vcc_lo, 0, v13, vcc_lo
	;; [unrolled: 2-line block ×3, first 2 shown]
	v_add_co_u32 v10, vcc_lo, v10, 8
	s_add_u32 s16, s16, -1
	v_add_co_ci_u32_e32 v11, vcc_lo, 0, v11, vcc_lo
	s_addc_u32 s17, s17, -1
	s_delay_alu instid0(SALU_CYCLE_1)
	s_cmp_eq_u64 s[16:17], 0
	s_cbranch_scc1 .LBB71_7
.LBB71_5:                               ; =>This Inner Loop Header: Depth=1
	v_add_co_u32 v20, vcc_lo, s3, v18
	v_add_co_ci_u32_e32 v21, vcc_lo, s13, v19, vcc_lo
	v_cmp_gt_i64_e64 s2, s[8:9], v[18:19]
	global_store_b64 v[12:13], v[14:15], off
	global_store_b64 v[10:11], v[14:15], off
	v_cmp_gt_i64_e32 vcc_lo, s[4:5], v[20:21]
	s_and_b32 s18, vcc_lo, s2
	s_delay_alu instid0(SALU_CYCLE_1)
	s_and_saveexec_b32 s2, s18
	s_cbranch_execz .LBB71_4
; %bb.6:                                ;   in Loop: Header=BB71_5 Depth=1
	global_load_b128 v[20:23], v[16:17], off offset:-8
	s_waitcnt vmcnt(0)
	v_sub_co_u32 v20, vcc_lo, v20, s25
	v_subrev_co_ci_u32_e32 v21, vcc_lo, 0, v21, vcc_lo
	v_sub_co_u32 v22, vcc_lo, v22, s25
	v_subrev_co_ci_u32_e32 v23, vcc_lo, 0, v23, vcc_lo
	global_store_b64 v[12:13], v[20:21], off
	global_store_b64 v[10:11], v[22:23], off
	s_branch .LBB71_4
.LBB71_7:
	s_set_inst_prefetch_distance 0x2
	v_cmp_lt_i64_e64 s2, s[6:7], 1
	s_delay_alu instid0(VALU_DEP_1)
	s_and_b32 vcc_lo, exec_lo, s2
	s_cbranch_vccnz .LBB71_52
; %bb.8:
	s_clause 0x1
	s_load_b128 s[16:19], s[0:1], 0x80
	s_load_b64 s[20:21], s[0:1], 0x70
	s_lshl_b64 s[2:3], s[10:11], 5
	v_mbcnt_lo_u32_b32 v12, -1, 0
	s_mul_i32 s3, s3, s12
	s_mul_hi_u32 s4, s2, s12
	s_mul_i32 s2, s2, s12
	s_add_i32 s3, s4, s3
	v_lshlrev_b64 v[10:11], 2, v[6:7]
	s_lshl_b64 s[4:5], s[2:3], 3
	v_xor_b32_e32 v13, 16, v12
	v_xor_b32_e32 v14, 2, v12
	;; [unrolled: 1-line block ×3, first 2 shown]
	v_mov_b32_e32 v18, 0
	s_mov_b32 s27, 0
	v_mov_b32_e32 v43, 0x7c
	v_mov_b32_e32 v19, 0
	s_delay_alu instid0(VALU_DEP_3)
	v_mov_b32_e32 v16, v18
	s_waitcnt lgkmcnt(0)
	s_add_u32 s4, s16, s4
	s_addc_u32 s5, s17, s5
	s_lshl_b64 s[2:3], s[2:3], 2
	v_add_co_u32 v6, vcc_lo, s4, v8
	s_add_u32 s2, s18, s2
	v_add_co_ci_u32_e32 v7, vcc_lo, s5, v9, vcc_lo
	s_addc_u32 s3, s19, s3
	v_add_co_u32 v8, vcc_lo, s2, v10
	v_add_co_ci_u32_e32 v9, vcc_lo, s3, v11, vcc_lo
	v_xor_b32_e32 v10, 8, v12
	v_cmp_gt_i32_e32 vcc_lo, 32, v13
	s_clause 0x3
	s_load_b64 s[2:3], s[0:1], 0x60
	s_load_b64 s[4:5], s[0:1], 0x50
	;; [unrolled: 1-line block ×3, first 2 shown]
	s_load_b32 s1, s[0:1], 0x0
	s_lshl_b64 s[16:17], s[14:15], 3
	v_cmp_eq_u32_e64 s0, 31, v0
	s_add_u32 s28, s20, s16
	v_cndmask_b32_e32 v11, v12, v13, vcc_lo
	v_xor_b32_e32 v13, 4, v12
	v_cmp_gt_i32_e32 vcc_lo, 32, v10
	s_addc_u32 s29, s21, s17
	v_dual_mov_b32 v17, v19 :: v_dual_cndmask_b32 v10, v12, v10
	s_delay_alu instid0(VALU_DEP_3) | instskip(NEXT) | instid1(VALU_DEP_2)
	v_cmp_gt_i32_e32 vcc_lo, 32, v13
	v_lshlrev_b32_e32 v39, 2, v10
	v_cndmask_b32_e32 v13, v12, v13, vcc_lo
	v_cmp_gt_i32_e32 vcc_lo, 32, v14
	v_lshlrev_b32_e32 v10, 2, v0
	s_waitcnt lgkmcnt(0)
	s_cmp_lg_u32 s1, 0
	s_cselect_b32 s30, -1, 0
	v_cndmask_b32_e32 v14, v12, v14, vcc_lo
	v_cmp_gt_i32_e32 vcc_lo, 32, v15
	s_add_u32 s31, s14, -1
	s_addc_u32 s33, s15, -1
	s_lshl_b64 s[14:15], s[8:9], 2
	v_dual_cndmask_b32 v12, v12, v15 :: v_dual_lshlrev_b32 v41, 2, v14
	v_dual_mov_b32 v14, v18 :: v_dual_mov_b32 v15, v19
	v_add_co_u32 v10, s1, s2, v10
	s_delay_alu instid0(VALU_DEP_3)
	v_lshlrev_b32_e32 v42, 2, v12
	v_lshlrev_b32_e32 v38, 2, v11
	;; [unrolled: 1-line block ×3, first 2 shown]
	v_add_co_ci_u32_e64 v11, null, s3, 0, s1
	v_mov_b32_e32 v12, 0
	s_lshl_b64 s[16:17], s[8:9], 7
	s_ashr_i32 s18, s9, 31
	s_branch .LBB71_10
.LBB71_9:                               ;   in Loop: Header=BB71_10 Depth=1
	s_waitcnt lgkmcnt(3)
	v_add_co_u32 v18, vcc_lo, v34, 1
	s_waitcnt lgkmcnt(2)
	v_add_co_ci_u32_e32 v19, vcc_lo, 0, v35, vcc_lo
	s_delay_alu instid0(VALU_DEP_1) | instskip(SKIP_1) | instid1(SALU_CYCLE_1)
	v_cmp_le_i64_e32 vcc_lo, s[6:7], v[18:19]
	s_or_b32 s27, vcc_lo, s27
	s_and_not1_b32 exec_lo, exec_lo, s27
	s_cbranch_execz .LBB71_52
.LBB71_10:                              ; =>This Loop Header: Depth=1
                                        ;     Child Loop BB71_14 Depth 2
                                        ;       Child Loop BB71_17 Depth 3
                                        ;     Child Loop BB71_33 Depth 2
	v_dual_mov_b32 v21, s7 :: v_dual_mov_b32 v20, s6
	s_and_not1_b32 vcc_lo, exec_lo, s26
	s_cbranch_vccnz .LBB71_23
; %bb.11:                               ;   in Loop: Header=BB71_10 Depth=1
	v_dual_mov_b32 v21, s7 :: v_dual_mov_b32 v20, s6
	s_mov_b64 s[20:21], 0
	s_branch .LBB71_14
.LBB71_12:                              ;   in Loop: Header=BB71_14 Depth=2
	s_or_b32 exec_lo, exec_lo, s1
.LBB71_13:                              ;   in Loop: Header=BB71_14 Depth=2
	s_delay_alu instid0(SALU_CYCLE_1) | instskip(SKIP_2) | instid1(SALU_CYCLE_1)
	s_or_b32 exec_lo, exec_lo, s19
	s_add_u32 s20, s20, 1
	s_addc_u32 s21, s21, 0
	s_cmp_eq_u64 s[20:21], s[10:11]
	s_cbranch_scc1 .LBB71_23
.LBB71_14:                              ;   Parent Loop BB71_10 Depth=1
                                        ; =>  This Loop Header: Depth=2
                                        ;       Child Loop BB71_17 Depth 3
	s_lshl_b64 s[22:23], s[20:21], 3
	s_lshl_b64 s[34:35], s[20:21], 2
	v_add_co_u32 v22, vcc_lo, v2, s22
	v_add_co_ci_u32_e32 v23, vcc_lo, s23, v3, vcc_lo
	v_add_co_u32 v24, vcc_lo, v4, s22
	v_add_co_ci_u32_e32 v25, vcc_lo, s23, v5, vcc_lo
	v_dual_mov_b32 v29, s7 :: v_dual_mov_b32 v28, s6
	s_clause 0x1
	global_load_b64 v[34:35], v[22:23], off
	global_load_b64 v[32:33], v[24:25], off
	v_add_co_u32 v24, vcc_lo, v8, s34
	v_add_co_ci_u32_e32 v25, vcc_lo, s35, v9, vcc_lo
	v_add_co_u32 v26, vcc_lo, v6, s22
	v_add_co_ci_u32_e32 v27, vcc_lo, s23, v7, vcc_lo
	s_mov_b32 s19, exec_lo
	global_store_b32 v[24:25], v12, off
	global_store_b64 v[26:27], v[28:29], off
	s_waitcnt vmcnt(0)
	v_cmpx_lt_i64_e64 v[34:35], v[32:33]
	s_cbranch_execz .LBB71_13
; %bb.15:                               ;   in Loop: Header=BB71_14 Depth=2
	v_lshlrev_b64 v[28:29], 3, v[34:35]
	s_mov_b32 s22, 0
                                        ; implicit-def: $sgpr23
                                        ; implicit-def: $sgpr35
                                        ; implicit-def: $sgpr34
	s_delay_alu instid0(VALU_DEP_1) | instskip(NEXT) | instid1(VALU_DEP_2)
	v_add_co_u32 v36, vcc_lo, s4, v28
	v_add_co_ci_u32_e32 v37, vcc_lo, s5, v29, vcc_lo
	s_set_inst_prefetch_distance 0x1
	s_branch .LBB71_17
	.p2align	6
.LBB71_16:                              ;   in Loop: Header=BB71_17 Depth=3
	s_or_b32 exec_lo, exec_lo, s36
	s_delay_alu instid0(SALU_CYCLE_1) | instskip(NEXT) | instid1(SALU_CYCLE_1)
	s_and_b32 s1, exec_lo, s35
	s_or_b32 s22, s1, s22
	s_and_not1_b32 s1, s23, exec_lo
	s_and_b32 s23, s34, exec_lo
	s_delay_alu instid0(SALU_CYCLE_1)
	s_or_b32 s23, s1, s23
	s_and_not1_b32 exec_lo, exec_lo, s22
	s_cbranch_execz .LBB71_19
.LBB71_17:                              ;   Parent Loop BB71_10 Depth=1
                                        ;     Parent Loop BB71_14 Depth=2
                                        ; =>    This Inner Loop Header: Depth=3
	global_load_b64 v[28:29], v[36:37], off
	s_or_b32 s34, s34, exec_lo
	s_or_b32 s35, s35, exec_lo
	s_mov_b32 s36, exec_lo
	s_waitcnt vmcnt(0)
	v_sub_co_u32 v30, vcc_lo, v28, s25
	v_subrev_co_ci_u32_e32 v31, vcc_lo, 0, v29, vcc_lo
	v_dual_mov_b32 v28, v34 :: v_dual_mov_b32 v29, v35
                                        ; implicit-def: $vgpr34_vgpr35
	s_delay_alu instid0(VALU_DEP_2)
	v_cmpx_lt_i64_e64 v[30:31], v[18:19]
	s_cbranch_execz .LBB71_16
; %bb.18:                               ;   in Loop: Header=BB71_17 Depth=3
	s_delay_alu instid0(VALU_DEP_2) | instskip(NEXT) | instid1(VALU_DEP_3)
	v_add_co_u32 v34, vcc_lo, v28, 1
	v_add_co_ci_u32_e32 v35, vcc_lo, 0, v29, vcc_lo
	v_add_co_u32 v36, s1, v36, 8
	s_delay_alu instid0(VALU_DEP_1) | instskip(NEXT) | instid1(VALU_DEP_3)
	v_add_co_ci_u32_e64 v37, s1, 0, v37, s1
	v_cmp_ge_i64_e32 vcc_lo, v[34:35], v[32:33]
	s_and_not1_b32 s1, s35, exec_lo
	s_and_not1_b32 s34, s34, exec_lo
	s_and_b32 s35, vcc_lo, exec_lo
	s_delay_alu instid0(SALU_CYCLE_1)
	s_or_b32 s35, s1, s35
	s_branch .LBB71_16
.LBB71_19:                              ;   in Loop: Header=BB71_14 Depth=2
	s_set_inst_prefetch_distance 0x2
	s_or_b32 exec_lo, exec_lo, s22
	v_lshlrev_b64 v[32:33], 2, v[28:29]
	s_xor_b32 s1, s23, -1
	s_delay_alu instid0(SALU_CYCLE_1) | instskip(NEXT) | instid1(SALU_CYCLE_1)
	s_and_saveexec_b32 s22, s1
	s_xor_b32 s1, exec_lo, s22
	s_cbranch_execz .LBB71_21
; %bb.20:                               ;   in Loop: Header=BB71_14 Depth=2
	s_delay_alu instid0(VALU_DEP_1)
	v_add_co_u32 v22, vcc_lo, s12, v32
	v_add_co_ci_u32_e32 v23, vcc_lo, s13, v33, vcc_lo
                                        ; implicit-def: $vgpr32_vgpr33
	global_load_b32 v13, v[22:23], off
                                        ; implicit-def: $vgpr22_vgpr23
	s_waitcnt vmcnt(0)
	global_store_b32 v[24:25], v13, off
	global_store_b64 v[26:27], v[30:31], off
                                        ; implicit-def: $vgpr24_vgpr25
                                        ; implicit-def: $vgpr26_vgpr27
.LBB71_21:                              ;   in Loop: Header=BB71_14 Depth=2
	s_and_not1_saveexec_b32 s1, s1
	s_cbranch_execz .LBB71_12
; %bb.22:                               ;   in Loop: Header=BB71_14 Depth=2
	v_add_co_u32 v32, vcc_lo, s12, v32
	v_add_co_ci_u32_e32 v33, vcc_lo, s13, v33, vcc_lo
	v_cmp_lt_i64_e32 vcc_lo, v[30:31], v[20:21]
	global_load_b32 v13, v[32:33], off
	global_store_b64 v[26:27], v[30:31], off
	s_waitcnt vmcnt(0)
	global_store_b32 v[24:25], v13, off
	global_store_b64 v[22:23], v[28:29], off
	v_dual_cndmask_b32 v21, v21, v31 :: v_dual_cndmask_b32 v20, v20, v30
	s_branch .LBB71_12
.LBB71_23:                              ;   in Loop: Header=BB71_10 Depth=1
	ds_bpermute_b32 v18, v38, v20
	ds_bpermute_b32 v19, v38, v21
	s_waitcnt lgkmcnt(0)
	v_cmp_lt_i64_e32 vcc_lo, v[18:19], v[20:21]
	v_dual_cndmask_b32 v19, v21, v19 :: v_dual_cndmask_b32 v18, v20, v18
	ds_bpermute_b32 v21, v39, v19
	ds_bpermute_b32 v20, v39, v18
	s_waitcnt lgkmcnt(0)
	v_cmp_lt_i64_e32 vcc_lo, v[20:21], v[18:19]
	v_dual_cndmask_b32 v19, v19, v21 :: v_dual_cndmask_b32 v18, v18, v20
	;; [unrolled: 5-line block ×5, first 2 shown]
	s_delay_alu instid0(VALU_DEP_1) | instskip(SKIP_1) | instid1(SALU_CYCLE_1)
	v_cmp_gt_i64_e32 vcc_lo, s[6:7], v[18:19]
	s_and_b32 s1, s0, vcc_lo
	s_and_saveexec_b32 s22, s1
	s_cbranch_execz .LBB71_29
; %bb.24:                               ;   in Loop: Header=BB71_10 Depth=1
	v_or_b32_e32 v13, s9, v19
                                        ; implicit-def: $vgpr20_vgpr21
	s_mov_b32 s1, exec_lo
	s_delay_alu instid0(VALU_DEP_1)
	v_cmpx_ne_u64_e32 0, v[12:13]
	s_xor_b32 s23, exec_lo, s1
	s_cbranch_execnz .LBB71_50
; %bb.25:                               ;   in Loop: Header=BB71_10 Depth=1
	s_and_not1_saveexec_b32 s1, s23
	s_cbranch_execnz .LBB71_51
.LBB71_26:                              ;   in Loop: Header=BB71_10 Depth=1
	s_or_b32 exec_lo, exec_lo, s1
	s_delay_alu instid0(SALU_CYCLE_1)
	s_mov_b32 s1, exec_lo
	v_cmpx_ge_i64_e64 v[20:21], v[16:17]
	s_cbranch_execz .LBB71_28
.LBB71_27:                              ;   in Loop: Header=BB71_10 Depth=1
	v_lshlrev_b64 v[16:17], 3, v[14:15]
	v_add_co_u32 v22, vcc_lo, v20, s24
	v_add_co_ci_u32_e32 v23, vcc_lo, 0, v21, vcc_lo
	s_delay_alu instid0(VALU_DEP_3) | instskip(NEXT) | instid1(VALU_DEP_4)
	v_add_co_u32 v24, vcc_lo, s28, v16
	v_add_co_ci_u32_e32 v25, vcc_lo, s29, v17, vcc_lo
	v_add_co_u32 v14, vcc_lo, v14, 1
	v_add_co_ci_u32_e32 v15, vcc_lo, 0, v15, vcc_lo
	;; [unrolled: 2-line block ×3, first 2 shown]
	global_store_b64 v[24:25], v[22:23], off
.LBB71_28:                              ;   in Loop: Header=BB71_10 Depth=1
	s_or_b32 exec_lo, exec_lo, s1
.LBB71_29:                              ;   in Loop: Header=BB71_10 Depth=1
	s_delay_alu instid0(SALU_CYCLE_1)
	s_or_b32 exec_lo, exec_lo, s22
	ds_bpermute_b32 v34, v43, v18
	ds_bpermute_b32 v35, v43, v19
	;; [unrolled: 1-line block ×4, first 2 shown]
	s_and_not1_b32 vcc_lo, exec_lo, s26
	s_cbranch_vccnz .LBB71_9
; %bb.30:                               ;   in Loop: Header=BB71_10 Depth=1
	v_add_co_u32 v13, vcc_lo, s31, 0
	s_waitcnt lgkmcnt(0)
	v_add_co_ci_u32_e32 v18, vcc_lo, s33, v15, vcc_lo
	v_dual_mov_b32 v25, v9 :: v_dual_mov_b32 v24, v8
	s_delay_alu instid0(VALU_DEP_3) | instskip(NEXT) | instid1(VALU_DEP_3)
	v_add_co_u32 v13, vcc_lo, v13, v14
	v_add_co_ci_u32_e32 v18, vcc_lo, 0, v18, vcc_lo
	s_mov_b64 s[20:21], s[10:11]
	s_delay_alu instid0(VALU_DEP_2) | instskip(SKIP_1) | instid1(VALU_DEP_3)
	v_mul_lo_u32 v19, s9, v13
	v_mad_u64_u32 v[22:23], null, s8, v13, v[0:1]
	v_mul_lo_u32 v18, s8, v18
	v_add_co_u32 v13, vcc_lo, s31, v14
	v_add_co_ci_u32_e32 v20, vcc_lo, s33, v15, vcc_lo
	s_delay_alu instid0(VALU_DEP_2) | instskip(NEXT) | instid1(VALU_DEP_4)
	v_mul_lo_u32 v27, v13, s9
	v_add3_u32 v23, v19, v23, v18
	s_delay_alu instid0(VALU_DEP_3)
	v_mul_lo_u32 v26, v20, s8
	v_mad_u64_u32 v[18:19], null, v13, s8, 0
	v_mul_lo_u32 v13, s15, v22
	v_mad_u64_u32 v[20:21], null, s14, v22, s[2:3]
	v_mul_lo_u32 v28, s14, v23
	v_dual_mov_b32 v23, v7 :: v_dual_mov_b32 v22, v6
	v_add3_u32 v19, v19, v27, v26
	v_dual_mov_b32 v27, v11 :: v_dual_mov_b32 v26, v10
	s_delay_alu instid0(VALU_DEP_4)
	v_add3_u32 v21, v13, v21, v28
	s_branch .LBB71_33
.LBB71_31:                              ;   in Loop: Header=BB71_33 Depth=2
	s_or_b32 exec_lo, exec_lo, s1
	global_load_b32 v13, v[24:25], off
	v_lshlrev_b64 v[28:29], 2, v[30:31]
	s_delay_alu instid0(VALU_DEP_1) | instskip(NEXT) | instid1(VALU_DEP_2)
	v_add_co_u32 v28, vcc_lo, v20, v28
	v_add_co_ci_u32_e32 v29, vcc_lo, v21, v29, vcc_lo
	s_waitcnt vmcnt(0)
	global_store_b32 v[28:29], v13, off
.LBB71_32:                              ;   in Loop: Header=BB71_33 Depth=2
	s_or_b32 exec_lo, exec_lo, s34
	v_add_co_u32 v20, vcc_lo, v20, s16
	v_add_co_ci_u32_e32 v21, vcc_lo, s17, v21, vcc_lo
	v_add_co_u32 v26, vcc_lo, 0x80, v26
	v_add_co_ci_u32_e32 v27, vcc_lo, 0, v27, vcc_lo
	;; [unrolled: 2-line block ×3, first 2 shown]
	v_add_co_u32 v22, vcc_lo, v22, 8
	s_add_u32 s20, s20, -1
	v_add_co_ci_u32_e32 v23, vcc_lo, 0, v23, vcc_lo
	s_addc_u32 s21, s21, -1
	s_delay_alu instid0(SALU_CYCLE_1)
	s_cmp_eq_u64 s[20:21], 0
	s_cbranch_scc1 .LBB71_9
.LBB71_33:                              ;   Parent Loop BB71_10 Depth=1
                                        ; =>  This Inner Loop Header: Depth=2
	global_load_b64 v[28:29], v[22:23], off
	s_mov_b32 s34, exec_lo
	s_waitcnt vmcnt(0)
	v_cmpx_gt_i64_e64 s[6:7], v[28:29]
	s_cbranch_execz .LBB71_32
; %bb.34:                               ;   in Loop: Header=BB71_33 Depth=2
	v_or_b32_e32 v36, s9, v29
                                        ; implicit-def: $vgpr30_vgpr31
	s_mov_b32 s1, exec_lo
	s_delay_alu instid0(VALU_DEP_1) | instskip(NEXT) | instid1(VALU_DEP_1)
	v_mov_b32_e32 v13, v36
	v_cmpx_ne_u64_e32 0, v[12:13]
	s_xor_b32 s35, exec_lo, s1
	s_cbranch_execz .LBB71_36
; %bb.35:                               ;   in Loop: Header=BB71_33 Depth=2
	s_add_u32 s22, s8, s18
	s_mov_b32 s19, s18
	s_addc_u32 s23, s9, s18
	s_delay_alu instid0(SALU_CYCLE_1) | instskip(NEXT) | instid1(SALU_CYCLE_1)
	s_xor_b64 s[22:23], s[22:23], s[18:19]
	v_cvt_f32_u32_e32 v13, s22
	v_cvt_f32_u32_e32 v30, s23
	s_sub_u32 s1, 0, s22
	s_subb_u32 s19, 0, s23
	s_delay_alu instid0(VALU_DEP_1) | instskip(NEXT) | instid1(VALU_DEP_1)
	v_fmac_f32_e32 v13, 0x4f800000, v30
	v_rcp_f32_e32 v13, v13
	s_waitcnt_depctr 0xfff
	v_mul_f32_e32 v13, 0x5f7ffffc, v13
	s_delay_alu instid0(VALU_DEP_1) | instskip(NEXT) | instid1(VALU_DEP_1)
	v_mul_f32_e32 v30, 0x2f800000, v13
	v_trunc_f32_e32 v30, v30
	s_delay_alu instid0(VALU_DEP_1) | instskip(SKIP_1) | instid1(VALU_DEP_2)
	v_fmac_f32_e32 v13, 0xcf800000, v30
	v_cvt_u32_f32_e32 v30, v30
	v_cvt_u32_f32_e32 v13, v13
	s_delay_alu instid0(VALU_DEP_2) | instskip(NEXT) | instid1(VALU_DEP_2)
	v_mul_lo_u32 v31, s1, v30
	v_mul_hi_u32 v32, s1, v13
	v_mul_lo_u32 v33, s19, v13
	s_delay_alu instid0(VALU_DEP_2) | instskip(SKIP_1) | instid1(VALU_DEP_2)
	v_add_nc_u32_e32 v31, v32, v31
	v_mul_lo_u32 v32, s1, v13
	v_add_nc_u32_e32 v31, v31, v33
	s_delay_alu instid0(VALU_DEP_2) | instskip(NEXT) | instid1(VALU_DEP_2)
	v_mul_hi_u32 v33, v13, v32
	v_mul_lo_u32 v37, v13, v31
	v_mul_hi_u32 v44, v13, v31
	v_mul_hi_u32 v45, v30, v32
	v_mul_lo_u32 v32, v30, v32
	v_mul_hi_u32 v46, v30, v31
	v_mul_lo_u32 v31, v30, v31
	v_add_co_u32 v33, vcc_lo, v33, v37
	v_add_co_ci_u32_e32 v37, vcc_lo, 0, v44, vcc_lo
	s_delay_alu instid0(VALU_DEP_2) | instskip(NEXT) | instid1(VALU_DEP_2)
	v_add_co_u32 v32, vcc_lo, v33, v32
	v_add_co_ci_u32_e32 v32, vcc_lo, v37, v45, vcc_lo
	v_add_co_ci_u32_e32 v33, vcc_lo, 0, v46, vcc_lo
	v_ashrrev_i32_e32 v46, 31, v29
	s_delay_alu instid0(VALU_DEP_3) | instskip(NEXT) | instid1(VALU_DEP_3)
	v_add_co_u32 v31, vcc_lo, v32, v31
	v_add_co_ci_u32_e32 v32, vcc_lo, 0, v33, vcc_lo
	s_delay_alu instid0(VALU_DEP_2) | instskip(NEXT) | instid1(VALU_DEP_2)
	v_add_co_u32 v13, vcc_lo, v13, v31
	v_add_co_ci_u32_e32 v30, vcc_lo, v30, v32, vcc_lo
	s_delay_alu instid0(VALU_DEP_2) | instskip(SKIP_1) | instid1(VALU_DEP_3)
	v_mul_hi_u32 v31, s1, v13
	v_mul_lo_u32 v33, s19, v13
	v_mul_lo_u32 v32, s1, v30
	s_delay_alu instid0(VALU_DEP_1) | instskip(SKIP_1) | instid1(VALU_DEP_2)
	v_add_nc_u32_e32 v31, v31, v32
	v_mul_lo_u32 v32, s1, v13
	v_add_nc_u32_e32 v31, v31, v33
	s_delay_alu instid0(VALU_DEP_2) | instskip(NEXT) | instid1(VALU_DEP_2)
	v_mul_hi_u32 v33, v13, v32
	v_mul_lo_u32 v37, v13, v31
	v_mul_hi_u32 v44, v13, v31
	v_mul_hi_u32 v45, v30, v32
	v_mul_lo_u32 v32, v30, v32
	v_mul_hi_u32 v47, v30, v31
	v_mul_lo_u32 v31, v30, v31
	v_add_co_u32 v33, vcc_lo, v33, v37
	v_add_co_ci_u32_e32 v37, vcc_lo, 0, v44, vcc_lo
	s_delay_alu instid0(VALU_DEP_2) | instskip(NEXT) | instid1(VALU_DEP_2)
	v_add_co_u32 v32, vcc_lo, v33, v32
	v_add_co_ci_u32_e32 v32, vcc_lo, v37, v45, vcc_lo
	v_add_co_ci_u32_e32 v33, vcc_lo, 0, v47, vcc_lo
	v_add_co_u32 v37, vcc_lo, v28, v46
	v_add_co_ci_u32_e32 v44, vcc_lo, v29, v46, vcc_lo
	s_delay_alu instid0(VALU_DEP_4) | instskip(NEXT) | instid1(VALU_DEP_4)
	v_add_co_u32 v31, vcc_lo, v32, v31
	v_add_co_ci_u32_e32 v32, vcc_lo, 0, v33, vcc_lo
	s_delay_alu instid0(VALU_DEP_4) | instskip(NEXT) | instid1(VALU_DEP_3)
	v_xor_b32_e32 v37, v37, v46
	v_add_co_u32 v13, vcc_lo, v13, v31
	s_delay_alu instid0(VALU_DEP_3) | instskip(SKIP_1) | instid1(VALU_DEP_3)
	v_add_co_ci_u32_e32 v47, vcc_lo, v30, v32, vcc_lo
	v_xor_b32_e32 v48, v44, v46
	v_mul_hi_u32 v49, v37, v13
	s_delay_alu instid0(VALU_DEP_3) | instskip(NEXT) | instid1(VALU_DEP_3)
	v_mad_u64_u32 v[30:31], null, v37, v47, 0
	v_mad_u64_u32 v[32:33], null, v48, v13, 0
	;; [unrolled: 1-line block ×3, first 2 shown]
	s_delay_alu instid0(VALU_DEP_3) | instskip(NEXT) | instid1(VALU_DEP_4)
	v_add_co_u32 v13, vcc_lo, v49, v30
	v_add_co_ci_u32_e32 v30, vcc_lo, 0, v31, vcc_lo
	s_delay_alu instid0(VALU_DEP_2) | instskip(NEXT) | instid1(VALU_DEP_2)
	v_add_co_u32 v13, vcc_lo, v13, v32
	v_add_co_ci_u32_e32 v13, vcc_lo, v30, v33, vcc_lo
	v_add_co_ci_u32_e32 v30, vcc_lo, 0, v45, vcc_lo
	s_delay_alu instid0(VALU_DEP_2) | instskip(NEXT) | instid1(VALU_DEP_2)
	v_add_co_u32 v13, vcc_lo, v13, v44
	v_add_co_ci_u32_e32 v32, vcc_lo, 0, v30, vcc_lo
	s_delay_alu instid0(VALU_DEP_2) | instskip(SKIP_1) | instid1(VALU_DEP_3)
	v_mul_lo_u32 v33, s23, v13
	v_mad_u64_u32 v[30:31], null, s22, v13, 0
	v_mul_lo_u32 v44, s22, v32
	s_delay_alu instid0(VALU_DEP_2) | instskip(NEXT) | instid1(VALU_DEP_2)
	v_sub_co_u32 v30, vcc_lo, v37, v30
	v_add3_u32 v31, v31, v44, v33
	s_delay_alu instid0(VALU_DEP_1) | instskip(NEXT) | instid1(VALU_DEP_1)
	v_sub_nc_u32_e32 v33, v48, v31
	v_subrev_co_ci_u32_e64 v33, s1, s23, v33, vcc_lo
	v_add_co_u32 v37, s1, v13, 2
	s_delay_alu instid0(VALU_DEP_1) | instskip(SKIP_3) | instid1(VALU_DEP_3)
	v_add_co_ci_u32_e64 v44, s1, 0, v32, s1
	v_sub_co_u32 v45, s1, v30, s22
	v_sub_co_ci_u32_e32 v31, vcc_lo, v48, v31, vcc_lo
	v_subrev_co_ci_u32_e64 v33, s1, 0, v33, s1
	v_cmp_le_u32_e32 vcc_lo, s22, v45
	s_delay_alu instid0(VALU_DEP_3) | instskip(SKIP_1) | instid1(VALU_DEP_4)
	v_cmp_eq_u32_e64 s1, s23, v31
	v_cndmask_b32_e64 v45, 0, -1, vcc_lo
	v_cmp_le_u32_e32 vcc_lo, s23, v33
	v_cndmask_b32_e64 v47, 0, -1, vcc_lo
	v_cmp_le_u32_e32 vcc_lo, s22, v30
	;; [unrolled: 2-line block ×3, first 2 shown]
	v_cndmask_b32_e64 v48, 0, -1, vcc_lo
	v_cmp_eq_u32_e32 vcc_lo, s23, v33
	s_delay_alu instid0(VALU_DEP_2) | instskip(SKIP_3) | instid1(VALU_DEP_3)
	v_cndmask_b32_e64 v30, v48, v30, s1
	v_cndmask_b32_e32 v33, v47, v45, vcc_lo
	v_add_co_u32 v45, vcc_lo, v13, 1
	v_add_co_ci_u32_e32 v47, vcc_lo, 0, v32, vcc_lo
	v_cmp_ne_u32_e32 vcc_lo, 0, v33
	s_delay_alu instid0(VALU_DEP_2) | instskip(NEXT) | instid1(VALU_DEP_4)
	v_cndmask_b32_e32 v31, v47, v44, vcc_lo
	v_cndmask_b32_e32 v33, v45, v37, vcc_lo
	v_cmp_ne_u32_e32 vcc_lo, 0, v30
	v_xor_b32_e32 v37, s18, v46
	s_delay_alu instid0(VALU_DEP_3) | instskip(NEXT) | instid1(VALU_DEP_1)
	v_dual_cndmask_b32 v13, v13, v33 :: v_dual_cndmask_b32 v30, v32, v31
	v_xor_b32_e32 v13, v13, v37
	s_delay_alu instid0(VALU_DEP_2) | instskip(NEXT) | instid1(VALU_DEP_2)
	v_xor_b32_e32 v31, v30, v37
	v_sub_co_u32 v30, vcc_lo, v13, v37
	s_delay_alu instid0(VALU_DEP_2)
	v_sub_co_ci_u32_e32 v31, vcc_lo, v31, v37, vcc_lo
.LBB71_36:                              ;   in Loop: Header=BB71_33 Depth=2
	s_and_not1_saveexec_b32 s1, s35
	s_cbranch_execz .LBB71_38
; %bb.37:                               ;   in Loop: Header=BB71_33 Depth=2
	v_cvt_f32_u32_e32 v13, s8
	s_sub_i32 s19, 0, s8
	s_delay_alu instid0(VALU_DEP_1) | instskip(SKIP_2) | instid1(VALU_DEP_1)
	v_rcp_iflag_f32_e32 v13, v13
	s_waitcnt_depctr 0xfff
	v_mul_f32_e32 v13, 0x4f7ffffe, v13
	v_cvt_u32_f32_e32 v13, v13
	s_delay_alu instid0(VALU_DEP_1) | instskip(NEXT) | instid1(VALU_DEP_1)
	v_mul_lo_u32 v30, s19, v13
	v_mul_hi_u32 v30, v13, v30
	s_delay_alu instid0(VALU_DEP_1) | instskip(NEXT) | instid1(VALU_DEP_1)
	v_add_nc_u32_e32 v13, v13, v30
	v_mul_hi_u32 v13, v28, v13
	s_delay_alu instid0(VALU_DEP_1) | instskip(SKIP_1) | instid1(VALU_DEP_2)
	v_mul_lo_u32 v30, v13, s8
	v_add_nc_u32_e32 v31, 1, v13
	v_sub_nc_u32_e32 v30, v28, v30
	s_delay_alu instid0(VALU_DEP_1) | instskip(SKIP_1) | instid1(VALU_DEP_2)
	v_subrev_nc_u32_e32 v32, s8, v30
	v_cmp_le_u32_e32 vcc_lo, s8, v30
	v_dual_cndmask_b32 v30, v30, v32 :: v_dual_cndmask_b32 v13, v13, v31
	s_delay_alu instid0(VALU_DEP_1) | instskip(NEXT) | instid1(VALU_DEP_2)
	v_cmp_le_u32_e32 vcc_lo, s8, v30
	v_add_nc_u32_e32 v31, 1, v13
	s_delay_alu instid0(VALU_DEP_1)
	v_dual_cndmask_b32 v30, v13, v31 :: v_dual_mov_b32 v31, v12
.LBB71_38:                              ;   in Loop: Header=BB71_33 Depth=2
	s_or_b32 exec_lo, exec_lo, s1
	v_or_b32_e32 v13, s9, v35
                                        ; implicit-def: $vgpr32_vgpr33
	s_mov_b32 s1, exec_lo
	s_delay_alu instid0(VALU_DEP_1)
	v_cmpx_ne_u64_e32 0, v[12:13]
	s_xor_b32 s35, exec_lo, s1
	s_cbranch_execnz .LBB71_41
; %bb.39:                               ;   in Loop: Header=BB71_33 Depth=2
	s_and_not1_saveexec_b32 s1, s35
	s_cbranch_execnz .LBB71_42
.LBB71_40:                              ;   in Loop: Header=BB71_33 Depth=2
	s_or_b32 exec_lo, exec_lo, s1
	s_delay_alu instid0(VALU_DEP_1)
	v_cmp_eq_u64_e32 vcc_lo, v[30:31], v[32:33]
	s_and_b32 exec_lo, exec_lo, vcc_lo
	s_cbranch_execz .LBB71_32
	s_branch .LBB71_43
.LBB71_41:                              ;   in Loop: Header=BB71_33 Depth=2
	s_add_u32 s22, s8, s18
	s_mov_b32 s19, s18
	s_addc_u32 s23, s9, s18
	s_delay_alu instid0(SALU_CYCLE_1) | instskip(NEXT) | instid1(SALU_CYCLE_1)
	s_xor_b64 s[22:23], s[22:23], s[18:19]
	v_cvt_f32_u32_e32 v13, s22
	v_cvt_f32_u32_e32 v32, s23
	s_sub_u32 s1, 0, s22
	s_subb_u32 s19, 0, s23
	s_delay_alu instid0(VALU_DEP_1) | instskip(NEXT) | instid1(VALU_DEP_1)
	v_fmac_f32_e32 v13, 0x4f800000, v32
	v_rcp_f32_e32 v13, v13
	s_waitcnt_depctr 0xfff
	v_mul_f32_e32 v13, 0x5f7ffffc, v13
	s_delay_alu instid0(VALU_DEP_1) | instskip(NEXT) | instid1(VALU_DEP_1)
	v_mul_f32_e32 v32, 0x2f800000, v13
	v_trunc_f32_e32 v32, v32
	s_delay_alu instid0(VALU_DEP_1) | instskip(SKIP_1) | instid1(VALU_DEP_2)
	v_fmac_f32_e32 v13, 0xcf800000, v32
	v_cvt_u32_f32_e32 v32, v32
	v_cvt_u32_f32_e32 v13, v13
	s_delay_alu instid0(VALU_DEP_2) | instskip(NEXT) | instid1(VALU_DEP_2)
	v_mul_lo_u32 v33, s1, v32
	v_mul_hi_u32 v37, s1, v13
	v_mul_lo_u32 v44, s19, v13
	s_delay_alu instid0(VALU_DEP_2) | instskip(SKIP_1) | instid1(VALU_DEP_2)
	v_add_nc_u32_e32 v33, v37, v33
	v_mul_lo_u32 v37, s1, v13
	v_add_nc_u32_e32 v33, v33, v44
	s_delay_alu instid0(VALU_DEP_2) | instskip(NEXT) | instid1(VALU_DEP_2)
	v_mul_hi_u32 v44, v13, v37
	v_mul_lo_u32 v45, v13, v33
	v_mul_hi_u32 v46, v13, v33
	v_mul_hi_u32 v47, v32, v37
	v_mul_lo_u32 v37, v32, v37
	v_mul_hi_u32 v48, v32, v33
	v_mul_lo_u32 v33, v32, v33
	v_add_co_u32 v44, vcc_lo, v44, v45
	v_add_co_ci_u32_e32 v45, vcc_lo, 0, v46, vcc_lo
	s_delay_alu instid0(VALU_DEP_2) | instskip(NEXT) | instid1(VALU_DEP_2)
	v_add_co_u32 v37, vcc_lo, v44, v37
	v_add_co_ci_u32_e32 v37, vcc_lo, v45, v47, vcc_lo
	v_add_co_ci_u32_e32 v44, vcc_lo, 0, v48, vcc_lo
	v_ashrrev_i32_e32 v48, 31, v35
	s_delay_alu instid0(VALU_DEP_3) | instskip(NEXT) | instid1(VALU_DEP_3)
	v_add_co_u32 v33, vcc_lo, v37, v33
	v_add_co_ci_u32_e32 v37, vcc_lo, 0, v44, vcc_lo
	s_delay_alu instid0(VALU_DEP_2) | instskip(NEXT) | instid1(VALU_DEP_2)
	v_add_co_u32 v13, vcc_lo, v13, v33
	v_add_co_ci_u32_e32 v32, vcc_lo, v32, v37, vcc_lo
	s_delay_alu instid0(VALU_DEP_2) | instskip(SKIP_1) | instid1(VALU_DEP_3)
	v_mul_hi_u32 v33, s1, v13
	v_mul_lo_u32 v44, s19, v13
	v_mul_lo_u32 v37, s1, v32
	s_delay_alu instid0(VALU_DEP_1) | instskip(SKIP_1) | instid1(VALU_DEP_2)
	v_add_nc_u32_e32 v33, v33, v37
	v_mul_lo_u32 v37, s1, v13
	v_add_nc_u32_e32 v33, v33, v44
	s_delay_alu instid0(VALU_DEP_2) | instskip(NEXT) | instid1(VALU_DEP_2)
	v_mul_hi_u32 v44, v13, v37
	v_mul_lo_u32 v45, v13, v33
	v_mul_hi_u32 v46, v13, v33
	v_mul_hi_u32 v47, v32, v37
	v_mul_lo_u32 v37, v32, v37
	v_mul_hi_u32 v49, v32, v33
	v_mul_lo_u32 v33, v32, v33
	v_add_co_u32 v44, vcc_lo, v44, v45
	v_add_co_ci_u32_e32 v45, vcc_lo, 0, v46, vcc_lo
	s_delay_alu instid0(VALU_DEP_2) | instskip(NEXT) | instid1(VALU_DEP_2)
	v_add_co_u32 v37, vcc_lo, v44, v37
	v_add_co_ci_u32_e32 v37, vcc_lo, v45, v47, vcc_lo
	v_add_co_ci_u32_e32 v44, vcc_lo, 0, v49, vcc_lo
	v_add_co_u32 v45, vcc_lo, v34, v48
	v_add_co_ci_u32_e32 v46, vcc_lo, v35, v48, vcc_lo
	s_delay_alu instid0(VALU_DEP_4) | instskip(NEXT) | instid1(VALU_DEP_4)
	v_add_co_u32 v33, vcc_lo, v37, v33
	v_add_co_ci_u32_e32 v37, vcc_lo, 0, v44, vcc_lo
	s_delay_alu instid0(VALU_DEP_4) | instskip(NEXT) | instid1(VALU_DEP_3)
	v_xor_b32_e32 v49, v45, v48
	v_add_co_u32 v13, vcc_lo, v13, v33
	s_delay_alu instid0(VALU_DEP_3) | instskip(SKIP_1) | instid1(VALU_DEP_3)
	v_add_co_ci_u32_e32 v37, vcc_lo, v32, v37, vcc_lo
	v_xor_b32_e32 v50, v46, v48
	v_mul_hi_u32 v51, v49, v13
	s_delay_alu instid0(VALU_DEP_3) | instskip(NEXT) | instid1(VALU_DEP_3)
	v_mad_u64_u32 v[32:33], null, v49, v37, 0
	v_mad_u64_u32 v[44:45], null, v50, v13, 0
	;; [unrolled: 1-line block ×3, first 2 shown]
	s_delay_alu instid0(VALU_DEP_3) | instskip(NEXT) | instid1(VALU_DEP_4)
	v_add_co_u32 v13, vcc_lo, v51, v32
	v_add_co_ci_u32_e32 v32, vcc_lo, 0, v33, vcc_lo
	s_delay_alu instid0(VALU_DEP_2) | instskip(NEXT) | instid1(VALU_DEP_2)
	v_add_co_u32 v13, vcc_lo, v13, v44
	v_add_co_ci_u32_e32 v13, vcc_lo, v32, v45, vcc_lo
	v_add_co_ci_u32_e32 v32, vcc_lo, 0, v47, vcc_lo
	s_delay_alu instid0(VALU_DEP_2) | instskip(NEXT) | instid1(VALU_DEP_2)
	v_add_co_u32 v13, vcc_lo, v13, v46
	v_add_co_ci_u32_e32 v37, vcc_lo, 0, v32, vcc_lo
	s_delay_alu instid0(VALU_DEP_2) | instskip(SKIP_1) | instid1(VALU_DEP_3)
	v_mul_lo_u32 v44, s23, v13
	v_mad_u64_u32 v[32:33], null, s22, v13, 0
	v_mul_lo_u32 v45, s22, v37
	s_delay_alu instid0(VALU_DEP_2) | instskip(NEXT) | instid1(VALU_DEP_2)
	v_sub_co_u32 v32, vcc_lo, v49, v32
	v_add3_u32 v33, v33, v45, v44
	s_delay_alu instid0(VALU_DEP_1) | instskip(NEXT) | instid1(VALU_DEP_1)
	v_sub_nc_u32_e32 v44, v50, v33
	v_subrev_co_ci_u32_e64 v44, s1, s23, v44, vcc_lo
	v_add_co_u32 v45, s1, v13, 2
	s_delay_alu instid0(VALU_DEP_1) | instskip(SKIP_3) | instid1(VALU_DEP_3)
	v_add_co_ci_u32_e64 v46, s1, 0, v37, s1
	v_sub_co_u32 v47, s1, v32, s22
	v_sub_co_ci_u32_e32 v33, vcc_lo, v50, v33, vcc_lo
	v_subrev_co_ci_u32_e64 v44, s1, 0, v44, s1
	v_cmp_le_u32_e32 vcc_lo, s22, v47
	s_delay_alu instid0(VALU_DEP_3) | instskip(SKIP_1) | instid1(VALU_DEP_4)
	v_cmp_eq_u32_e64 s1, s23, v33
	v_cndmask_b32_e64 v47, 0, -1, vcc_lo
	v_cmp_le_u32_e32 vcc_lo, s23, v44
	v_cndmask_b32_e64 v49, 0, -1, vcc_lo
	v_cmp_le_u32_e32 vcc_lo, s22, v32
	v_cndmask_b32_e64 v32, 0, -1, vcc_lo
	v_cmp_le_u32_e32 vcc_lo, s23, v33
	v_cndmask_b32_e64 v50, 0, -1, vcc_lo
	v_cmp_eq_u32_e32 vcc_lo, s23, v44
	s_delay_alu instid0(VALU_DEP_2) | instskip(SKIP_3) | instid1(VALU_DEP_3)
	v_cndmask_b32_e64 v32, v50, v32, s1
	v_cndmask_b32_e32 v44, v49, v47, vcc_lo
	v_add_co_u32 v47, vcc_lo, v13, 1
	v_add_co_ci_u32_e32 v49, vcc_lo, 0, v37, vcc_lo
	v_cmp_ne_u32_e32 vcc_lo, 0, v44
	s_delay_alu instid0(VALU_DEP_2) | instskip(SKIP_2) | instid1(VALU_DEP_3)
	v_dual_cndmask_b32 v44, v47, v45 :: v_dual_cndmask_b32 v33, v49, v46
	v_cmp_ne_u32_e32 vcc_lo, 0, v32
	v_xor_b32_e32 v45, s18, v48
	v_cndmask_b32_e32 v13, v13, v44, vcc_lo
	s_delay_alu instid0(VALU_DEP_4) | instskip(NEXT) | instid1(VALU_DEP_2)
	v_cndmask_b32_e32 v32, v37, v33, vcc_lo
	v_xor_b32_e32 v13, v13, v45
	s_delay_alu instid0(VALU_DEP_2) | instskip(NEXT) | instid1(VALU_DEP_2)
	v_xor_b32_e32 v33, v32, v45
	v_sub_co_u32 v32, vcc_lo, v13, v45
	s_delay_alu instid0(VALU_DEP_2)
	v_sub_co_ci_u32_e32 v33, vcc_lo, v33, v45, vcc_lo
	s_and_not1_saveexec_b32 s1, s35
	s_cbranch_execz .LBB71_40
.LBB71_42:                              ;   in Loop: Header=BB71_33 Depth=2
	v_cvt_f32_u32_e32 v13, s8
	s_sub_i32 s19, 0, s8
	s_delay_alu instid0(VALU_DEP_1) | instskip(SKIP_2) | instid1(VALU_DEP_1)
	v_rcp_iflag_f32_e32 v13, v13
	s_waitcnt_depctr 0xfff
	v_mul_f32_e32 v13, 0x4f7ffffe, v13
	v_cvt_u32_f32_e32 v13, v13
	s_delay_alu instid0(VALU_DEP_1) | instskip(NEXT) | instid1(VALU_DEP_1)
	v_mul_lo_u32 v32, s19, v13
	v_mul_hi_u32 v32, v13, v32
	s_delay_alu instid0(VALU_DEP_1) | instskip(NEXT) | instid1(VALU_DEP_1)
	v_add_nc_u32_e32 v13, v13, v32
	v_mul_hi_u32 v13, v34, v13
	s_delay_alu instid0(VALU_DEP_1) | instskip(SKIP_1) | instid1(VALU_DEP_2)
	v_mul_lo_u32 v32, v13, s8
	v_add_nc_u32_e32 v33, 1, v13
	v_sub_nc_u32_e32 v32, v34, v32
	s_delay_alu instid0(VALU_DEP_1) | instskip(SKIP_1) | instid1(VALU_DEP_2)
	v_subrev_nc_u32_e32 v37, s8, v32
	v_cmp_le_u32_e32 vcc_lo, s8, v32
	v_cndmask_b32_e32 v32, v32, v37, vcc_lo
	v_cndmask_b32_e32 v13, v13, v33, vcc_lo
	s_delay_alu instid0(VALU_DEP_2) | instskip(NEXT) | instid1(VALU_DEP_2)
	v_cmp_le_u32_e32 vcc_lo, s8, v32
	v_add_nc_u32_e32 v33, 1, v13
	s_delay_alu instid0(VALU_DEP_1) | instskip(SKIP_1) | instid1(VALU_DEP_1)
	v_dual_cndmask_b32 v32, v13, v33 :: v_dual_mov_b32 v33, v12
	s_or_b32 exec_lo, exec_lo, s1
	v_cmp_eq_u64_e32 vcc_lo, v[30:31], v[32:33]
	s_and_b32 exec_lo, exec_lo, vcc_lo
	s_cbranch_execz .LBB71_32
.LBB71_43:                              ;   in Loop: Header=BB71_33 Depth=2
	s_and_b32 vcc_lo, exec_lo, s30
	s_cbranch_vccz .LBB71_45
; %bb.44:                               ;   in Loop: Header=BB71_33 Depth=2
	global_load_b32 v13, v[24:25], off
	v_mul_lo_u32 v33, v31, s8
	v_mul_lo_u32 v37, v30, s9
	v_mad_u64_u32 v[31:32], null, v30, s8, 0
	s_delay_alu instid0(VALU_DEP_1) | instskip(NEXT) | instid1(VALU_DEP_2)
	v_add3_u32 v30, v32, v37, v33
	v_sub_co_u32 v31, vcc_lo, v28, v31
	s_delay_alu instid0(VALU_DEP_2) | instskip(NEXT) | instid1(VALU_DEP_2)
	v_sub_co_ci_u32_e32 v30, vcc_lo, v29, v30, vcc_lo
	v_add_co_u32 v32, vcc_lo, v31, v18
	s_delay_alu instid0(VALU_DEP_2) | instskip(NEXT) | instid1(VALU_DEP_2)
	v_add_co_ci_u32_e32 v30, vcc_lo, v30, v19, vcc_lo
	v_mul_lo_u32 v37, s15, v32
	s_delay_alu instid0(VALU_DEP_2) | instskip(SKIP_1) | instid1(VALU_DEP_1)
	v_mul_lo_u32 v33, s14, v30
	v_mad_u64_u32 v[30:31], null, s14, v32, v[26:27]
	v_add3_u32 v31, v37, v31, v33
	s_waitcnt vmcnt(0)
	global_store_b32 v[30:31], v13, off
	s_cbranch_execnz .LBB71_32
	s_branch .LBB71_46
.LBB71_45:                              ;   in Loop: Header=BB71_33 Depth=2
.LBB71_46:                              ;   in Loop: Header=BB71_33 Depth=2
	v_mov_b32_e32 v13, v36
                                        ; implicit-def: $vgpr30_vgpr31
	s_mov_b32 s1, exec_lo
	s_delay_alu instid0(VALU_DEP_1)
	v_cmpx_ne_u64_e32 0, v[12:13]
	s_xor_b32 s35, exec_lo, s1
	s_cbranch_execz .LBB71_48
; %bb.47:                               ;   in Loop: Header=BB71_33 Depth=2
	s_add_u32 s22, s8, s18
	s_mov_b32 s19, s18
	s_addc_u32 s23, s9, s18
	s_delay_alu instid0(SALU_CYCLE_1) | instskip(NEXT) | instid1(SALU_CYCLE_1)
	s_xor_b64 s[22:23], s[22:23], s[18:19]
	v_cvt_f32_u32_e32 v13, s22
	v_cvt_f32_u32_e32 v30, s23
	s_sub_u32 s1, 0, s22
	s_subb_u32 s19, 0, s23
	s_delay_alu instid0(VALU_DEP_1) | instskip(NEXT) | instid1(VALU_DEP_1)
	v_fmac_f32_e32 v13, 0x4f800000, v30
	v_rcp_f32_e32 v13, v13
	s_waitcnt_depctr 0xfff
	v_mul_f32_e32 v13, 0x5f7ffffc, v13
	s_delay_alu instid0(VALU_DEP_1) | instskip(NEXT) | instid1(VALU_DEP_1)
	v_mul_f32_e32 v30, 0x2f800000, v13
	v_trunc_f32_e32 v30, v30
	s_delay_alu instid0(VALU_DEP_1) | instskip(SKIP_1) | instid1(VALU_DEP_2)
	v_fmac_f32_e32 v13, 0xcf800000, v30
	v_cvt_u32_f32_e32 v30, v30
	v_cvt_u32_f32_e32 v13, v13
	s_delay_alu instid0(VALU_DEP_2) | instskip(NEXT) | instid1(VALU_DEP_2)
	v_mul_lo_u32 v31, s1, v30
	v_mul_hi_u32 v32, s1, v13
	v_mul_lo_u32 v33, s19, v13
	s_delay_alu instid0(VALU_DEP_2) | instskip(SKIP_1) | instid1(VALU_DEP_2)
	v_add_nc_u32_e32 v31, v32, v31
	v_mul_lo_u32 v32, s1, v13
	v_add_nc_u32_e32 v31, v31, v33
	s_delay_alu instid0(VALU_DEP_2) | instskip(NEXT) | instid1(VALU_DEP_2)
	v_mul_hi_u32 v33, v13, v32
	v_mul_lo_u32 v36, v13, v31
	v_mul_hi_u32 v37, v13, v31
	v_mul_hi_u32 v44, v30, v32
	v_mul_lo_u32 v32, v30, v32
	v_mul_hi_u32 v45, v30, v31
	v_mul_lo_u32 v31, v30, v31
	v_add_co_u32 v33, vcc_lo, v33, v36
	v_add_co_ci_u32_e32 v36, vcc_lo, 0, v37, vcc_lo
	s_delay_alu instid0(VALU_DEP_2) | instskip(NEXT) | instid1(VALU_DEP_2)
	v_add_co_u32 v32, vcc_lo, v33, v32
	v_add_co_ci_u32_e32 v32, vcc_lo, v36, v44, vcc_lo
	v_add_co_ci_u32_e32 v33, vcc_lo, 0, v45, vcc_lo
	v_ashrrev_i32_e32 v44, 31, v29
	s_delay_alu instid0(VALU_DEP_3) | instskip(NEXT) | instid1(VALU_DEP_3)
	v_add_co_u32 v31, vcc_lo, v32, v31
	v_add_co_ci_u32_e32 v32, vcc_lo, 0, v33, vcc_lo
	s_delay_alu instid0(VALU_DEP_2) | instskip(NEXT) | instid1(VALU_DEP_2)
	v_add_co_u32 v13, vcc_lo, v13, v31
	v_add_co_ci_u32_e32 v30, vcc_lo, v30, v32, vcc_lo
	s_delay_alu instid0(VALU_DEP_2) | instskip(SKIP_1) | instid1(VALU_DEP_3)
	v_mul_hi_u32 v31, s1, v13
	v_mul_lo_u32 v33, s19, v13
	v_mul_lo_u32 v32, s1, v30
	s_delay_alu instid0(VALU_DEP_1) | instskip(SKIP_1) | instid1(VALU_DEP_2)
	v_add_nc_u32_e32 v31, v31, v32
	v_mul_lo_u32 v32, s1, v13
	v_add_nc_u32_e32 v31, v31, v33
	s_delay_alu instid0(VALU_DEP_2) | instskip(NEXT) | instid1(VALU_DEP_2)
	v_mul_hi_u32 v33, v13, v32
	v_mul_lo_u32 v36, v13, v31
	v_mul_hi_u32 v37, v13, v31
	v_mul_hi_u32 v45, v30, v32
	v_mul_lo_u32 v32, v30, v32
	v_mul_hi_u32 v46, v30, v31
	v_mul_lo_u32 v31, v30, v31
	v_add_co_u32 v33, vcc_lo, v33, v36
	v_add_co_ci_u32_e32 v36, vcc_lo, 0, v37, vcc_lo
	s_delay_alu instid0(VALU_DEP_2) | instskip(NEXT) | instid1(VALU_DEP_2)
	v_add_co_u32 v32, vcc_lo, v33, v32
	v_add_co_ci_u32_e32 v32, vcc_lo, v36, v45, vcc_lo
	v_add_co_ci_u32_e32 v33, vcc_lo, 0, v46, vcc_lo
	v_add_co_u32 v28, vcc_lo, v28, v44
	v_add_co_ci_u32_e32 v29, vcc_lo, v29, v44, vcc_lo
	s_delay_alu instid0(VALU_DEP_4) | instskip(NEXT) | instid1(VALU_DEP_4)
	v_add_co_u32 v31, vcc_lo, v32, v31
	v_add_co_ci_u32_e32 v32, vcc_lo, 0, v33, vcc_lo
	s_delay_alu instid0(VALU_DEP_4) | instskip(NEXT) | instid1(VALU_DEP_3)
	v_xor_b32_e32 v36, v28, v44
	v_add_co_u32 v13, vcc_lo, v13, v31
	s_delay_alu instid0(VALU_DEP_3) | instskip(SKIP_1) | instid1(VALU_DEP_3)
	v_add_co_ci_u32_e32 v37, vcc_lo, v30, v32, vcc_lo
	v_xor_b32_e32 v45, v29, v44
	v_mul_hi_u32 v46, v36, v13
	s_delay_alu instid0(VALU_DEP_3) | instskip(NEXT) | instid1(VALU_DEP_3)
	v_mad_u64_u32 v[28:29], null, v36, v37, 0
	v_mad_u64_u32 v[30:31], null, v45, v13, 0
	;; [unrolled: 1-line block ×3, first 2 shown]
	s_delay_alu instid0(VALU_DEP_3) | instskip(NEXT) | instid1(VALU_DEP_4)
	v_add_co_u32 v13, vcc_lo, v46, v28
	v_add_co_ci_u32_e32 v28, vcc_lo, 0, v29, vcc_lo
	s_delay_alu instid0(VALU_DEP_2) | instskip(NEXT) | instid1(VALU_DEP_2)
	v_add_co_u32 v13, vcc_lo, v13, v30
	v_add_co_ci_u32_e32 v13, vcc_lo, v28, v31, vcc_lo
	v_add_co_ci_u32_e32 v28, vcc_lo, 0, v33, vcc_lo
	s_delay_alu instid0(VALU_DEP_2) | instskip(NEXT) | instid1(VALU_DEP_2)
	v_add_co_u32 v13, vcc_lo, v13, v32
	v_add_co_ci_u32_e32 v30, vcc_lo, 0, v28, vcc_lo
	s_delay_alu instid0(VALU_DEP_2) | instskip(SKIP_1) | instid1(VALU_DEP_3)
	v_mul_lo_u32 v31, s23, v13
	v_mad_u64_u32 v[28:29], null, s22, v13, 0
	v_mul_lo_u32 v13, s22, v30
	s_delay_alu instid0(VALU_DEP_2) | instskip(NEXT) | instid1(VALU_DEP_2)
	v_sub_co_u32 v28, vcc_lo, v36, v28
	v_add3_u32 v13, v29, v13, v31
	s_delay_alu instid0(VALU_DEP_1) | instskip(NEXT) | instid1(VALU_DEP_1)
	v_sub_nc_u32_e32 v29, v45, v13
	v_subrev_co_ci_u32_e64 v29, s1, s23, v29, vcc_lo
	v_sub_co_ci_u32_e32 v13, vcc_lo, v45, v13, vcc_lo
	v_sub_co_u32 v30, vcc_lo, v28, s22
	s_delay_alu instid0(VALU_DEP_1) | instskip(SKIP_3) | instid1(VALU_DEP_3)
	v_subrev_co_ci_u32_e64 v31, s1, 0, v29, vcc_lo
	v_cmp_le_u32_e64 s1, s22, v28
	v_subrev_co_ci_u32_e32 v29, vcc_lo, s23, v29, vcc_lo
	v_cmp_le_u32_e32 vcc_lo, s23, v13
	v_cndmask_b32_e64 v32, 0, -1, s1
	v_cmp_le_u32_e64 s1, s22, v30
	v_cndmask_b32_e64 v37, 0, -1, vcc_lo
	v_cmp_eq_u32_e32 vcc_lo, s23, v31
	s_delay_alu instid0(VALU_DEP_3) | instskip(SKIP_1) | instid1(VALU_DEP_1)
	v_cndmask_b32_e64 v33, 0, -1, s1
	v_cmp_le_u32_e64 s1, s23, v31
	v_cndmask_b32_e64 v36, 0, -1, s1
	v_cmp_eq_u32_e64 s1, s23, v13
	s_delay_alu instid0(VALU_DEP_2) | instskip(SKIP_2) | instid1(VALU_DEP_3)
	v_cndmask_b32_e32 v33, v36, v33, vcc_lo
	v_sub_co_u32 v36, vcc_lo, v30, s22
	v_subrev_co_ci_u32_e32 v29, vcc_lo, 0, v29, vcc_lo
	v_cmp_ne_u32_e32 vcc_lo, 0, v33
	v_cndmask_b32_e64 v32, v37, v32, s1
	s_delay_alu instid0(VALU_DEP_3) | instskip(NEXT) | instid1(VALU_DEP_2)
	v_dual_cndmask_b32 v29, v31, v29 :: v_dual_cndmask_b32 v30, v30, v36
	v_cmp_ne_u32_e32 vcc_lo, 0, v32
	s_delay_alu instid0(VALU_DEP_2) | instskip(NEXT) | instid1(VALU_DEP_1)
	v_dual_cndmask_b32 v28, v28, v30 :: v_dual_cndmask_b32 v13, v13, v29
	v_xor_b32_e32 v28, v28, v44
	s_delay_alu instid0(VALU_DEP_2) | instskip(NEXT) | instid1(VALU_DEP_2)
	v_xor_b32_e32 v13, v13, v44
	v_sub_co_u32 v30, vcc_lo, v28, v44
	s_delay_alu instid0(VALU_DEP_2)
	v_sub_co_ci_u32_e32 v31, vcc_lo, v13, v44, vcc_lo
                                        ; implicit-def: $vgpr28_vgpr29
.LBB71_48:                              ;   in Loop: Header=BB71_33 Depth=2
	s_and_not1_saveexec_b32 s1, s35
	s_cbranch_execz .LBB71_31
; %bb.49:                               ;   in Loop: Header=BB71_33 Depth=2
	v_cvt_f32_u32_e32 v13, s8
	s_sub_i32 s19, 0, s8
	v_mov_b32_e32 v31, v12
	s_delay_alu instid0(VALU_DEP_2) | instskip(SKIP_2) | instid1(VALU_DEP_1)
	v_rcp_iflag_f32_e32 v13, v13
	s_waitcnt_depctr 0xfff
	v_mul_f32_e32 v13, 0x4f7ffffe, v13
	v_cvt_u32_f32_e32 v13, v13
	s_delay_alu instid0(VALU_DEP_1) | instskip(NEXT) | instid1(VALU_DEP_1)
	v_mul_lo_u32 v29, s19, v13
	v_mul_hi_u32 v29, v13, v29
	s_delay_alu instid0(VALU_DEP_1) | instskip(NEXT) | instid1(VALU_DEP_1)
	v_add_nc_u32_e32 v13, v13, v29
	v_mul_hi_u32 v13, v28, v13
	s_delay_alu instid0(VALU_DEP_1) | instskip(NEXT) | instid1(VALU_DEP_1)
	v_mul_lo_u32 v13, v13, s8
	v_sub_nc_u32_e32 v13, v28, v13
	s_delay_alu instid0(VALU_DEP_1) | instskip(SKIP_1) | instid1(VALU_DEP_2)
	v_subrev_nc_u32_e32 v28, s8, v13
	v_cmp_le_u32_e32 vcc_lo, s8, v13
	v_cndmask_b32_e32 v13, v13, v28, vcc_lo
	s_delay_alu instid0(VALU_DEP_1) | instskip(SKIP_1) | instid1(VALU_DEP_2)
	v_subrev_nc_u32_e32 v28, s8, v13
	v_cmp_le_u32_e32 vcc_lo, s8, v13
	v_cndmask_b32_e32 v30, v13, v28, vcc_lo
	s_branch .LBB71_31
.LBB71_50:                              ;   in Loop: Header=BB71_10 Depth=1
	s_add_u32 s20, s8, s18
	s_mov_b32 s19, s18
	s_addc_u32 s21, s9, s18
	s_delay_alu instid0(SALU_CYCLE_1) | instskip(NEXT) | instid1(SALU_CYCLE_1)
	s_xor_b64 s[20:21], s[20:21], s[18:19]
	v_cvt_f32_u32_e32 v13, s20
	v_cvt_f32_u32_e32 v20, s21
	s_sub_u32 s1, 0, s20
	s_subb_u32 s19, 0, s21
	s_delay_alu instid0(VALU_DEP_1) | instskip(NEXT) | instid1(VALU_DEP_1)
	v_fmac_f32_e32 v13, 0x4f800000, v20
	v_rcp_f32_e32 v13, v13
	s_waitcnt_depctr 0xfff
	v_mul_f32_e32 v13, 0x5f7ffffc, v13
	s_delay_alu instid0(VALU_DEP_1) | instskip(NEXT) | instid1(VALU_DEP_1)
	v_mul_f32_e32 v20, 0x2f800000, v13
	v_trunc_f32_e32 v20, v20
	s_delay_alu instid0(VALU_DEP_1) | instskip(SKIP_1) | instid1(VALU_DEP_2)
	v_fmac_f32_e32 v13, 0xcf800000, v20
	v_cvt_u32_f32_e32 v20, v20
	v_cvt_u32_f32_e32 v13, v13
	s_delay_alu instid0(VALU_DEP_2) | instskip(NEXT) | instid1(VALU_DEP_2)
	v_mul_lo_u32 v21, s1, v20
	v_mul_hi_u32 v22, s1, v13
	v_mul_lo_u32 v23, s19, v13
	s_delay_alu instid0(VALU_DEP_2) | instskip(SKIP_1) | instid1(VALU_DEP_2)
	v_add_nc_u32_e32 v21, v22, v21
	v_mul_lo_u32 v22, s1, v13
	v_add_nc_u32_e32 v21, v21, v23
	s_delay_alu instid0(VALU_DEP_2) | instskip(NEXT) | instid1(VALU_DEP_2)
	v_mul_hi_u32 v23, v13, v22
	v_mul_lo_u32 v24, v13, v21
	v_mul_hi_u32 v25, v13, v21
	v_mul_hi_u32 v26, v20, v22
	v_mul_lo_u32 v22, v20, v22
	v_mul_hi_u32 v27, v20, v21
	v_mul_lo_u32 v21, v20, v21
	v_add_co_u32 v23, vcc_lo, v23, v24
	v_add_co_ci_u32_e32 v24, vcc_lo, 0, v25, vcc_lo
	s_delay_alu instid0(VALU_DEP_2) | instskip(NEXT) | instid1(VALU_DEP_2)
	v_add_co_u32 v22, vcc_lo, v23, v22
	v_add_co_ci_u32_e32 v22, vcc_lo, v24, v26, vcc_lo
	v_add_co_ci_u32_e32 v23, vcc_lo, 0, v27, vcc_lo
	v_ashrrev_i32_e32 v26, 31, v19
	s_delay_alu instid0(VALU_DEP_3) | instskip(NEXT) | instid1(VALU_DEP_3)
	v_add_co_u32 v21, vcc_lo, v22, v21
	v_add_co_ci_u32_e32 v22, vcc_lo, 0, v23, vcc_lo
	s_delay_alu instid0(VALU_DEP_2) | instskip(NEXT) | instid1(VALU_DEP_2)
	v_add_co_u32 v13, vcc_lo, v13, v21
	v_add_co_ci_u32_e32 v20, vcc_lo, v20, v22, vcc_lo
	s_delay_alu instid0(VALU_DEP_2) | instskip(SKIP_1) | instid1(VALU_DEP_3)
	v_mul_hi_u32 v21, s1, v13
	v_mul_lo_u32 v23, s19, v13
	v_mul_lo_u32 v22, s1, v20
	s_delay_alu instid0(VALU_DEP_1) | instskip(SKIP_1) | instid1(VALU_DEP_2)
	v_add_nc_u32_e32 v21, v21, v22
	v_mul_lo_u32 v22, s1, v13
	v_add_nc_u32_e32 v21, v21, v23
	s_delay_alu instid0(VALU_DEP_2) | instskip(NEXT) | instid1(VALU_DEP_2)
	v_mul_hi_u32 v23, v13, v22
	v_mul_lo_u32 v24, v13, v21
	v_mul_hi_u32 v25, v13, v21
	v_mul_hi_u32 v27, v20, v22
	v_mul_lo_u32 v22, v20, v22
	v_mul_hi_u32 v28, v20, v21
	v_mul_lo_u32 v21, v20, v21
	v_add_co_u32 v23, vcc_lo, v23, v24
	v_add_co_ci_u32_e32 v24, vcc_lo, 0, v25, vcc_lo
	s_delay_alu instid0(VALU_DEP_2) | instskip(NEXT) | instid1(VALU_DEP_2)
	v_add_co_u32 v22, vcc_lo, v23, v22
	v_add_co_ci_u32_e32 v22, vcc_lo, v24, v27, vcc_lo
	v_add_co_ci_u32_e32 v23, vcc_lo, 0, v28, vcc_lo
	v_add_co_u32 v24, vcc_lo, v18, v26
	v_add_co_ci_u32_e32 v25, vcc_lo, v19, v26, vcc_lo
	s_delay_alu instid0(VALU_DEP_4) | instskip(NEXT) | instid1(VALU_DEP_4)
	v_add_co_u32 v21, vcc_lo, v22, v21
	v_add_co_ci_u32_e32 v22, vcc_lo, 0, v23, vcc_lo
	s_delay_alu instid0(VALU_DEP_4) | instskip(NEXT) | instid1(VALU_DEP_3)
	v_xor_b32_e32 v27, v24, v26
	v_add_co_u32 v13, vcc_lo, v13, v21
	s_delay_alu instid0(VALU_DEP_3) | instskip(SKIP_1) | instid1(VALU_DEP_3)
	v_add_co_ci_u32_e32 v28, vcc_lo, v20, v22, vcc_lo
	v_xor_b32_e32 v29, v25, v26
	v_mul_hi_u32 v30, v27, v13
	s_delay_alu instid0(VALU_DEP_3) | instskip(NEXT) | instid1(VALU_DEP_3)
	v_mad_u64_u32 v[20:21], null, v27, v28, 0
	v_mad_u64_u32 v[22:23], null, v29, v13, 0
	;; [unrolled: 1-line block ×3, first 2 shown]
	s_delay_alu instid0(VALU_DEP_3) | instskip(NEXT) | instid1(VALU_DEP_4)
	v_add_co_u32 v13, vcc_lo, v30, v20
	v_add_co_ci_u32_e32 v20, vcc_lo, 0, v21, vcc_lo
	s_delay_alu instid0(VALU_DEP_2) | instskip(NEXT) | instid1(VALU_DEP_2)
	v_add_co_u32 v13, vcc_lo, v13, v22
	v_add_co_ci_u32_e32 v13, vcc_lo, v20, v23, vcc_lo
	v_add_co_ci_u32_e32 v20, vcc_lo, 0, v25, vcc_lo
	s_delay_alu instid0(VALU_DEP_2) | instskip(NEXT) | instid1(VALU_DEP_2)
	v_add_co_u32 v13, vcc_lo, v13, v24
	v_add_co_ci_u32_e32 v22, vcc_lo, 0, v20, vcc_lo
	s_delay_alu instid0(VALU_DEP_2) | instskip(SKIP_1) | instid1(VALU_DEP_3)
	v_mul_lo_u32 v23, s21, v13
	v_mad_u64_u32 v[20:21], null, s20, v13, 0
	v_mul_lo_u32 v24, s20, v22
	s_delay_alu instid0(VALU_DEP_2) | instskip(NEXT) | instid1(VALU_DEP_2)
	v_sub_co_u32 v20, vcc_lo, v27, v20
	v_add3_u32 v21, v21, v24, v23
	s_delay_alu instid0(VALU_DEP_1) | instskip(NEXT) | instid1(VALU_DEP_1)
	v_sub_nc_u32_e32 v23, v29, v21
	v_subrev_co_ci_u32_e64 v23, s1, s21, v23, vcc_lo
	v_add_co_u32 v24, s1, v13, 2
	s_delay_alu instid0(VALU_DEP_1) | instskip(SKIP_3) | instid1(VALU_DEP_3)
	v_add_co_ci_u32_e64 v25, s1, 0, v22, s1
	v_sub_co_u32 v27, s1, v20, s20
	v_sub_co_ci_u32_e32 v21, vcc_lo, v29, v21, vcc_lo
	v_subrev_co_ci_u32_e64 v23, s1, 0, v23, s1
	v_cmp_le_u32_e32 vcc_lo, s20, v27
	s_delay_alu instid0(VALU_DEP_3) | instskip(SKIP_1) | instid1(VALU_DEP_4)
	v_cmp_eq_u32_e64 s1, s21, v21
	v_cndmask_b32_e64 v27, 0, -1, vcc_lo
	v_cmp_le_u32_e32 vcc_lo, s21, v23
	v_cndmask_b32_e64 v28, 0, -1, vcc_lo
	v_cmp_le_u32_e32 vcc_lo, s20, v20
	;; [unrolled: 2-line block ×3, first 2 shown]
	v_cndmask_b32_e64 v29, 0, -1, vcc_lo
	v_cmp_eq_u32_e32 vcc_lo, s21, v23
	s_delay_alu instid0(VALU_DEP_2) | instskip(SKIP_3) | instid1(VALU_DEP_3)
	v_cndmask_b32_e64 v20, v29, v20, s1
	v_cndmask_b32_e32 v23, v28, v27, vcc_lo
	v_add_co_u32 v27, vcc_lo, v13, 1
	v_add_co_ci_u32_e32 v28, vcc_lo, 0, v22, vcc_lo
	v_cmp_ne_u32_e32 vcc_lo, 0, v23
	s_delay_alu instid0(VALU_DEP_2) | instskip(NEXT) | instid1(VALU_DEP_4)
	v_cndmask_b32_e32 v21, v28, v25, vcc_lo
	v_cndmask_b32_e32 v23, v27, v24, vcc_lo
	v_cmp_ne_u32_e32 vcc_lo, 0, v20
	v_xor_b32_e32 v24, s18, v26
	s_delay_alu instid0(VALU_DEP_3) | instskip(NEXT) | instid1(VALU_DEP_1)
	v_dual_cndmask_b32 v13, v13, v23 :: v_dual_cndmask_b32 v20, v22, v21
	v_xor_b32_e32 v13, v13, v24
	s_delay_alu instid0(VALU_DEP_2) | instskip(NEXT) | instid1(VALU_DEP_2)
	v_xor_b32_e32 v21, v20, v24
	v_sub_co_u32 v20, vcc_lo, v13, v24
	s_delay_alu instid0(VALU_DEP_2)
	v_sub_co_ci_u32_e32 v21, vcc_lo, v21, v24, vcc_lo
	s_and_not1_saveexec_b32 s1, s23
	s_cbranch_execz .LBB71_26
.LBB71_51:                              ;   in Loop: Header=BB71_10 Depth=1
	v_cvt_f32_u32_e32 v13, s8
	s_sub_i32 s19, 0, s8
	s_delay_alu instid0(VALU_DEP_1) | instskip(SKIP_2) | instid1(VALU_DEP_1)
	v_rcp_iflag_f32_e32 v13, v13
	s_waitcnt_depctr 0xfff
	v_mul_f32_e32 v13, 0x4f7ffffe, v13
	v_cvt_u32_f32_e32 v13, v13
	s_delay_alu instid0(VALU_DEP_1) | instskip(NEXT) | instid1(VALU_DEP_1)
	v_mul_lo_u32 v20, s19, v13
	v_mul_hi_u32 v20, v13, v20
	s_delay_alu instid0(VALU_DEP_1) | instskip(NEXT) | instid1(VALU_DEP_1)
	v_add_nc_u32_e32 v13, v13, v20
	v_mul_hi_u32 v13, v18, v13
	s_delay_alu instid0(VALU_DEP_1) | instskip(SKIP_1) | instid1(VALU_DEP_2)
	v_mul_lo_u32 v20, v13, s8
	v_add_nc_u32_e32 v21, 1, v13
	v_sub_nc_u32_e32 v20, v18, v20
	s_delay_alu instid0(VALU_DEP_1) | instskip(SKIP_1) | instid1(VALU_DEP_2)
	v_subrev_nc_u32_e32 v22, s8, v20
	v_cmp_le_u32_e32 vcc_lo, s8, v20
	v_dual_cndmask_b32 v20, v20, v22 :: v_dual_cndmask_b32 v13, v13, v21
	s_delay_alu instid0(VALU_DEP_1) | instskip(NEXT) | instid1(VALU_DEP_2)
	v_cmp_le_u32_e32 vcc_lo, s8, v20
	v_add_nc_u32_e32 v21, 1, v13
	s_delay_alu instid0(VALU_DEP_1) | instskip(SKIP_1) | instid1(SALU_CYCLE_1)
	v_dual_cndmask_b32 v20, v13, v21 :: v_dual_mov_b32 v21, v12
	s_or_b32 exec_lo, exec_lo, s1
	s_mov_b32 s1, exec_lo
	s_delay_alu instid0(VALU_DEP_1)
	v_cmpx_ge_i64_e64 v[20:21], v[16:17]
	s_cbranch_execnz .LBB71_27
	s_branch .LBB71_28
.LBB71_52:
	s_nop 0
	s_sendmsg sendmsg(MSG_DEALLOC_VGPRS)
	s_endpgm
	.section	.rodata,"a",@progbits
	.p2align	6, 0x0
	.amdhsa_kernel _ZN9rocsparseL21csr2bsr_65_inf_kernelILj32EfllEEv20rocsparse_direction_T2_S2_S2_S2_S2_S2_21rocsparse_index_base_PKT0_PKT1_PKS2_S3_PS4_PS7_PS2_SD_SE_SC_
		.amdhsa_group_segment_fixed_size 0
		.amdhsa_private_segment_fixed_size 0
		.amdhsa_kernarg_size 144
		.amdhsa_user_sgpr_count 15
		.amdhsa_user_sgpr_dispatch_ptr 0
		.amdhsa_user_sgpr_queue_ptr 0
		.amdhsa_user_sgpr_kernarg_segment_ptr 1
		.amdhsa_user_sgpr_dispatch_id 0
		.amdhsa_user_sgpr_private_segment_size 0
		.amdhsa_wavefront_size32 1
		.amdhsa_uses_dynamic_stack 0
		.amdhsa_enable_private_segment 0
		.amdhsa_system_sgpr_workgroup_id_x 1
		.amdhsa_system_sgpr_workgroup_id_y 0
		.amdhsa_system_sgpr_workgroup_id_z 0
		.amdhsa_system_sgpr_workgroup_info 0
		.amdhsa_system_vgpr_workitem_id 0
		.amdhsa_next_free_vgpr 52
		.amdhsa_next_free_sgpr 37
		.amdhsa_reserve_vcc 1
		.amdhsa_float_round_mode_32 0
		.amdhsa_float_round_mode_16_64 0
		.amdhsa_float_denorm_mode_32 3
		.amdhsa_float_denorm_mode_16_64 3
		.amdhsa_dx10_clamp 1
		.amdhsa_ieee_mode 1
		.amdhsa_fp16_overflow 0
		.amdhsa_workgroup_processor_mode 1
		.amdhsa_memory_ordered 1
		.amdhsa_forward_progress 0
		.amdhsa_shared_vgpr_count 0
		.amdhsa_exception_fp_ieee_invalid_op 0
		.amdhsa_exception_fp_denorm_src 0
		.amdhsa_exception_fp_ieee_div_zero 0
		.amdhsa_exception_fp_ieee_overflow 0
		.amdhsa_exception_fp_ieee_underflow 0
		.amdhsa_exception_fp_ieee_inexact 0
		.amdhsa_exception_int_div_zero 0
	.end_amdhsa_kernel
	.section	.text._ZN9rocsparseL21csr2bsr_65_inf_kernelILj32EfllEEv20rocsparse_direction_T2_S2_S2_S2_S2_S2_21rocsparse_index_base_PKT0_PKT1_PKS2_S3_PS4_PS7_PS2_SD_SE_SC_,"axG",@progbits,_ZN9rocsparseL21csr2bsr_65_inf_kernelILj32EfllEEv20rocsparse_direction_T2_S2_S2_S2_S2_S2_21rocsparse_index_base_PKT0_PKT1_PKS2_S3_PS4_PS7_PS2_SD_SE_SC_,comdat
.Lfunc_end71:
	.size	_ZN9rocsparseL21csr2bsr_65_inf_kernelILj32EfllEEv20rocsparse_direction_T2_S2_S2_S2_S2_S2_21rocsparse_index_base_PKT0_PKT1_PKS2_S3_PS4_PS7_PS2_SD_SE_SC_, .Lfunc_end71-_ZN9rocsparseL21csr2bsr_65_inf_kernelILj32EfllEEv20rocsparse_direction_T2_S2_S2_S2_S2_S2_21rocsparse_index_base_PKT0_PKT1_PKS2_S3_PS4_PS7_PS2_SD_SE_SC_
                                        ; -- End function
	.section	.AMDGPU.csdata,"",@progbits
; Kernel info:
; codeLenInByte = 6384
; NumSgprs: 39
; NumVgprs: 52
; ScratchSize: 0
; MemoryBound: 0
; FloatMode: 240
; IeeeMode: 1
; LDSByteSize: 0 bytes/workgroup (compile time only)
; SGPRBlocks: 4
; VGPRBlocks: 6
; NumSGPRsForWavesPerEU: 39
; NumVGPRsForWavesPerEU: 52
; Occupancy: 16
; WaveLimiterHint : 1
; COMPUTE_PGM_RSRC2:SCRATCH_EN: 0
; COMPUTE_PGM_RSRC2:USER_SGPR: 15
; COMPUTE_PGM_RSRC2:TRAP_HANDLER: 0
; COMPUTE_PGM_RSRC2:TGID_X_EN: 1
; COMPUTE_PGM_RSRC2:TGID_Y_EN: 0
; COMPUTE_PGM_RSRC2:TGID_Z_EN: 0
; COMPUTE_PGM_RSRC2:TIDIG_COMP_CNT: 0
	.section	.text._ZN9rocsparseL35csr2bsr_block_dim_equals_one_kernelILj256E21rocsparse_complex_numIfEiiEEvT2_S3_S3_S3_21rocsparse_index_base_PKT0_PKT1_PKS3_S4_PS5_PS8_PS3_,"axG",@progbits,_ZN9rocsparseL35csr2bsr_block_dim_equals_one_kernelILj256E21rocsparse_complex_numIfEiiEEvT2_S3_S3_S3_21rocsparse_index_base_PKT0_PKT1_PKS3_S4_PS5_PS8_PS3_,comdat
	.globl	_ZN9rocsparseL35csr2bsr_block_dim_equals_one_kernelILj256E21rocsparse_complex_numIfEiiEEvT2_S3_S3_S3_21rocsparse_index_base_PKT0_PKT1_PKS3_S4_PS5_PS8_PS3_ ; -- Begin function _ZN9rocsparseL35csr2bsr_block_dim_equals_one_kernelILj256E21rocsparse_complex_numIfEiiEEvT2_S3_S3_S3_21rocsparse_index_base_PKT0_PKT1_PKS3_S4_PS5_PS8_PS3_
	.p2align	8
	.type	_ZN9rocsparseL35csr2bsr_block_dim_equals_one_kernelILj256E21rocsparse_complex_numIfEiiEEvT2_S3_S3_S3_21rocsparse_index_base_PKT0_PKT1_PKS3_S4_PS5_PS8_PS3_,@function
_ZN9rocsparseL35csr2bsr_block_dim_equals_one_kernelILj256E21rocsparse_complex_numIfEiiEEvT2_S3_S3_S3_21rocsparse_index_base_PKT0_PKT1_PKS3_S4_PS5_PS8_PS3_: ; @_ZN9rocsparseL35csr2bsr_block_dim_equals_one_kernelILj256E21rocsparse_complex_numIfEiiEEvT2_S3_S3_S3_21rocsparse_index_base_PKT0_PKT1_PKS3_S4_PS5_PS8_PS3_
; %bb.0:
	s_clause 0x1
	s_load_b32 s2, s[0:1], 0x0
	s_load_b128 s[4:7], s[0:1], 0x18
	v_lshl_or_b32 v0, s15, 8, v0
	s_waitcnt lgkmcnt(0)
	s_ashr_i32 s3, s2, 31
	s_delay_alu instid0(SALU_CYCLE_1) | instskip(NEXT) | instid1(SALU_CYCLE_1)
	s_lshl_b64 s[2:3], s[2:3], 2
	s_add_u32 s2, s6, s2
	s_addc_u32 s3, s7, s3
	s_clause 0x1
	s_load_b32 s2, s[2:3], 0x0
	s_load_b32 s3, s[6:7], 0x0
	s_waitcnt lgkmcnt(0)
	s_sub_i32 s10, s2, s3
	s_mov_b32 s2, exec_lo
	v_cmpx_gt_i32_e64 s10, v0
	s_cbranch_execz .LBB72_3
; %bb.1:
	s_clause 0x5
	s_load_b32 s11, s[0:1], 0x30
	s_load_b64 s[2:3], s[0:1], 0x38
	s_load_b32 s12, s[0:1], 0x10
	s_load_b32 s13, s[0:1], 0x50
	s_load_b64 s[6:7], s[0:1], 0x28
	s_load_b64 s[8:9], s[0:1], 0x48
	s_waitcnt lgkmcnt(0)
	s_sub_i32 s1, s11, s12
	s_lshl_b32 s11, s13, 8
	s_mov_b32 s12, 0
	.p2align	6
.LBB72_2:                               ; =>This Inner Loop Header: Depth=1
	v_ashrrev_i32_e32 v1, 31, v0
	s_delay_alu instid0(VALU_DEP_1) | instskip(NEXT) | instid1(VALU_DEP_1)
	v_lshlrev_b64 v[2:3], 2, v[0:1]
	v_add_co_u32 v4, vcc_lo, s6, v2
	s_delay_alu instid0(VALU_DEP_2)
	v_add_co_ci_u32_e32 v5, vcc_lo, s7, v3, vcc_lo
	global_load_b32 v6, v[4:5], off
	v_lshlrev_b64 v[4:5], 3, v[0:1]
	v_add_co_u32 v1, vcc_lo, s8, v2
	v_add_co_ci_u32_e32 v2, vcc_lo, s9, v3, vcc_lo
	v_add_nc_u32_e32 v0, s11, v0
	s_waitcnt vmcnt(0)
	v_add_nc_u32_e32 v3, s1, v6
	v_add_co_u32 v6, vcc_lo, s4, v4
	v_add_co_ci_u32_e32 v7, vcc_lo, s5, v5, vcc_lo
	global_store_b32 v[1:2], v3, off
	v_cmp_le_i32_e32 vcc_lo, s10, v0
	v_add_co_u32 v3, s0, s2, v4
	global_load_b64 v[1:2], v[6:7], off
	v_add_co_ci_u32_e64 v4, s0, s3, v5, s0
	s_or_b32 s12, vcc_lo, s12
	s_waitcnt vmcnt(0)
	global_store_b64 v[3:4], v[1:2], off
	s_and_not1_b32 exec_lo, exec_lo, s12
	s_cbranch_execnz .LBB72_2
.LBB72_3:
	s_nop 0
	s_sendmsg sendmsg(MSG_DEALLOC_VGPRS)
	s_endpgm
	.section	.rodata,"a",@progbits
	.p2align	6, 0x0
	.amdhsa_kernel _ZN9rocsparseL35csr2bsr_block_dim_equals_one_kernelILj256E21rocsparse_complex_numIfEiiEEvT2_S3_S3_S3_21rocsparse_index_base_PKT0_PKT1_PKS3_S4_PS5_PS8_PS3_
		.amdhsa_group_segment_fixed_size 0
		.amdhsa_private_segment_fixed_size 0
		.amdhsa_kernarg_size 336
		.amdhsa_user_sgpr_count 15
		.amdhsa_user_sgpr_dispatch_ptr 0
		.amdhsa_user_sgpr_queue_ptr 0
		.amdhsa_user_sgpr_kernarg_segment_ptr 1
		.amdhsa_user_sgpr_dispatch_id 0
		.amdhsa_user_sgpr_private_segment_size 0
		.amdhsa_wavefront_size32 1
		.amdhsa_uses_dynamic_stack 0
		.amdhsa_enable_private_segment 0
		.amdhsa_system_sgpr_workgroup_id_x 1
		.amdhsa_system_sgpr_workgroup_id_y 0
		.amdhsa_system_sgpr_workgroup_id_z 0
		.amdhsa_system_sgpr_workgroup_info 0
		.amdhsa_system_vgpr_workitem_id 0
		.amdhsa_next_free_vgpr 8
		.amdhsa_next_free_sgpr 16
		.amdhsa_reserve_vcc 1
		.amdhsa_float_round_mode_32 0
		.amdhsa_float_round_mode_16_64 0
		.amdhsa_float_denorm_mode_32 3
		.amdhsa_float_denorm_mode_16_64 3
		.amdhsa_dx10_clamp 1
		.amdhsa_ieee_mode 1
		.amdhsa_fp16_overflow 0
		.amdhsa_workgroup_processor_mode 1
		.amdhsa_memory_ordered 1
		.amdhsa_forward_progress 0
		.amdhsa_shared_vgpr_count 0
		.amdhsa_exception_fp_ieee_invalid_op 0
		.amdhsa_exception_fp_denorm_src 0
		.amdhsa_exception_fp_ieee_div_zero 0
		.amdhsa_exception_fp_ieee_overflow 0
		.amdhsa_exception_fp_ieee_underflow 0
		.amdhsa_exception_fp_ieee_inexact 0
		.amdhsa_exception_int_div_zero 0
	.end_amdhsa_kernel
	.section	.text._ZN9rocsparseL35csr2bsr_block_dim_equals_one_kernelILj256E21rocsparse_complex_numIfEiiEEvT2_S3_S3_S3_21rocsparse_index_base_PKT0_PKT1_PKS3_S4_PS5_PS8_PS3_,"axG",@progbits,_ZN9rocsparseL35csr2bsr_block_dim_equals_one_kernelILj256E21rocsparse_complex_numIfEiiEEvT2_S3_S3_S3_21rocsparse_index_base_PKT0_PKT1_PKS3_S4_PS5_PS8_PS3_,comdat
.Lfunc_end72:
	.size	_ZN9rocsparseL35csr2bsr_block_dim_equals_one_kernelILj256E21rocsparse_complex_numIfEiiEEvT2_S3_S3_S3_21rocsparse_index_base_PKT0_PKT1_PKS3_S4_PS5_PS8_PS3_, .Lfunc_end72-_ZN9rocsparseL35csr2bsr_block_dim_equals_one_kernelILj256E21rocsparse_complex_numIfEiiEEvT2_S3_S3_S3_21rocsparse_index_base_PKT0_PKT1_PKS3_S4_PS5_PS8_PS3_
                                        ; -- End function
	.section	.AMDGPU.csdata,"",@progbits
; Kernel info:
; codeLenInByte = 320
; NumSgprs: 18
; NumVgprs: 8
; ScratchSize: 0
; MemoryBound: 0
; FloatMode: 240
; IeeeMode: 1
; LDSByteSize: 0 bytes/workgroup (compile time only)
; SGPRBlocks: 2
; VGPRBlocks: 0
; NumSGPRsForWavesPerEU: 18
; NumVGPRsForWavesPerEU: 8
; Occupancy: 16
; WaveLimiterHint : 0
; COMPUTE_PGM_RSRC2:SCRATCH_EN: 0
; COMPUTE_PGM_RSRC2:USER_SGPR: 15
; COMPUTE_PGM_RSRC2:TRAP_HANDLER: 0
; COMPUTE_PGM_RSRC2:TGID_X_EN: 1
; COMPUTE_PGM_RSRC2:TGID_Y_EN: 0
; COMPUTE_PGM_RSRC2:TGID_Z_EN: 0
; COMPUTE_PGM_RSRC2:TIDIG_COMP_CNT: 0
	.section	.text._ZN9rocsparseL42csr2bsr_wavefront_per_row_multipass_kernelILj256ELj16ELj4E21rocsparse_complex_numIfEiiEEv20rocsparse_direction_T4_S4_S4_S4_S4_21rocsparse_index_base_PKT2_PKT3_PKS4_S5_PS6_PS9_PS4_,"axG",@progbits,_ZN9rocsparseL42csr2bsr_wavefront_per_row_multipass_kernelILj256ELj16ELj4E21rocsparse_complex_numIfEiiEEv20rocsparse_direction_T4_S4_S4_S4_S4_21rocsparse_index_base_PKT2_PKT3_PKS4_S5_PS6_PS9_PS4_,comdat
	.globl	_ZN9rocsparseL42csr2bsr_wavefront_per_row_multipass_kernelILj256ELj16ELj4E21rocsparse_complex_numIfEiiEEv20rocsparse_direction_T4_S4_S4_S4_S4_21rocsparse_index_base_PKT2_PKT3_PKS4_S5_PS6_PS9_PS4_ ; -- Begin function _ZN9rocsparseL42csr2bsr_wavefront_per_row_multipass_kernelILj256ELj16ELj4E21rocsparse_complex_numIfEiiEEv20rocsparse_direction_T4_S4_S4_S4_S4_21rocsparse_index_base_PKT2_PKT3_PKS4_S5_PS6_PS9_PS4_
	.p2align	8
	.type	_ZN9rocsparseL42csr2bsr_wavefront_per_row_multipass_kernelILj256ELj16ELj4E21rocsparse_complex_numIfEiiEEv20rocsparse_direction_T4_S4_S4_S4_S4_21rocsparse_index_base_PKT2_PKT3_PKS4_S5_PS6_PS9_PS4_,@function
_ZN9rocsparseL42csr2bsr_wavefront_per_row_multipass_kernelILj256ELj16ELj4E21rocsparse_complex_numIfEiiEEv20rocsparse_direction_T4_S4_S4_S4_S4_21rocsparse_index_base_PKT2_PKT3_PKS4_S5_PS6_PS9_PS4_: ; @_ZN9rocsparseL42csr2bsr_wavefront_per_row_multipass_kernelILj256ELj16ELj4E21rocsparse_complex_numIfEiiEEv20rocsparse_direction_T4_S4_S4_S4_S4_21rocsparse_index_base_PKT2_PKT3_PKS4_S5_PS6_PS9_PS4_
; %bb.0:
	s_clause 0x1
	s_load_b128 s[4:7], s[0:1], 0xc
	s_load_b64 s[10:11], s[0:1], 0x0
	v_lshrrev_b32_e32 v7, 4, v0
	v_bfe_u32 v2, v0, 2, 2
	s_load_b64 s[8:9], s[0:1], 0x28
	v_mov_b32_e32 v8, 0
	v_mov_b32_e32 v6, 0
	v_lshl_or_b32 v3, s15, 4, v7
	s_waitcnt lgkmcnt(0)
	s_delay_alu instid0(VALU_DEP_1) | instskip(SKIP_1) | instid1(VALU_DEP_2)
	v_mad_u64_u32 v[4:5], null, v3, s6, v[2:3]
	v_cmp_gt_i32_e32 vcc_lo, s6, v2
	v_cmp_gt_i32_e64 s2, s11, v4
	s_delay_alu instid0(VALU_DEP_1) | instskip(NEXT) | instid1(SALU_CYCLE_1)
	s_and_b32 s3, vcc_lo, s2
	s_and_saveexec_b32 s11, s3
	s_cbranch_execz .LBB73_2
; %bb.1:
	v_ashrrev_i32_e32 v5, 31, v4
	s_delay_alu instid0(VALU_DEP_1) | instskip(NEXT) | instid1(VALU_DEP_1)
	v_lshlrev_b64 v[5:6], 2, v[4:5]
	v_add_co_u32 v5, s2, s8, v5
	s_delay_alu instid0(VALU_DEP_1)
	v_add_co_ci_u32_e64 v6, s2, s9, v6, s2
	global_load_b32 v1, v[5:6], off
	s_waitcnt vmcnt(0)
	v_subrev_nc_u32_e32 v6, s7, v1
.LBB73_2:
	s_or_b32 exec_lo, exec_lo, s11
	s_and_saveexec_b32 s11, s3
	s_cbranch_execz .LBB73_4
; %bb.3:
	v_ashrrev_i32_e32 v5, 31, v4
	s_delay_alu instid0(VALU_DEP_1) | instskip(NEXT) | instid1(VALU_DEP_1)
	v_lshlrev_b64 v[4:5], 2, v[4:5]
	v_add_co_u32 v4, s2, s8, v4
	s_delay_alu instid0(VALU_DEP_1)
	v_add_co_ci_u32_e64 v5, s2, s9, v5, s2
	global_load_b32 v1, v[4:5], off offset:4
	s_waitcnt vmcnt(0)
	v_subrev_nc_u32_e32 v8, s7, v1
.LBB73_4:
	s_or_b32 exec_lo, exec_lo, s11
	s_load_b32 s12, s[0:1], 0x38
	v_mov_b32_e32 v1, 0
	s_mov_b32 s3, exec_lo
	v_cmpx_gt_i32_e64 s4, v3
	s_cbranch_execz .LBB73_6
; %bb.5:
	s_load_b64 s[8:9], s[0:1], 0x48
	v_ashrrev_i32_e32 v4, 31, v3
	s_delay_alu instid0(VALU_DEP_1) | instskip(SKIP_1) | instid1(VALU_DEP_1)
	v_lshlrev_b64 v[3:4], 2, v[3:4]
	s_waitcnt lgkmcnt(0)
	v_add_co_u32 v3, s2, s8, v3
	s_delay_alu instid0(VALU_DEP_1)
	v_add_co_ci_u32_e64 v4, s2, s9, v4, s2
	global_load_b32 v1, v[3:4], off
	s_waitcnt vmcnt(0)
	v_subrev_nc_u32_e32 v1, s12, v1
.LBB73_6:
	s_or_b32 exec_lo, exec_lo, s3
	s_cmp_lt_i32 s5, 1
	s_cbranch_scc1 .LBB73_21
; %bb.7:
	s_load_b64 s[14:15], s[0:1], 0x40
	v_and_b32_e32 v9, 3, v0
	v_dual_mov_b32 v3, 0 :: v_dual_lshlrev_b32 v12, 3, v2
	v_mul_lo_u32 v10, v2, s6
	v_and_b32_e32 v0, 0xf0, v0
	s_delay_alu instid0(VALU_DEP_4) | instskip(NEXT) | instid1(VALU_DEP_4)
	v_mul_lo_u32 v4, v9, s6
	v_mov_b32_e32 v5, v3
	v_mov_b32_e32 v11, v3
	v_cmp_gt_u32_e64 s2, s6, v9
	v_lshlrev_b32_e32 v13, 3, v9
	v_lshl_or_b32 v0, v2, 2, v0
	v_mov_b32_e32 v22, v3
	v_lshlrev_b64 v[10:11], 3, v[10:11]
	v_lshlrev_b64 v[4:5], 3, v[4:5]
	s_and_b32 s4, vcc_lo, s2
	s_cmp_eq_u32 s10, 0
	s_clause 0x1
	s_load_b64 s[10:11], s[0:1], 0x50
	s_load_b64 s[8:9], s[0:1], 0x30
	s_waitcnt lgkmcnt(0)
	v_add_co_u32 v4, vcc_lo, s14, v4
	v_add_co_ci_u32_e32 v5, vcc_lo, s15, v5, vcc_lo
	v_add_co_u32 v10, vcc_lo, s14, v10
	v_add_co_ci_u32_e32 v11, vcc_lo, s15, v11, vcc_lo
	s_delay_alu instid0(VALU_DEP_4) | instskip(NEXT) | instid1(VALU_DEP_4)
	v_add_co_u32 v4, vcc_lo, v4, v12
	v_add_co_ci_u32_e32 v5, vcc_lo, 0, v5, vcc_lo
	s_delay_alu instid0(VALU_DEP_4) | instskip(NEXT) | instid1(VALU_DEP_4)
	v_add_co_u32 v18, vcc_lo, v10, v13
	v_add_co_ci_u32_e32 v17, vcc_lo, 0, v11, vcc_lo
	s_cselect_b32 vcc_lo, -1, 0
	s_abs_i32 s13, s6
	v_mbcnt_lo_u32_b32 v12, -1, 0
	v_cvt_f32_u32_e32 v10, s13
	v_cndmask_b32_e32 v18, v4, v18, vcc_lo
	v_or_b32_e32 v11, v0, v9
	v_mov_b32_e32 v4, v3
	v_xor_b32_e32 v2, 2, v12
	v_rcp_iflag_f32_e32 v10, v10
	v_xor_b32_e32 v14, 8, v12
	v_xor_b32_e32 v15, 4, v12
	v_lshlrev_b32_e32 v19, 2, v12
	v_cmp_gt_i32_e64 s2, 32, v2
	s_mul_hi_u32 s14, s6, s6
	s_mul_i32 s15, s6, s6
	s_ashr_i32 s16, s6, 31
	v_cndmask_b32_e32 v17, v5, v17, vcc_lo
	v_cndmask_b32_e64 v2, v12, v2, s2
	v_dual_mul_f32 v13, 0x4f7ffffe, v10 :: v_dual_lshlrev_b32 v10, 3, v11
	s_load_b64 s[2:3], s[0:1], 0x20
	s_sub_i32 s0, 0, s13
	s_delay_alu instid0(VALU_DEP_2) | instskip(NEXT) | instid1(VALU_DEP_2)
	v_lshlrev_b32_e32 v11, 2, v2
	v_cvt_u32_f32_e32 v2, v13
	v_xor_b32_e32 v13, 1, v12
	s_mov_b32 s1, 0
	s_delay_alu instid0(VALU_DEP_2) | instskip(NEXT) | instid1(VALU_DEP_2)
	v_mul_lo_u32 v16, s0, v2
	v_cmp_gt_i32_e64 s0, 32, v13
	s_delay_alu instid0(VALU_DEP_1) | instskip(SKIP_1) | instid1(VALU_DEP_4)
	v_cndmask_b32_e64 v13, v12, v13, s0
	v_cmp_gt_i32_e64 s0, 32, v14
	v_mul_hi_u32 v20, v2, v16
	v_or_b32_e32 v16, 60, v19
	s_delay_alu instid0(VALU_DEP_3) | instskip(SKIP_1) | instid1(VALU_DEP_2)
	v_cndmask_b32_e64 v14, v12, v14, s0
	v_cmp_gt_i32_e64 s0, 32, v15
	v_lshlrev_b32_e32 v14, 2, v14
	s_delay_alu instid0(VALU_DEP_2) | instskip(SKIP_3) | instid1(VALU_DEP_4)
	v_cndmask_b32_e64 v15, v12, v15, s0
	v_lshlrev_b32_e32 v12, 2, v13
	v_or_b32_e32 v13, 12, v19
	v_dual_mov_b32 v20, 1 :: v_dual_add_nc_u32 v19, v2, v20
	v_lshlrev_b32_e32 v15, 2, v15
	s_branch .LBB73_10
.LBB73_8:                               ;   in Loop: Header=BB73_10 Depth=1
	s_or_b32 exec_lo, exec_lo, s17
	v_mov_b32_e32 v2, 1
.LBB73_9:                               ;   in Loop: Header=BB73_10 Depth=1
	s_or_b32 exec_lo, exec_lo, s0
	ds_bpermute_b32 v5, v14, v21
	v_add_nc_u32_e32 v1, v2, v1
	s_waitcnt lgkmcnt(0)
	s_waitcnt_vscnt null, 0x0
	buffer_gl0_inv
	buffer_gl0_inv
	v_min_i32_e32 v5, v5, v21
	ds_bpermute_b32 v21, v15, v5
	s_waitcnt lgkmcnt(0)
	v_min_i32_e32 v5, v21, v5
	ds_bpermute_b32 v21, v11, v5
	s_waitcnt lgkmcnt(0)
	;; [unrolled: 3-line block ×4, first 2 shown]
	v_cmp_le_i32_e32 vcc_lo, s5, v22
	s_or_b32 s1, vcc_lo, s1
	s_delay_alu instid0(SALU_CYCLE_1)
	s_and_not1_b32 exec_lo, exec_lo, s1
	s_cbranch_execz .LBB73_21
.LBB73_10:                              ; =>This Loop Header: Depth=1
                                        ;     Child Loop BB73_13 Depth 2
	v_add_nc_u32_e32 v5, v6, v9
	v_mov_b32_e32 v21, s5
	v_mov_b32_e32 v23, v8
	s_mov_b32 s17, exec_lo
	ds_store_b8 v7, v3 offset:2048
	ds_store_b64 v10, v[3:4]
	s_waitcnt lgkmcnt(0)
	buffer_gl0_inv
	v_cmpx_lt_i32_e64 v5, v8
	s_cbranch_execz .LBB73_18
; %bb.11:                               ;   in Loop: Header=BB73_10 Depth=1
	v_mul_lo_u32 v2, v22, s6
	v_mov_b32_e32 v21, s5
	v_mov_b32_e32 v23, v8
	s_mov_b32 s18, 0
	s_branch .LBB73_13
.LBB73_12:                              ;   in Loop: Header=BB73_13 Depth=2
	s_or_b32 exec_lo, exec_lo, s19
	v_add_nc_u32_e32 v5, 4, v5
	s_xor_b32 s19, vcc_lo, -1
	s_delay_alu instid0(VALU_DEP_1) | instskip(NEXT) | instid1(VALU_DEP_1)
	v_cmp_ge_i32_e64 s0, v5, v8
	s_or_b32 s0, s19, s0
	s_delay_alu instid0(SALU_CYCLE_1) | instskip(NEXT) | instid1(SALU_CYCLE_1)
	s_and_b32 s0, exec_lo, s0
	s_or_b32 s18, s0, s18
	s_delay_alu instid0(SALU_CYCLE_1)
	s_and_not1_b32 exec_lo, exec_lo, s18
	s_cbranch_execz .LBB73_17
.LBB73_13:                              ;   Parent Loop BB73_10 Depth=1
                                        ; =>  This Inner Loop Header: Depth=2
	v_ashrrev_i32_e32 v6, 31, v5
	s_delay_alu instid0(VALU_DEP_1) | instskip(NEXT) | instid1(VALU_DEP_1)
	v_lshlrev_b64 v[24:25], 2, v[5:6]
	v_add_co_u32 v24, vcc_lo, s8, v24
	s_delay_alu instid0(VALU_DEP_2) | instskip(SKIP_3) | instid1(VALU_DEP_1)
	v_add_co_ci_u32_e32 v25, vcc_lo, s9, v25, vcc_lo
	global_load_b32 v24, v[24:25], off
	s_waitcnt vmcnt(0)
	v_subrev_nc_u32_e32 v24, s7, v24
	v_sub_nc_u32_e32 v25, 0, v24
	s_delay_alu instid0(VALU_DEP_1) | instskip(NEXT) | instid1(VALU_DEP_1)
	v_max_i32_e32 v25, v24, v25
	v_mul_hi_u32 v26, v25, v19
	s_delay_alu instid0(VALU_DEP_1) | instskip(NEXT) | instid1(VALU_DEP_1)
	v_mul_lo_u32 v27, v26, s13
	v_sub_nc_u32_e32 v25, v25, v27
	v_add_nc_u32_e32 v27, 1, v26
	s_delay_alu instid0(VALU_DEP_2) | instskip(SKIP_1) | instid1(VALU_DEP_2)
	v_subrev_nc_u32_e32 v28, s13, v25
	v_cmp_le_u32_e32 vcc_lo, s13, v25
	v_dual_cndmask_b32 v26, v26, v27 :: v_dual_cndmask_b32 v25, v25, v28
	v_ashrrev_i32_e32 v27, 31, v24
	s_delay_alu instid0(VALU_DEP_2) | instskip(NEXT) | instid1(VALU_DEP_3)
	v_add_nc_u32_e32 v28, 1, v26
	v_cmp_le_u32_e32 vcc_lo, s13, v25
	s_delay_alu instid0(VALU_DEP_3) | instskip(NEXT) | instid1(VALU_DEP_3)
	v_xor_b32_e32 v27, s16, v27
	v_cndmask_b32_e32 v25, v26, v28, vcc_lo
	s_delay_alu instid0(VALU_DEP_1) | instskip(NEXT) | instid1(VALU_DEP_1)
	v_xor_b32_e32 v25, v25, v27
	v_sub_nc_u32_e32 v26, v25, v27
	v_mov_b32_e32 v25, v23
	s_delay_alu instid0(VALU_DEP_2) | instskip(SKIP_1) | instid1(VALU_DEP_1)
	v_cmp_eq_u32_e32 vcc_lo, v26, v22
	v_cmp_ne_u32_e64 s0, v26, v22
	s_and_saveexec_b32 s19, s0
	s_delay_alu instid0(SALU_CYCLE_1)
	s_xor_b32 s0, exec_lo, s19
; %bb.14:                               ;   in Loop: Header=BB73_13 Depth=2
	v_min_i32_e32 v21, v26, v21
                                        ; implicit-def: $vgpr24
                                        ; implicit-def: $vgpr25
; %bb.15:                               ;   in Loop: Header=BB73_13 Depth=2
	s_or_saveexec_b32 s19, s0
	v_mov_b32_e32 v23, v5
	s_xor_b32 exec_lo, exec_lo, s19
	s_cbranch_execz .LBB73_12
; %bb.16:                               ;   in Loop: Header=BB73_13 Depth=2
	v_lshlrev_b64 v[26:27], 3, v[5:6]
	v_sub_nc_u32_e32 v6, v24, v2
	v_mov_b32_e32 v23, v25
	s_delay_alu instid0(VALU_DEP_2) | instskip(NEXT) | instid1(VALU_DEP_4)
	v_add_lshl_u32 v6, v6, v0, 3
	v_add_co_u32 v26, s0, s2, v26
	s_delay_alu instid0(VALU_DEP_1)
	v_add_co_ci_u32_e64 v27, s0, s3, v27, s0
	global_load_b64 v[26:27], v[26:27], off
	ds_store_b8 v7, v20 offset:2048
	s_waitcnt vmcnt(0)
	ds_store_b64 v6, v[26:27]
	s_branch .LBB73_12
.LBB73_17:                              ;   in Loop: Header=BB73_10 Depth=1
	s_or_b32 exec_lo, exec_lo, s18
.LBB73_18:                              ;   in Loop: Header=BB73_10 Depth=1
	s_delay_alu instid0(SALU_CYCLE_1)
	s_or_b32 exec_lo, exec_lo, s17
	ds_bpermute_b32 v2, v11, v23
	s_waitcnt lgkmcnt(0)
	buffer_gl0_inv
	v_min_i32_e32 v2, v2, v23
	ds_load_u8 v23, v7 offset:2048
	ds_bpermute_b32 v5, v12, v2
	s_waitcnt lgkmcnt(0)
	v_min_i32_e32 v2, v5, v2
	ds_bpermute_b32 v6, v13, v2
	v_and_b32_e32 v2, 1, v23
	s_delay_alu instid0(VALU_DEP_1)
	v_cmp_eq_u32_e32 vcc_lo, 1, v2
	v_mov_b32_e32 v2, 0
	s_and_saveexec_b32 s0, vcc_lo
	s_cbranch_execz .LBB73_9
; %bb.19:                               ;   in Loop: Header=BB73_10 Depth=1
	v_ashrrev_i32_e32 v2, 31, v1
	v_add_nc_u32_e32 v5, s12, v22
	s_delay_alu instid0(VALU_DEP_2) | instskip(NEXT) | instid1(VALU_DEP_1)
	v_lshlrev_b64 v[23:24], 2, v[1:2]
	v_add_co_u32 v22, vcc_lo, s10, v23
	s_delay_alu instid0(VALU_DEP_2)
	v_add_co_ci_u32_e32 v23, vcc_lo, s11, v24, vcc_lo
	global_store_b32 v[22:23], v5, off
	s_and_saveexec_b32 s17, s4
	s_cbranch_execz .LBB73_8
; %bb.20:                               ;   in Loop: Header=BB73_10 Depth=1
	v_mul_lo_u32 v5, s14, v1
	v_mul_lo_u32 v2, s15, v2
	v_mad_u64_u32 v[22:23], null, s15, v1, 0
	ds_load_b64 v[24:25], v10
	v_add3_u32 v23, v23, v2, v5
	s_delay_alu instid0(VALU_DEP_1) | instskip(NEXT) | instid1(VALU_DEP_1)
	v_lshlrev_b64 v[22:23], 3, v[22:23]
	v_add_co_u32 v22, vcc_lo, v18, v22
	s_delay_alu instid0(VALU_DEP_2)
	v_add_co_ci_u32_e32 v23, vcc_lo, v17, v23, vcc_lo
	s_waitcnt lgkmcnt(0)
	global_store_b64 v[22:23], v[24:25], off
	s_branch .LBB73_8
.LBB73_21:
	s_endpgm
	.section	.rodata,"a",@progbits
	.p2align	6, 0x0
	.amdhsa_kernel _ZN9rocsparseL42csr2bsr_wavefront_per_row_multipass_kernelILj256ELj16ELj4E21rocsparse_complex_numIfEiiEEv20rocsparse_direction_T4_S4_S4_S4_S4_21rocsparse_index_base_PKT2_PKT3_PKS4_S5_PS6_PS9_PS4_
		.amdhsa_group_segment_fixed_size 2064
		.amdhsa_private_segment_fixed_size 0
		.amdhsa_kernarg_size 88
		.amdhsa_user_sgpr_count 15
		.amdhsa_user_sgpr_dispatch_ptr 0
		.amdhsa_user_sgpr_queue_ptr 0
		.amdhsa_user_sgpr_kernarg_segment_ptr 1
		.amdhsa_user_sgpr_dispatch_id 0
		.amdhsa_user_sgpr_private_segment_size 0
		.amdhsa_wavefront_size32 1
		.amdhsa_uses_dynamic_stack 0
		.amdhsa_enable_private_segment 0
		.amdhsa_system_sgpr_workgroup_id_x 1
		.amdhsa_system_sgpr_workgroup_id_y 0
		.amdhsa_system_sgpr_workgroup_id_z 0
		.amdhsa_system_sgpr_workgroup_info 0
		.amdhsa_system_vgpr_workitem_id 0
		.amdhsa_next_free_vgpr 29
		.amdhsa_next_free_sgpr 20
		.amdhsa_reserve_vcc 1
		.amdhsa_float_round_mode_32 0
		.amdhsa_float_round_mode_16_64 0
		.amdhsa_float_denorm_mode_32 3
		.amdhsa_float_denorm_mode_16_64 3
		.amdhsa_dx10_clamp 1
		.amdhsa_ieee_mode 1
		.amdhsa_fp16_overflow 0
		.amdhsa_workgroup_processor_mode 1
		.amdhsa_memory_ordered 1
		.amdhsa_forward_progress 0
		.amdhsa_shared_vgpr_count 0
		.amdhsa_exception_fp_ieee_invalid_op 0
		.amdhsa_exception_fp_denorm_src 0
		.amdhsa_exception_fp_ieee_div_zero 0
		.amdhsa_exception_fp_ieee_overflow 0
		.amdhsa_exception_fp_ieee_underflow 0
		.amdhsa_exception_fp_ieee_inexact 0
		.amdhsa_exception_int_div_zero 0
	.end_amdhsa_kernel
	.section	.text._ZN9rocsparseL42csr2bsr_wavefront_per_row_multipass_kernelILj256ELj16ELj4E21rocsparse_complex_numIfEiiEEv20rocsparse_direction_T4_S4_S4_S4_S4_21rocsparse_index_base_PKT2_PKT3_PKS4_S5_PS6_PS9_PS4_,"axG",@progbits,_ZN9rocsparseL42csr2bsr_wavefront_per_row_multipass_kernelILj256ELj16ELj4E21rocsparse_complex_numIfEiiEEv20rocsparse_direction_T4_S4_S4_S4_S4_21rocsparse_index_base_PKT2_PKT3_PKS4_S5_PS6_PS9_PS4_,comdat
.Lfunc_end73:
	.size	_ZN9rocsparseL42csr2bsr_wavefront_per_row_multipass_kernelILj256ELj16ELj4E21rocsparse_complex_numIfEiiEEv20rocsparse_direction_T4_S4_S4_S4_S4_21rocsparse_index_base_PKT2_PKT3_PKS4_S5_PS6_PS9_PS4_, .Lfunc_end73-_ZN9rocsparseL42csr2bsr_wavefront_per_row_multipass_kernelILj256ELj16ELj4E21rocsparse_complex_numIfEiiEEv20rocsparse_direction_T4_S4_S4_S4_S4_21rocsparse_index_base_PKT2_PKT3_PKS4_S5_PS6_PS9_PS4_
                                        ; -- End function
	.section	.AMDGPU.csdata,"",@progbits
; Kernel info:
; codeLenInByte = 1524
; NumSgprs: 22
; NumVgprs: 29
; ScratchSize: 0
; MemoryBound: 0
; FloatMode: 240
; IeeeMode: 1
; LDSByteSize: 2064 bytes/workgroup (compile time only)
; SGPRBlocks: 2
; VGPRBlocks: 3
; NumSGPRsForWavesPerEU: 22
; NumVGPRsForWavesPerEU: 29
; Occupancy: 16
; WaveLimiterHint : 0
; COMPUTE_PGM_RSRC2:SCRATCH_EN: 0
; COMPUTE_PGM_RSRC2:USER_SGPR: 15
; COMPUTE_PGM_RSRC2:TRAP_HANDLER: 0
; COMPUTE_PGM_RSRC2:TGID_X_EN: 1
; COMPUTE_PGM_RSRC2:TGID_Y_EN: 0
; COMPUTE_PGM_RSRC2:TGID_Z_EN: 0
; COMPUTE_PGM_RSRC2:TIDIG_COMP_CNT: 0
	.section	.text._ZN9rocsparseL42csr2bsr_wavefront_per_row_multipass_kernelILj256ELj64ELj8E21rocsparse_complex_numIfEiiEEv20rocsparse_direction_T4_S4_S4_S4_S4_21rocsparse_index_base_PKT2_PKT3_PKS4_S5_PS6_PS9_PS4_,"axG",@progbits,_ZN9rocsparseL42csr2bsr_wavefront_per_row_multipass_kernelILj256ELj64ELj8E21rocsparse_complex_numIfEiiEEv20rocsparse_direction_T4_S4_S4_S4_S4_21rocsparse_index_base_PKT2_PKT3_PKS4_S5_PS6_PS9_PS4_,comdat
	.globl	_ZN9rocsparseL42csr2bsr_wavefront_per_row_multipass_kernelILj256ELj64ELj8E21rocsparse_complex_numIfEiiEEv20rocsparse_direction_T4_S4_S4_S4_S4_21rocsparse_index_base_PKT2_PKT3_PKS4_S5_PS6_PS9_PS4_ ; -- Begin function _ZN9rocsparseL42csr2bsr_wavefront_per_row_multipass_kernelILj256ELj64ELj8E21rocsparse_complex_numIfEiiEEv20rocsparse_direction_T4_S4_S4_S4_S4_21rocsparse_index_base_PKT2_PKT3_PKS4_S5_PS6_PS9_PS4_
	.p2align	8
	.type	_ZN9rocsparseL42csr2bsr_wavefront_per_row_multipass_kernelILj256ELj64ELj8E21rocsparse_complex_numIfEiiEEv20rocsparse_direction_T4_S4_S4_S4_S4_21rocsparse_index_base_PKT2_PKT3_PKS4_S5_PS6_PS9_PS4_,@function
_ZN9rocsparseL42csr2bsr_wavefront_per_row_multipass_kernelILj256ELj64ELj8E21rocsparse_complex_numIfEiiEEv20rocsparse_direction_T4_S4_S4_S4_S4_21rocsparse_index_base_PKT2_PKT3_PKS4_S5_PS6_PS9_PS4_: ; @_ZN9rocsparseL42csr2bsr_wavefront_per_row_multipass_kernelILj256ELj64ELj8E21rocsparse_complex_numIfEiiEEv20rocsparse_direction_T4_S4_S4_S4_S4_21rocsparse_index_base_PKT2_PKT3_PKS4_S5_PS6_PS9_PS4_
; %bb.0:
	s_clause 0x1
	s_load_b128 s[4:7], s[0:1], 0xc
	s_load_b64 s[10:11], s[0:1], 0x0
	v_lshrrev_b32_e32 v7, 6, v0
	v_bfe_u32 v2, v0, 3, 3
	s_load_b64 s[8:9], s[0:1], 0x28
	v_mov_b32_e32 v8, 0
	v_mov_b32_e32 v6, 0
	v_lshl_or_b32 v3, s15, 2, v7
	s_waitcnt lgkmcnt(0)
	s_delay_alu instid0(VALU_DEP_1) | instskip(SKIP_1) | instid1(VALU_DEP_2)
	v_mad_u64_u32 v[4:5], null, v3, s6, v[2:3]
	v_cmp_gt_i32_e32 vcc_lo, s6, v2
	v_cmp_gt_i32_e64 s2, s11, v4
	s_delay_alu instid0(VALU_DEP_1) | instskip(NEXT) | instid1(SALU_CYCLE_1)
	s_and_b32 s3, vcc_lo, s2
	s_and_saveexec_b32 s11, s3
	s_cbranch_execz .LBB74_2
; %bb.1:
	v_ashrrev_i32_e32 v5, 31, v4
	s_delay_alu instid0(VALU_DEP_1) | instskip(NEXT) | instid1(VALU_DEP_1)
	v_lshlrev_b64 v[5:6], 2, v[4:5]
	v_add_co_u32 v5, s2, s8, v5
	s_delay_alu instid0(VALU_DEP_1)
	v_add_co_ci_u32_e64 v6, s2, s9, v6, s2
	global_load_b32 v1, v[5:6], off
	s_waitcnt vmcnt(0)
	v_subrev_nc_u32_e32 v6, s7, v1
.LBB74_2:
	s_or_b32 exec_lo, exec_lo, s11
	s_and_saveexec_b32 s11, s3
	s_cbranch_execz .LBB74_4
; %bb.3:
	v_ashrrev_i32_e32 v5, 31, v4
	s_delay_alu instid0(VALU_DEP_1) | instskip(NEXT) | instid1(VALU_DEP_1)
	v_lshlrev_b64 v[4:5], 2, v[4:5]
	v_add_co_u32 v4, s2, s8, v4
	s_delay_alu instid0(VALU_DEP_1)
	v_add_co_ci_u32_e64 v5, s2, s9, v5, s2
	global_load_b32 v1, v[4:5], off offset:4
	s_waitcnt vmcnt(0)
	v_subrev_nc_u32_e32 v8, s7, v1
.LBB74_4:
	s_or_b32 exec_lo, exec_lo, s11
	s_load_b32 s12, s[0:1], 0x38
	v_mov_b32_e32 v1, 0
	s_mov_b32 s3, exec_lo
	v_cmpx_gt_i32_e64 s4, v3
	s_cbranch_execz .LBB74_6
; %bb.5:
	s_load_b64 s[8:9], s[0:1], 0x48
	v_ashrrev_i32_e32 v4, 31, v3
	s_delay_alu instid0(VALU_DEP_1) | instskip(SKIP_1) | instid1(VALU_DEP_1)
	v_lshlrev_b64 v[3:4], 2, v[3:4]
	s_waitcnt lgkmcnt(0)
	v_add_co_u32 v3, s2, s8, v3
	s_delay_alu instid0(VALU_DEP_1)
	v_add_co_ci_u32_e64 v4, s2, s9, v4, s2
	global_load_b32 v1, v[3:4], off
	s_waitcnt vmcnt(0)
	v_subrev_nc_u32_e32 v1, s12, v1
.LBB74_6:
	s_or_b32 exec_lo, exec_lo, s3
	s_cmp_lt_i32 s5, 1
	s_cbranch_scc1 .LBB74_21
; %bb.7:
	s_load_b64 s[14:15], s[0:1], 0x40
	v_and_b32_e32 v9, 7, v0
	v_mov_b32_e32 v3, 0
	v_mul_lo_u32 v10, v2, s6
	v_lshlrev_b32_e32 v2, 3, v2
	v_mbcnt_lo_u32_b32 v14, -1, 0
	v_mul_lo_u32 v4, v9, s6
	v_dual_mov_b32 v5, v3 :: v_dual_lshlrev_b32 v12, 3, v9
	v_mov_b32_e32 v11, v3
	v_cmp_gt_u32_e64 s2, s6, v9
	v_and_or_b32 v0, 0xc0, v0, v2
	v_xor_b32_e32 v13, 1, v14
	v_or_b32_e32 v15, 32, v14
	v_lshlrev_b64 v[4:5], 3, v[4:5]
	v_lshlrev_b64 v[10:11], 3, v[10:11]
	s_and_b32 s4, vcc_lo, s2
	s_clause 0x1
	s_load_b64 s[2:3], s[0:1], 0x50
	s_load_b64 s[8:9], s[0:1], 0x30
	s_cmp_eq_u32 s10, 0
	s_load_b64 s[10:11], s[0:1], 0x20
	s_waitcnt lgkmcnt(0)
	v_add_co_u32 v4, vcc_lo, s14, v4
	v_add_co_ci_u32_e32 v5, vcc_lo, s15, v5, vcc_lo
	v_add_co_u32 v10, vcc_lo, s14, v10
	v_add_co_ci_u32_e32 v11, vcc_lo, s15, v11, vcc_lo
	s_delay_alu instid0(VALU_DEP_4) | instskip(NEXT) | instid1(VALU_DEP_4)
	v_add_co_u32 v4, vcc_lo, v4, v2
	v_add_co_ci_u32_e32 v5, vcc_lo, 0, v5, vcc_lo
	s_delay_alu instid0(VALU_DEP_4) | instskip(NEXT) | instid1(VALU_DEP_4)
	v_add_co_u32 v20, vcc_lo, v10, v12
	v_add_co_ci_u32_e32 v19, vcc_lo, 0, v11, vcc_lo
	s_cselect_b32 vcc_lo, -1, 0
	s_abs_i32 s13, s6
	v_xor_b32_e32 v11, 4, v14
	v_cvt_f32_u32_e32 v2, s13
	v_xor_b32_e32 v12, 2, v14
	v_xor_b32_e32 v16, 16, v14
	;; [unrolled: 1-line block ×3, first 2 shown]
	v_cmp_gt_i32_e64 s0, 32, v11
	v_rcp_iflag_f32_e32 v2, v2
	v_cndmask_b32_e32 v20, v4, v20, vcc_lo
	s_mov_b32 s1, 0
	s_mul_hi_u32 s14, s6, s6
	v_cndmask_b32_e64 v11, v14, v11, s0
	v_cmp_gt_i32_e64 s0, 32, v12
	v_cndmask_b32_e32 v19, v5, v19, vcc_lo
	s_mul_i32 s15, s6, s6
	s_ashr_i32 s16, s6, 31
	s_waitcnt_depctr 0xfff
	v_dual_mul_f32 v2, 0x4f7ffffe, v2 :: v_dual_lshlrev_b32 v11, 2, v11
	v_cndmask_b32_e64 v12, v14, v12, s0
	v_cmp_gt_i32_e64 s0, 32, v13
	v_or_b32_e32 v10, v0, v9
	v_mov_b32_e32 v4, v3
	v_cvt_u32_f32_e32 v2, v2
	v_lshlrev_b32_e32 v12, 2, v12
	v_cndmask_b32_e64 v13, v14, v13, s0
	s_sub_i32 s0, 0, s13
	v_lshlrev_b32_e32 v10, 3, v10
	v_mul_lo_u32 v17, s0, v2
	v_cmp_gt_i32_e64 s0, 32, v15
	v_dual_mov_b32 v22, 1 :: v_dual_lshlrev_b32 v13, 2, v13
	v_mov_b32_e32 v24, v3
	s_delay_alu instid0(VALU_DEP_3) | instskip(SKIP_2) | instid1(VALU_DEP_3)
	v_cndmask_b32_e64 v15, v14, v15, s0
	v_cmp_gt_i32_e64 s0, 32, v16
	v_mul_hi_u32 v21, v2, v17
	v_lshlrev_b32_e32 v15, 2, v15
	s_delay_alu instid0(VALU_DEP_3) | instskip(SKIP_1) | instid1(VALU_DEP_4)
	v_cndmask_b32_e64 v16, v14, v16, s0
	v_cmp_gt_i32_e64 s0, 32, v18
	v_add_nc_u32_e32 v21, v2, v21
	s_delay_alu instid0(VALU_DEP_3) | instskip(NEXT) | instid1(VALU_DEP_3)
	v_lshlrev_b32_e32 v16, 2, v16
	v_cndmask_b32_e64 v18, v14, v18, s0
	v_lshl_or_b32 v14, v14, 2, 28
	s_delay_alu instid0(VALU_DEP_2)
	v_lshlrev_b32_e32 v17, 2, v18
	v_bfrev_b32_e32 v18, 0.5
	s_branch .LBB74_10
.LBB74_8:                               ;   in Loop: Header=BB74_10 Depth=1
	s_or_b32 exec_lo, exec_lo, s17
	v_mov_b32_e32 v2, 1
.LBB74_9:                               ;   in Loop: Header=BB74_10 Depth=1
	s_or_b32 exec_lo, exec_lo, s0
	ds_bpermute_b32 v5, v15, v23
	v_add_nc_u32_e32 v1, v2, v1
	s_waitcnt lgkmcnt(0)
	s_waitcnt_vscnt null, 0x0
	buffer_gl0_inv
	buffer_gl0_inv
	v_min_i32_e32 v5, v5, v23
	ds_bpermute_b32 v23, v16, v5
	s_waitcnt lgkmcnt(0)
	v_min_i32_e32 v5, v23, v5
	ds_bpermute_b32 v23, v17, v5
	s_waitcnt lgkmcnt(0)
	;; [unrolled: 3-line block ×6, first 2 shown]
	v_cmp_le_i32_e32 vcc_lo, s5, v24
	s_or_b32 s1, vcc_lo, s1
	s_delay_alu instid0(SALU_CYCLE_1)
	s_and_not1_b32 exec_lo, exec_lo, s1
	s_cbranch_execz .LBB74_21
.LBB74_10:                              ; =>This Loop Header: Depth=1
                                        ;     Child Loop BB74_13 Depth 2
	v_add_nc_u32_e32 v5, v6, v9
	v_mov_b32_e32 v23, s5
	v_mov_b32_e32 v25, v8
	s_mov_b32 s17, exec_lo
	ds_store_b8 v7, v3 offset:2048
	ds_store_b64 v10, v[3:4]
	s_waitcnt lgkmcnt(0)
	buffer_gl0_inv
	v_cmpx_lt_i32_e64 v5, v8
	s_cbranch_execz .LBB74_18
; %bb.11:                               ;   in Loop: Header=BB74_10 Depth=1
	v_mul_lo_u32 v2, v24, s6
	v_mov_b32_e32 v23, s5
	v_mov_b32_e32 v25, v8
	s_mov_b32 s18, 0
	s_branch .LBB74_13
.LBB74_12:                              ;   in Loop: Header=BB74_13 Depth=2
	s_or_b32 exec_lo, exec_lo, s19
	v_add_nc_u32_e32 v5, 8, v5
	s_xor_b32 s19, vcc_lo, -1
	s_delay_alu instid0(VALU_DEP_1) | instskip(NEXT) | instid1(VALU_DEP_1)
	v_cmp_ge_i32_e64 s0, v5, v8
	s_or_b32 s0, s19, s0
	s_delay_alu instid0(SALU_CYCLE_1) | instskip(NEXT) | instid1(SALU_CYCLE_1)
	s_and_b32 s0, exec_lo, s0
	s_or_b32 s18, s0, s18
	s_delay_alu instid0(SALU_CYCLE_1)
	s_and_not1_b32 exec_lo, exec_lo, s18
	s_cbranch_execz .LBB74_17
.LBB74_13:                              ;   Parent Loop BB74_10 Depth=1
                                        ; =>  This Inner Loop Header: Depth=2
	v_ashrrev_i32_e32 v6, 31, v5
	s_delay_alu instid0(VALU_DEP_1) | instskip(NEXT) | instid1(VALU_DEP_1)
	v_lshlrev_b64 v[26:27], 2, v[5:6]
	v_add_co_u32 v26, vcc_lo, s8, v26
	s_delay_alu instid0(VALU_DEP_2) | instskip(SKIP_3) | instid1(VALU_DEP_1)
	v_add_co_ci_u32_e32 v27, vcc_lo, s9, v27, vcc_lo
	global_load_b32 v26, v[26:27], off
	s_waitcnt vmcnt(0)
	v_subrev_nc_u32_e32 v26, s7, v26
	v_sub_nc_u32_e32 v27, 0, v26
	s_delay_alu instid0(VALU_DEP_1) | instskip(NEXT) | instid1(VALU_DEP_1)
	v_max_i32_e32 v27, v26, v27
	v_mul_hi_u32 v28, v27, v21
	s_delay_alu instid0(VALU_DEP_1) | instskip(NEXT) | instid1(VALU_DEP_1)
	v_mul_lo_u32 v29, v28, s13
	v_sub_nc_u32_e32 v27, v27, v29
	v_add_nc_u32_e32 v29, 1, v28
	s_delay_alu instid0(VALU_DEP_2) | instskip(SKIP_1) | instid1(VALU_DEP_2)
	v_subrev_nc_u32_e32 v30, s13, v27
	v_cmp_le_u32_e32 vcc_lo, s13, v27
	v_dual_cndmask_b32 v28, v28, v29 :: v_dual_cndmask_b32 v27, v27, v30
	v_ashrrev_i32_e32 v29, 31, v26
	s_delay_alu instid0(VALU_DEP_2) | instskip(NEXT) | instid1(VALU_DEP_3)
	v_add_nc_u32_e32 v30, 1, v28
	v_cmp_le_u32_e32 vcc_lo, s13, v27
	s_delay_alu instid0(VALU_DEP_3) | instskip(NEXT) | instid1(VALU_DEP_3)
	v_xor_b32_e32 v29, s16, v29
	v_cndmask_b32_e32 v27, v28, v30, vcc_lo
	s_delay_alu instid0(VALU_DEP_1) | instskip(NEXT) | instid1(VALU_DEP_1)
	v_xor_b32_e32 v27, v27, v29
	v_sub_nc_u32_e32 v28, v27, v29
	v_mov_b32_e32 v27, v25
	s_delay_alu instid0(VALU_DEP_2) | instskip(SKIP_1) | instid1(VALU_DEP_1)
	v_cmp_eq_u32_e32 vcc_lo, v28, v24
	v_cmp_ne_u32_e64 s0, v28, v24
	s_and_saveexec_b32 s19, s0
	s_delay_alu instid0(SALU_CYCLE_1)
	s_xor_b32 s0, exec_lo, s19
; %bb.14:                               ;   in Loop: Header=BB74_13 Depth=2
	v_min_i32_e32 v23, v28, v23
                                        ; implicit-def: $vgpr26
                                        ; implicit-def: $vgpr27
; %bb.15:                               ;   in Loop: Header=BB74_13 Depth=2
	s_or_saveexec_b32 s19, s0
	v_mov_b32_e32 v25, v5
	s_xor_b32 exec_lo, exec_lo, s19
	s_cbranch_execz .LBB74_12
; %bb.16:                               ;   in Loop: Header=BB74_13 Depth=2
	v_lshlrev_b64 v[28:29], 3, v[5:6]
	v_sub_nc_u32_e32 v6, v26, v2
	v_mov_b32_e32 v25, v27
	s_delay_alu instid0(VALU_DEP_2) | instskip(NEXT) | instid1(VALU_DEP_4)
	v_add_lshl_u32 v6, v6, v0, 3
	v_add_co_u32 v28, s0, s10, v28
	s_delay_alu instid0(VALU_DEP_1)
	v_add_co_ci_u32_e64 v29, s0, s11, v29, s0
	global_load_b64 v[28:29], v[28:29], off
	ds_store_b8 v7, v22 offset:2048
	s_waitcnt vmcnt(0)
	ds_store_b64 v6, v[28:29]
	s_branch .LBB74_12
.LBB74_17:                              ;   in Loop: Header=BB74_10 Depth=1
	s_or_b32 exec_lo, exec_lo, s18
.LBB74_18:                              ;   in Loop: Header=BB74_10 Depth=1
	s_delay_alu instid0(SALU_CYCLE_1)
	s_or_b32 exec_lo, exec_lo, s17
	ds_bpermute_b32 v2, v11, v25
	s_waitcnt lgkmcnt(0)
	buffer_gl0_inv
	v_min_i32_e32 v2, v2, v25
	ds_load_u8 v25, v7 offset:2048
	ds_bpermute_b32 v5, v12, v2
	s_waitcnt lgkmcnt(0)
	v_min_i32_e32 v2, v5, v2
	ds_bpermute_b32 v5, v13, v2
	s_waitcnt lgkmcnt(0)
	v_min_i32_e32 v2, v5, v2
	ds_bpermute_b32 v6, v14, v2
	v_and_b32_e32 v2, 1, v25
	s_delay_alu instid0(VALU_DEP_1)
	v_cmp_eq_u32_e32 vcc_lo, 1, v2
	v_mov_b32_e32 v2, 0
	s_and_saveexec_b32 s0, vcc_lo
	s_cbranch_execz .LBB74_9
; %bb.19:                               ;   in Loop: Header=BB74_10 Depth=1
	v_ashrrev_i32_e32 v2, 31, v1
	v_add_nc_u32_e32 v5, s12, v24
	s_delay_alu instid0(VALU_DEP_2) | instskip(NEXT) | instid1(VALU_DEP_1)
	v_lshlrev_b64 v[25:26], 2, v[1:2]
	v_add_co_u32 v24, vcc_lo, s2, v25
	s_delay_alu instid0(VALU_DEP_2)
	v_add_co_ci_u32_e32 v25, vcc_lo, s3, v26, vcc_lo
	global_store_b32 v[24:25], v5, off
	s_and_saveexec_b32 s17, s4
	s_cbranch_execz .LBB74_8
; %bb.20:                               ;   in Loop: Header=BB74_10 Depth=1
	v_mul_lo_u32 v5, s14, v1
	v_mul_lo_u32 v2, s15, v2
	v_mad_u64_u32 v[24:25], null, s15, v1, 0
	ds_load_b64 v[26:27], v10
	v_add3_u32 v25, v25, v2, v5
	s_delay_alu instid0(VALU_DEP_1) | instskip(NEXT) | instid1(VALU_DEP_1)
	v_lshlrev_b64 v[24:25], 3, v[24:25]
	v_add_co_u32 v24, vcc_lo, v20, v24
	s_delay_alu instid0(VALU_DEP_2)
	v_add_co_ci_u32_e32 v25, vcc_lo, v19, v25, vcc_lo
	s_waitcnt lgkmcnt(0)
	global_store_b64 v[24:25], v[26:27], off
	s_branch .LBB74_8
.LBB74_21:
	s_endpgm
	.section	.rodata,"a",@progbits
	.p2align	6, 0x0
	.amdhsa_kernel _ZN9rocsparseL42csr2bsr_wavefront_per_row_multipass_kernelILj256ELj64ELj8E21rocsparse_complex_numIfEiiEEv20rocsparse_direction_T4_S4_S4_S4_S4_21rocsparse_index_base_PKT2_PKT3_PKS4_S5_PS6_PS9_PS4_
		.amdhsa_group_segment_fixed_size 2052
		.amdhsa_private_segment_fixed_size 0
		.amdhsa_kernarg_size 88
		.amdhsa_user_sgpr_count 15
		.amdhsa_user_sgpr_dispatch_ptr 0
		.amdhsa_user_sgpr_queue_ptr 0
		.amdhsa_user_sgpr_kernarg_segment_ptr 1
		.amdhsa_user_sgpr_dispatch_id 0
		.amdhsa_user_sgpr_private_segment_size 0
		.amdhsa_wavefront_size32 1
		.amdhsa_uses_dynamic_stack 0
		.amdhsa_enable_private_segment 0
		.amdhsa_system_sgpr_workgroup_id_x 1
		.amdhsa_system_sgpr_workgroup_id_y 0
		.amdhsa_system_sgpr_workgroup_id_z 0
		.amdhsa_system_sgpr_workgroup_info 0
		.amdhsa_system_vgpr_workitem_id 0
		.amdhsa_next_free_vgpr 31
		.amdhsa_next_free_sgpr 20
		.amdhsa_reserve_vcc 1
		.amdhsa_float_round_mode_32 0
		.amdhsa_float_round_mode_16_64 0
		.amdhsa_float_denorm_mode_32 3
		.amdhsa_float_denorm_mode_16_64 3
		.amdhsa_dx10_clamp 1
		.amdhsa_ieee_mode 1
		.amdhsa_fp16_overflow 0
		.amdhsa_workgroup_processor_mode 1
		.amdhsa_memory_ordered 1
		.amdhsa_forward_progress 0
		.amdhsa_shared_vgpr_count 0
		.amdhsa_exception_fp_ieee_invalid_op 0
		.amdhsa_exception_fp_denorm_src 0
		.amdhsa_exception_fp_ieee_div_zero 0
		.amdhsa_exception_fp_ieee_overflow 0
		.amdhsa_exception_fp_ieee_underflow 0
		.amdhsa_exception_fp_ieee_inexact 0
		.amdhsa_exception_int_div_zero 0
	.end_amdhsa_kernel
	.section	.text._ZN9rocsparseL42csr2bsr_wavefront_per_row_multipass_kernelILj256ELj64ELj8E21rocsparse_complex_numIfEiiEEv20rocsparse_direction_T4_S4_S4_S4_S4_21rocsparse_index_base_PKT2_PKT3_PKS4_S5_PS6_PS9_PS4_,"axG",@progbits,_ZN9rocsparseL42csr2bsr_wavefront_per_row_multipass_kernelILj256ELj64ELj8E21rocsparse_complex_numIfEiiEEv20rocsparse_direction_T4_S4_S4_S4_S4_21rocsparse_index_base_PKT2_PKT3_PKS4_S5_PS6_PS9_PS4_,comdat
.Lfunc_end74:
	.size	_ZN9rocsparseL42csr2bsr_wavefront_per_row_multipass_kernelILj256ELj64ELj8E21rocsparse_complex_numIfEiiEEv20rocsparse_direction_T4_S4_S4_S4_S4_21rocsparse_index_base_PKT2_PKT3_PKS4_S5_PS6_PS9_PS4_, .Lfunc_end74-_ZN9rocsparseL42csr2bsr_wavefront_per_row_multipass_kernelILj256ELj64ELj8E21rocsparse_complex_numIfEiiEEv20rocsparse_direction_T4_S4_S4_S4_S4_21rocsparse_index_base_PKT2_PKT3_PKS4_S5_PS6_PS9_PS4_
                                        ; -- End function
	.section	.AMDGPU.csdata,"",@progbits
; Kernel info:
; codeLenInByte = 1612
; NumSgprs: 22
; NumVgprs: 31
; ScratchSize: 0
; MemoryBound: 0
; FloatMode: 240
; IeeeMode: 1
; LDSByteSize: 2052 bytes/workgroup (compile time only)
; SGPRBlocks: 2
; VGPRBlocks: 3
; NumSGPRsForWavesPerEU: 22
; NumVGPRsForWavesPerEU: 31
; Occupancy: 16
; WaveLimiterHint : 0
; COMPUTE_PGM_RSRC2:SCRATCH_EN: 0
; COMPUTE_PGM_RSRC2:USER_SGPR: 15
; COMPUTE_PGM_RSRC2:TRAP_HANDLER: 0
; COMPUTE_PGM_RSRC2:TGID_X_EN: 1
; COMPUTE_PGM_RSRC2:TGID_Y_EN: 0
; COMPUTE_PGM_RSRC2:TGID_Z_EN: 0
; COMPUTE_PGM_RSRC2:TIDIG_COMP_CNT: 0
	.section	.text._ZN9rocsparseL42csr2bsr_wavefront_per_row_multipass_kernelILj256ELj32ELj8E21rocsparse_complex_numIfEiiEEv20rocsparse_direction_T4_S4_S4_S4_S4_21rocsparse_index_base_PKT2_PKT3_PKS4_S5_PS6_PS9_PS4_,"axG",@progbits,_ZN9rocsparseL42csr2bsr_wavefront_per_row_multipass_kernelILj256ELj32ELj8E21rocsparse_complex_numIfEiiEEv20rocsparse_direction_T4_S4_S4_S4_S4_21rocsparse_index_base_PKT2_PKT3_PKS4_S5_PS6_PS9_PS4_,comdat
	.globl	_ZN9rocsparseL42csr2bsr_wavefront_per_row_multipass_kernelILj256ELj32ELj8E21rocsparse_complex_numIfEiiEEv20rocsparse_direction_T4_S4_S4_S4_S4_21rocsparse_index_base_PKT2_PKT3_PKS4_S5_PS6_PS9_PS4_ ; -- Begin function _ZN9rocsparseL42csr2bsr_wavefront_per_row_multipass_kernelILj256ELj32ELj8E21rocsparse_complex_numIfEiiEEv20rocsparse_direction_T4_S4_S4_S4_S4_21rocsparse_index_base_PKT2_PKT3_PKS4_S5_PS6_PS9_PS4_
	.p2align	8
	.type	_ZN9rocsparseL42csr2bsr_wavefront_per_row_multipass_kernelILj256ELj32ELj8E21rocsparse_complex_numIfEiiEEv20rocsparse_direction_T4_S4_S4_S4_S4_21rocsparse_index_base_PKT2_PKT3_PKS4_S5_PS6_PS9_PS4_,@function
_ZN9rocsparseL42csr2bsr_wavefront_per_row_multipass_kernelILj256ELj32ELj8E21rocsparse_complex_numIfEiiEEv20rocsparse_direction_T4_S4_S4_S4_S4_21rocsparse_index_base_PKT2_PKT3_PKS4_S5_PS6_PS9_PS4_: ; @_ZN9rocsparseL42csr2bsr_wavefront_per_row_multipass_kernelILj256ELj32ELj8E21rocsparse_complex_numIfEiiEEv20rocsparse_direction_T4_S4_S4_S4_S4_21rocsparse_index_base_PKT2_PKT3_PKS4_S5_PS6_PS9_PS4_
; %bb.0:
	s_clause 0x1
	s_load_b128 s[4:7], s[0:1], 0xc
	s_load_b64 s[16:17], s[0:1], 0x0
	v_lshrrev_b32_e32 v12, 5, v0
	v_bfe_u32 v2, v0, 2, 3
	s_load_b64 s[8:9], s[0:1], 0x28
	v_dual_mov_b32 v13, 0 :: v_dual_mov_b32 v10, 0
	s_delay_alu instid0(VALU_DEP_3) | instskip(SKIP_1) | instid1(VALU_DEP_1)
	v_lshl_or_b32 v3, s15, 3, v12
	s_waitcnt lgkmcnt(0)
	v_mad_u64_u32 v[4:5], null, v3, s6, v[2:3]
	v_cmp_gt_i32_e64 s2, s6, v2
	s_delay_alu instid0(VALU_DEP_2) | instskip(NEXT) | instid1(VALU_DEP_2)
	v_cmp_gt_i32_e32 vcc_lo, s17, v4
	s_and_b32 s3, s2, vcc_lo
	s_delay_alu instid0(SALU_CYCLE_1)
	s_and_saveexec_b32 s10, s3
	s_cbranch_execz .LBB75_2
; %bb.1:
	v_ashrrev_i32_e32 v5, 31, v4
	s_delay_alu instid0(VALU_DEP_1) | instskip(NEXT) | instid1(VALU_DEP_1)
	v_lshlrev_b64 v[5:6], 2, v[4:5]
	v_add_co_u32 v5, vcc_lo, s8, v5
	s_delay_alu instid0(VALU_DEP_2)
	v_add_co_ci_u32_e32 v6, vcc_lo, s9, v6, vcc_lo
	global_load_b32 v1, v[5:6], off
	s_waitcnt vmcnt(0)
	v_subrev_nc_u32_e32 v10, s7, v1
.LBB75_2:
	s_or_b32 exec_lo, exec_lo, s10
	s_and_saveexec_b32 s10, s3
	s_cbranch_execz .LBB75_4
; %bb.3:
	v_ashrrev_i32_e32 v5, 31, v4
	s_delay_alu instid0(VALU_DEP_1) | instskip(NEXT) | instid1(VALU_DEP_1)
	v_lshlrev_b64 v[4:5], 2, v[4:5]
	v_add_co_u32 v4, vcc_lo, s8, v4
	s_delay_alu instid0(VALU_DEP_2)
	v_add_co_ci_u32_e32 v5, vcc_lo, s9, v5, vcc_lo
	global_load_b32 v1, v[4:5], off offset:4
	s_waitcnt vmcnt(0)
	v_subrev_nc_u32_e32 v13, s7, v1
.LBB75_4:
	s_or_b32 exec_lo, exec_lo, s10
	s_load_b32 s3, s[0:1], 0x38
	v_cmp_gt_i32_e32 vcc_lo, s4, v3
	v_mov_b32_e32 v1, 0
	s_and_saveexec_b32 s4, vcc_lo
	s_cbranch_execz .LBB75_6
; %bb.5:
	s_load_b64 s[8:9], s[0:1], 0x48
	v_ashrrev_i32_e32 v4, 31, v3
	s_delay_alu instid0(VALU_DEP_1) | instskip(SKIP_1) | instid1(VALU_DEP_1)
	v_lshlrev_b64 v[3:4], 2, v[3:4]
	s_waitcnt lgkmcnt(0)
	v_add_co_u32 v3, vcc_lo, s8, v3
	s_delay_alu instid0(VALU_DEP_2)
	v_add_co_ci_u32_e32 v4, vcc_lo, s9, v4, vcc_lo
	global_load_b32 v1, v[3:4], off
	s_waitcnt vmcnt(0)
	v_subrev_nc_u32_e32 v1, s3, v1
.LBB75_6:
	s_or_b32 exec_lo, exec_lo, s4
	s_cmp_lt_i32 s5, 1
	s_cbranch_scc1 .LBB75_23
; %bb.7:
	v_mbcnt_lo_u32_b32 v6, -1, 0
	s_clause 0x2
	s_load_b64 s[10:11], s[0:1], 0x50
	s_load_b64 s[18:19], s[0:1], 0x40
	;; [unrolled: 1-line block ×3, first 2 shown]
	s_cmp_eq_u32 s16, 0
	s_mov_b32 s14, 0
	s_load_b64 s[8:9], s[0:1], 0x20
	v_xor_b32_e32 v3, 2, v6
	v_xor_b32_e32 v4, 1, v6
	s_mov_b32 s15, s14
	v_lshl_or_b32 v17, v6, 2, 12
	v_mov_b32_e32 v31, 0
	v_cmp_gt_i32_e32 vcc_lo, 32, v3
	v_and_b32_e32 v0, 3, v0
	s_mul_hi_u32 s16, s6, s6
	s_mul_i32 s17, s6, s6
	v_dual_mov_b32 v28, 1 :: v_dual_cndmask_b32 v3, v6, v3
	v_cmp_gt_i32_e32 vcc_lo, 32, v4
	v_lshlrev_b32_e32 v7, 3, v2
	v_mul_lo_u32 v2, v2, s6
	v_lshlrev_b32_e32 v29, 3, v0
	v_dual_cndmask_b32 v4, v6, v4 :: v_dual_lshlrev_b32 v15, 2, v3
	s_cselect_b32 vcc_lo, -1, 0
	s_abs_i32 s4, s6
	v_mov_b32_e32 v3, 0
	v_cvt_f32_u32_e32 v5, s4
	v_lshlrev_b32_e32 v16, 2, v4
	s_waitcnt lgkmcnt(0)
	v_add_co_u32 v18, s0, s18, v7
	s_delay_alu instid0(VALU_DEP_1)
	v_add_co_ci_u32_e64 v19, null, s19, 0, s0
	v_rcp_iflag_f32_e32 v8, v5
	v_lshlrev_b64 v[4:5], 3, v[2:3]
	v_xor_b32_e32 v2, 16, v6
	v_lshl_or_b32 v14, v12, 6, v7
	s_sub_i32 s1, 0, s4
	v_mov_b32_e32 v9, v3
	v_mov_b32_e32 v25, 0x7c
	v_add_co_u32 v20, s0, s18, v4
	s_delay_alu instid0(VALU_DEP_1) | instskip(SKIP_3) | instid1(VALU_DEP_2)
	v_add_co_ci_u32_e64 v21, s0, s19, v5, s0
	v_cmp_gt_i32_e64 s0, 32, v2
	v_xor_b32_e32 v4, 8, v6
	s_ashr_i32 s18, s6, 31
	v_cndmask_b32_e64 v2, v6, v2, s0
	v_mul_f32_e32 v7, 0x4f7ffffe, v8
	s_delay_alu instid0(VALU_DEP_3) | instskip(NEXT) | instid1(VALU_DEP_3)
	v_cmp_gt_i32_e64 s0, 32, v4
	v_lshlrev_b32_e32 v22, 2, v2
	s_delay_alu instid0(VALU_DEP_3) | instskip(SKIP_1) | instid1(VALU_DEP_4)
	v_cvt_u32_f32_e32 v5, v7
	v_xor_b32_e32 v7, 4, v6
	v_cndmask_b32_e64 v4, v6, v4, s0
	v_mul_lo_u32 v2, v0, s6
	s_delay_alu instid0(VALU_DEP_4) | instskip(NEXT) | instid1(VALU_DEP_4)
	v_mul_lo_u32 v8, s1, v5
	v_cmp_gt_i32_e64 s0, 32, v7
	s_delay_alu instid0(VALU_DEP_4) | instskip(SKIP_1) | instid1(VALU_DEP_3)
	v_lshlrev_b32_e32 v23, 2, v4
	v_or_b32_e32 v4, v14, v0
	v_cndmask_b32_e64 v6, v6, v7, s0
	v_cmp_gt_u32_e64 s0, s6, v0
	v_mul_hi_u32 v7, v5, v8
	s_delay_alu instid0(VALU_DEP_4) | instskip(SKIP_3) | instid1(VALU_DEP_3)
	v_lshlrev_b32_e32 v26, 3, v4
	v_lshl_add_u32 v8, s6, 2, v2
	v_lshlrev_b32_e32 v24, 2, v6
	v_or_b32_e32 v6, 4, v0
	v_lshlrev_b64 v[8:9], 3, v[8:9]
	v_add_nc_u32_e32 v27, v5, v7
	s_delay_alu instid0(VALU_DEP_3)
	v_cmp_gt_u32_e64 s1, s6, v6
	v_mov_b32_e32 v4, s14
	v_lshlrev_b64 v[6:7], 3, v[2:3]
	v_mov_b32_e32 v5, s15
	s_and_b32 s15, s0, s2
	s_and_b32 s2, s2, s1
	s_branch .LBB75_10
.LBB75_8:                               ;   in Loop: Header=BB75_10 Depth=1
	s_or_b32 exec_lo, exec_lo, s19
	v_mov_b32_e32 v2, 1
.LBB75_9:                               ;   in Loop: Header=BB75_10 Depth=1
	s_or_b32 exec_lo, exec_lo, s1
	ds_bpermute_b32 v11, v22, v30
	v_add_nc_u32_e32 v1, v2, v1
	s_waitcnt lgkmcnt(0)
	s_waitcnt_vscnt null, 0x0
	buffer_gl0_inv
	buffer_gl0_inv
	v_min_i32_e32 v11, v11, v30
	ds_bpermute_b32 v30, v23, v11
	s_waitcnt lgkmcnt(0)
	v_min_i32_e32 v11, v30, v11
	ds_bpermute_b32 v30, v24, v11
	s_waitcnt lgkmcnt(0)
	v_min_i32_e32 v11, v30, v11
	ds_bpermute_b32 v30, v15, v11
	s_waitcnt lgkmcnt(0)
	v_min_i32_e32 v11, v30, v11
	ds_bpermute_b32 v30, v16, v11
	s_waitcnt lgkmcnt(0)
	v_min_i32_e32 v11, v30, v11
	ds_bpermute_b32 v31, v25, v11
	s_waitcnt lgkmcnt(0)
	v_cmp_le_i32_e64 s0, s5, v31
	s_delay_alu instid0(VALU_DEP_1) | instskip(NEXT) | instid1(SALU_CYCLE_1)
	s_or_b32 s14, s0, s14
	s_and_not1_b32 exec_lo, exec_lo, s14
	s_cbranch_execz .LBB75_23
.LBB75_10:                              ; =>This Loop Header: Depth=1
                                        ;     Child Loop BB75_13 Depth 2
	v_add_nc_u32_e32 v10, v10, v0
	v_mov_b32_e32 v30, s5
	v_mov_b32_e32 v32, v13
	s_mov_b32 s19, exec_lo
	ds_store_b8 v12, v3 offset:4096
	ds_store_2addr_b64 v26, v[4:5], v[4:5] offset1:4
	s_waitcnt lgkmcnt(0)
	buffer_gl0_inv
	v_cmpx_lt_i32_e64 v10, v13
	s_cbranch_execz .LBB75_18
; %bb.11:                               ;   in Loop: Header=BB75_10 Depth=1
	v_mul_lo_u32 v2, v31, s6
	v_mov_b32_e32 v30, s5
	v_mov_b32_e32 v32, v13
	s_mov_b32 s20, 0
	s_branch .LBB75_13
.LBB75_12:                              ;   in Loop: Header=BB75_13 Depth=2
	s_or_b32 exec_lo, exec_lo, s21
	v_add_nc_u32_e32 v10, 4, v10
	s_xor_b32 s0, s0, -1
	s_delay_alu instid0(VALU_DEP_1) | instskip(NEXT) | instid1(VALU_DEP_1)
	v_cmp_ge_i32_e64 s1, v10, v13
	s_or_b32 s0, s0, s1
	s_delay_alu instid0(SALU_CYCLE_1) | instskip(NEXT) | instid1(SALU_CYCLE_1)
	s_and_b32 s0, exec_lo, s0
	s_or_b32 s20, s0, s20
	s_delay_alu instid0(SALU_CYCLE_1)
	s_and_not1_b32 exec_lo, exec_lo, s20
	s_cbranch_execz .LBB75_17
.LBB75_13:                              ;   Parent Loop BB75_10 Depth=1
                                        ; =>  This Inner Loop Header: Depth=2
	v_ashrrev_i32_e32 v11, 31, v10
	s_delay_alu instid0(VALU_DEP_1) | instskip(NEXT) | instid1(VALU_DEP_1)
	v_lshlrev_b64 v[33:34], 2, v[10:11]
	v_add_co_u32 v33, s0, s12, v33
	s_delay_alu instid0(VALU_DEP_1) | instskip(SKIP_3) | instid1(VALU_DEP_1)
	v_add_co_ci_u32_e64 v34, s0, s13, v34, s0
	global_load_b32 v33, v[33:34], off
	s_waitcnt vmcnt(0)
	v_subrev_nc_u32_e32 v33, s7, v33
	v_sub_nc_u32_e32 v34, 0, v33
	s_delay_alu instid0(VALU_DEP_1) | instskip(NEXT) | instid1(VALU_DEP_1)
	v_max_i32_e32 v34, v33, v34
	v_mul_hi_u32 v35, v34, v27
	s_delay_alu instid0(VALU_DEP_1) | instskip(NEXT) | instid1(VALU_DEP_1)
	v_mul_lo_u32 v36, v35, s4
	v_sub_nc_u32_e32 v34, v34, v36
	v_add_nc_u32_e32 v36, 1, v35
	s_delay_alu instid0(VALU_DEP_2) | instskip(SKIP_1) | instid1(VALU_DEP_1)
	v_subrev_nc_u32_e32 v37, s4, v34
	v_cmp_le_u32_e64 s0, s4, v34
	v_cndmask_b32_e64 v35, v35, v36, s0
	s_delay_alu instid0(VALU_DEP_3) | instskip(SKIP_1) | instid1(VALU_DEP_3)
	v_cndmask_b32_e64 v34, v34, v37, s0
	v_ashrrev_i32_e32 v36, 31, v33
	v_add_nc_u32_e32 v37, 1, v35
	s_delay_alu instid0(VALU_DEP_3) | instskip(NEXT) | instid1(VALU_DEP_3)
	v_cmp_le_u32_e64 s0, s4, v34
	v_xor_b32_e32 v36, s18, v36
	s_delay_alu instid0(VALU_DEP_2) | instskip(NEXT) | instid1(VALU_DEP_1)
	v_cndmask_b32_e64 v34, v35, v37, s0
	v_xor_b32_e32 v34, v34, v36
	s_delay_alu instid0(VALU_DEP_1) | instskip(SKIP_1) | instid1(VALU_DEP_2)
	v_sub_nc_u32_e32 v35, v34, v36
	v_mov_b32_e32 v34, v32
	v_cmp_eq_u32_e64 s0, v35, v31
	v_cmp_ne_u32_e64 s1, v35, v31
	s_delay_alu instid0(VALU_DEP_1) | instskip(NEXT) | instid1(SALU_CYCLE_1)
	s_and_saveexec_b32 s21, s1
	s_xor_b32 s1, exec_lo, s21
; %bb.14:                               ;   in Loop: Header=BB75_13 Depth=2
	v_min_i32_e32 v30, v35, v30
                                        ; implicit-def: $vgpr33
                                        ; implicit-def: $vgpr34
; %bb.15:                               ;   in Loop: Header=BB75_13 Depth=2
	s_or_saveexec_b32 s21, s1
	v_mov_b32_e32 v32, v10
	s_xor_b32 exec_lo, exec_lo, s21
	s_cbranch_execz .LBB75_12
; %bb.16:                               ;   in Loop: Header=BB75_13 Depth=2
	v_lshlrev_b64 v[35:36], 3, v[10:11]
	v_sub_nc_u32_e32 v11, v33, v2
	v_mov_b32_e32 v32, v34
	s_delay_alu instid0(VALU_DEP_2) | instskip(NEXT) | instid1(VALU_DEP_4)
	v_add_lshl_u32 v11, v14, v11, 3
	v_add_co_u32 v35, s1, s8, v35
	s_delay_alu instid0(VALU_DEP_1)
	v_add_co_ci_u32_e64 v36, s1, s9, v36, s1
	global_load_b64 v[35:36], v[35:36], off
	ds_store_b8 v12, v28 offset:4096
	s_waitcnt vmcnt(0)
	ds_store_b64 v11, v[35:36]
	s_branch .LBB75_12
.LBB75_17:                              ;   in Loop: Header=BB75_10 Depth=1
	s_or_b32 exec_lo, exec_lo, s20
.LBB75_18:                              ;   in Loop: Header=BB75_10 Depth=1
	s_delay_alu instid0(SALU_CYCLE_1)
	s_or_b32 exec_lo, exec_lo, s19
	ds_bpermute_b32 v2, v15, v32
	s_waitcnt lgkmcnt(0)
	buffer_gl0_inv
	ds_load_u8 v11, v12 offset:4096
	v_min_i32_e32 v2, v2, v32
	ds_bpermute_b32 v10, v16, v2
	s_waitcnt lgkmcnt(0)
	v_min_i32_e32 v2, v10, v2
	ds_bpermute_b32 v10, v17, v2
	v_and_b32_e32 v2, 1, v11
	s_delay_alu instid0(VALU_DEP_1) | instskip(SKIP_1) | instid1(VALU_DEP_2)
	v_cmp_eq_u32_e64 s0, 1, v2
	v_mov_b32_e32 v2, 0
	s_and_saveexec_b32 s1, s0
	s_cbranch_execz .LBB75_9
; %bb.19:                               ;   in Loop: Header=BB75_10 Depth=1
	v_ashrrev_i32_e32 v2, 31, v1
	v_mul_lo_u32 v11, s16, v1
	v_mad_u64_u32 v[32:33], null, s17, v1, 0
	v_add_nc_u32_e32 v36, s3, v31
	s_delay_alu instid0(VALU_DEP_4) | instskip(NEXT) | instid1(VALU_DEP_1)
	v_mul_lo_u32 v34, s17, v2
	v_add3_u32 v33, v33, v34, v11
	v_lshlrev_b64 v[34:35], 2, v[1:2]
	s_delay_alu instid0(VALU_DEP_2) | instskip(NEXT) | instid1(VALU_DEP_2)
	v_lshlrev_b64 v[31:32], 3, v[32:33]
	v_add_co_u32 v33, s0, s10, v34
	s_delay_alu instid0(VALU_DEP_1) | instskip(NEXT) | instid1(VALU_DEP_3)
	v_add_co_ci_u32_e64 v34, s0, s11, v35, s0
	v_add_co_u32 v2, s0, v18, v31
	s_delay_alu instid0(VALU_DEP_1) | instskip(SKIP_1) | instid1(VALU_DEP_1)
	v_add_co_ci_u32_e64 v11, s0, v19, v32, s0
	v_add_co_u32 v31, s0, v20, v31
	v_add_co_ci_u32_e64 v32, s0, v21, v32, s0
	global_store_b32 v[33:34], v36, off
	s_and_saveexec_b32 s19, s15
	s_cbranch_execz .LBB75_21
; %bb.20:                               ;   in Loop: Header=BB75_10 Depth=1
	ds_load_b64 v[33:34], v26
	v_add_co_u32 v35, s0, v2, v6
	s_delay_alu instid0(VALU_DEP_1) | instskip(SKIP_1) | instid1(VALU_DEP_1)
	v_add_co_ci_u32_e64 v36, s0, v11, v7, s0
	v_add_co_u32 v37, s0, v31, v29
	v_add_co_ci_u32_e64 v38, s0, 0, v32, s0
	s_delay_alu instid0(VALU_DEP_1)
	v_dual_cndmask_b32 v35, v35, v37 :: v_dual_cndmask_b32 v36, v36, v38
	s_waitcnt lgkmcnt(0)
	global_store_b64 v[35:36], v[33:34], off
.LBB75_21:                              ;   in Loop: Header=BB75_10 Depth=1
	s_or_b32 exec_lo, exec_lo, s19
	s_and_saveexec_b32 s19, s2
	s_cbranch_execz .LBB75_8
; %bb.22:                               ;   in Loop: Header=BB75_10 Depth=1
	v_add_co_u32 v33, s0, v31, v29
	s_delay_alu instid0(VALU_DEP_1) | instskip(SKIP_2) | instid1(VALU_DEP_1)
	v_add_co_ci_u32_e64 v34, s0, 0, v32, s0
	ds_load_b64 v[31:32], v26 offset:32
	v_add_co_u32 v33, s0, v33, 32
	v_add_co_ci_u32_e64 v34, s0, 0, v34, s0
	v_add_co_u32 v2, s0, v2, v8
	s_delay_alu instid0(VALU_DEP_1) | instskip(NEXT) | instid1(VALU_DEP_1)
	v_add_co_ci_u32_e64 v11, s0, v11, v9, s0
	v_dual_cndmask_b32 v33, v2, v33 :: v_dual_cndmask_b32 v34, v11, v34
	s_waitcnt lgkmcnt(0)
	global_store_b64 v[33:34], v[31:32], off
	s_branch .LBB75_8
.LBB75_23:
	s_endpgm
	.section	.rodata,"a",@progbits
	.p2align	6, 0x0
	.amdhsa_kernel _ZN9rocsparseL42csr2bsr_wavefront_per_row_multipass_kernelILj256ELj32ELj8E21rocsparse_complex_numIfEiiEEv20rocsparse_direction_T4_S4_S4_S4_S4_21rocsparse_index_base_PKT2_PKT3_PKS4_S5_PS6_PS9_PS4_
		.amdhsa_group_segment_fixed_size 4104
		.amdhsa_private_segment_fixed_size 0
		.amdhsa_kernarg_size 88
		.amdhsa_user_sgpr_count 15
		.amdhsa_user_sgpr_dispatch_ptr 0
		.amdhsa_user_sgpr_queue_ptr 0
		.amdhsa_user_sgpr_kernarg_segment_ptr 1
		.amdhsa_user_sgpr_dispatch_id 0
		.amdhsa_user_sgpr_private_segment_size 0
		.amdhsa_wavefront_size32 1
		.amdhsa_uses_dynamic_stack 0
		.amdhsa_enable_private_segment 0
		.amdhsa_system_sgpr_workgroup_id_x 1
		.amdhsa_system_sgpr_workgroup_id_y 0
		.amdhsa_system_sgpr_workgroup_id_z 0
		.amdhsa_system_sgpr_workgroup_info 0
		.amdhsa_system_vgpr_workitem_id 0
		.amdhsa_next_free_vgpr 39
		.amdhsa_next_free_sgpr 22
		.amdhsa_reserve_vcc 1
		.amdhsa_float_round_mode_32 0
		.amdhsa_float_round_mode_16_64 0
		.amdhsa_float_denorm_mode_32 3
		.amdhsa_float_denorm_mode_16_64 3
		.amdhsa_dx10_clamp 1
		.amdhsa_ieee_mode 1
		.amdhsa_fp16_overflow 0
		.amdhsa_workgroup_processor_mode 1
		.amdhsa_memory_ordered 1
		.amdhsa_forward_progress 0
		.amdhsa_shared_vgpr_count 0
		.amdhsa_exception_fp_ieee_invalid_op 0
		.amdhsa_exception_fp_denorm_src 0
		.amdhsa_exception_fp_ieee_div_zero 0
		.amdhsa_exception_fp_ieee_overflow 0
		.amdhsa_exception_fp_ieee_underflow 0
		.amdhsa_exception_fp_ieee_inexact 0
		.amdhsa_exception_int_div_zero 0
	.end_amdhsa_kernel
	.section	.text._ZN9rocsparseL42csr2bsr_wavefront_per_row_multipass_kernelILj256ELj32ELj8E21rocsparse_complex_numIfEiiEEv20rocsparse_direction_T4_S4_S4_S4_S4_21rocsparse_index_base_PKT2_PKT3_PKS4_S5_PS6_PS9_PS4_,"axG",@progbits,_ZN9rocsparseL42csr2bsr_wavefront_per_row_multipass_kernelILj256ELj32ELj8E21rocsparse_complex_numIfEiiEEv20rocsparse_direction_T4_S4_S4_S4_S4_21rocsparse_index_base_PKT2_PKT3_PKS4_S5_PS6_PS9_PS4_,comdat
.Lfunc_end75:
	.size	_ZN9rocsparseL42csr2bsr_wavefront_per_row_multipass_kernelILj256ELj32ELj8E21rocsparse_complex_numIfEiiEEv20rocsparse_direction_T4_S4_S4_S4_S4_21rocsparse_index_base_PKT2_PKT3_PKS4_S5_PS6_PS9_PS4_, .Lfunc_end75-_ZN9rocsparseL42csr2bsr_wavefront_per_row_multipass_kernelILj256ELj32ELj8E21rocsparse_complex_numIfEiiEEv20rocsparse_direction_T4_S4_S4_S4_S4_21rocsparse_index_base_PKT2_PKT3_PKS4_S5_PS6_PS9_PS4_
                                        ; -- End function
	.section	.AMDGPU.csdata,"",@progbits
; Kernel info:
; codeLenInByte = 1748
; NumSgprs: 24
; NumVgprs: 39
; ScratchSize: 0
; MemoryBound: 0
; FloatMode: 240
; IeeeMode: 1
; LDSByteSize: 4104 bytes/workgroup (compile time only)
; SGPRBlocks: 2
; VGPRBlocks: 4
; NumSGPRsForWavesPerEU: 24
; NumVGPRsForWavesPerEU: 39
; Occupancy: 16
; WaveLimiterHint : 0
; COMPUTE_PGM_RSRC2:SCRATCH_EN: 0
; COMPUTE_PGM_RSRC2:USER_SGPR: 15
; COMPUTE_PGM_RSRC2:TRAP_HANDLER: 0
; COMPUTE_PGM_RSRC2:TGID_X_EN: 1
; COMPUTE_PGM_RSRC2:TGID_Y_EN: 0
; COMPUTE_PGM_RSRC2:TGID_Z_EN: 0
; COMPUTE_PGM_RSRC2:TIDIG_COMP_CNT: 0
	.section	.text._ZN9rocsparseL42csr2bsr_wavefront_per_row_multipass_kernelILj256ELj64ELj16E21rocsparse_complex_numIfEiiEEv20rocsparse_direction_T4_S4_S4_S4_S4_21rocsparse_index_base_PKT2_PKT3_PKS4_S5_PS6_PS9_PS4_,"axG",@progbits,_ZN9rocsparseL42csr2bsr_wavefront_per_row_multipass_kernelILj256ELj64ELj16E21rocsparse_complex_numIfEiiEEv20rocsparse_direction_T4_S4_S4_S4_S4_21rocsparse_index_base_PKT2_PKT3_PKS4_S5_PS6_PS9_PS4_,comdat
	.globl	_ZN9rocsparseL42csr2bsr_wavefront_per_row_multipass_kernelILj256ELj64ELj16E21rocsparse_complex_numIfEiiEEv20rocsparse_direction_T4_S4_S4_S4_S4_21rocsparse_index_base_PKT2_PKT3_PKS4_S5_PS6_PS9_PS4_ ; -- Begin function _ZN9rocsparseL42csr2bsr_wavefront_per_row_multipass_kernelILj256ELj64ELj16E21rocsparse_complex_numIfEiiEEv20rocsparse_direction_T4_S4_S4_S4_S4_21rocsparse_index_base_PKT2_PKT3_PKS4_S5_PS6_PS9_PS4_
	.p2align	8
	.type	_ZN9rocsparseL42csr2bsr_wavefront_per_row_multipass_kernelILj256ELj64ELj16E21rocsparse_complex_numIfEiiEEv20rocsparse_direction_T4_S4_S4_S4_S4_21rocsparse_index_base_PKT2_PKT3_PKS4_S5_PS6_PS9_PS4_,@function
_ZN9rocsparseL42csr2bsr_wavefront_per_row_multipass_kernelILj256ELj64ELj16E21rocsparse_complex_numIfEiiEEv20rocsparse_direction_T4_S4_S4_S4_S4_21rocsparse_index_base_PKT2_PKT3_PKS4_S5_PS6_PS9_PS4_: ; @_ZN9rocsparseL42csr2bsr_wavefront_per_row_multipass_kernelILj256ELj64ELj16E21rocsparse_complex_numIfEiiEEv20rocsparse_direction_T4_S4_S4_S4_S4_21rocsparse_index_base_PKT2_PKT3_PKS4_S5_PS6_PS9_PS4_
; %bb.0:
	s_clause 0x1
	s_load_b128 s[4:7], s[0:1], 0xc
	s_load_b64 s[16:17], s[0:1], 0x0
	v_lshrrev_b32_e32 v16, 6, v0
	v_bfe_u32 v4, v0, 2, 4
	s_load_b64 s[8:9], s[0:1], 0x28
	v_dual_mov_b32 v17, 0 :: v_dual_mov_b32 v14, 0
	s_delay_alu instid0(VALU_DEP_3) | instskip(SKIP_1) | instid1(VALU_DEP_1)
	v_lshl_or_b32 v2, s15, 2, v16
	s_waitcnt lgkmcnt(0)
	v_mad_u64_u32 v[5:6], null, v2, s6, v[4:5]
	v_cmp_gt_i32_e64 s2, s6, v4
	s_delay_alu instid0(VALU_DEP_2) | instskip(NEXT) | instid1(VALU_DEP_2)
	v_cmp_gt_i32_e32 vcc_lo, s17, v5
	s_and_b32 s3, s2, vcc_lo
	s_delay_alu instid0(SALU_CYCLE_1)
	s_and_saveexec_b32 s10, s3
	s_cbranch_execz .LBB76_2
; %bb.1:
	v_ashrrev_i32_e32 v6, 31, v5
	s_delay_alu instid0(VALU_DEP_1) | instskip(NEXT) | instid1(VALU_DEP_1)
	v_lshlrev_b64 v[6:7], 2, v[5:6]
	v_add_co_u32 v6, vcc_lo, s8, v6
	s_delay_alu instid0(VALU_DEP_2)
	v_add_co_ci_u32_e32 v7, vcc_lo, s9, v7, vcc_lo
	global_load_b32 v1, v[6:7], off
	s_waitcnt vmcnt(0)
	v_subrev_nc_u32_e32 v14, s7, v1
.LBB76_2:
	s_or_b32 exec_lo, exec_lo, s10
	s_and_saveexec_b32 s10, s3
	s_cbranch_execz .LBB76_4
; %bb.3:
	v_ashrrev_i32_e32 v6, 31, v5
	s_delay_alu instid0(VALU_DEP_1) | instskip(NEXT) | instid1(VALU_DEP_1)
	v_lshlrev_b64 v[5:6], 2, v[5:6]
	v_add_co_u32 v5, vcc_lo, s8, v5
	s_delay_alu instid0(VALU_DEP_2)
	v_add_co_ci_u32_e32 v6, vcc_lo, s9, v6, vcc_lo
	global_load_b32 v1, v[5:6], off offset:4
	s_waitcnt vmcnt(0)
	v_subrev_nc_u32_e32 v17, s7, v1
.LBB76_4:
	s_or_b32 exec_lo, exec_lo, s10
	s_load_b32 s17, s[0:1], 0x38
	v_mov_b32_e32 v1, 0
	s_mov_b32 s3, exec_lo
	v_cmpx_gt_i32_e64 s4, v2
	s_cbranch_execz .LBB76_6
; %bb.5:
	s_load_b64 s[8:9], s[0:1], 0x48
	v_ashrrev_i32_e32 v3, 31, v2
	s_delay_alu instid0(VALU_DEP_1) | instskip(SKIP_1) | instid1(VALU_DEP_1)
	v_lshlrev_b64 v[1:2], 2, v[2:3]
	s_waitcnt lgkmcnt(0)
	v_add_co_u32 v1, vcc_lo, s8, v1
	s_delay_alu instid0(VALU_DEP_2)
	v_add_co_ci_u32_e32 v2, vcc_lo, s9, v2, vcc_lo
	global_load_b32 v1, v[1:2], off
	s_waitcnt vmcnt(0)
	v_subrev_nc_u32_e32 v1, s17, v1
.LBB76_6:
	s_or_b32 exec_lo, exec_lo, s3
	s_cmp_lt_i32 s5, 1
	s_cbranch_scc1 .LBB76_27
; %bb.7:
	v_mbcnt_lo_u32_b32 v6, -1, 0
	s_clause 0x2
	s_load_b64 s[10:11], s[0:1], 0x50
	s_load_b64 s[20:21], s[0:1], 0x40
	;; [unrolled: 1-line block ×3, first 2 shown]
	s_mov_b32 s14, 0
	v_dual_mov_b32 v36, 0 :: v_dual_lshlrev_b32 v7, 3, v4
	v_xor_b32_e32 v2, 2, v6
	v_xor_b32_e32 v3, 1, v6
	s_load_b64 s[8:9], s[0:1], 0x20
	s_cmp_eq_u32 s16, 0
	v_xor_b32_e32 v8, 4, v6
	v_cmp_gt_i32_e32 vcc_lo, 32, v2
	v_lshlrev_b32_e32 v5, 8, v16
	v_lshl_or_b32 v21, v6, 2, 12
	v_bfrev_b32_e32 v30, 0.5
	s_mul_hi_u32 s16, s6, s6
	v_cndmask_b32_e32 v2, v6, v2, vcc_lo
	v_cmp_gt_i32_e32 vcc_lo, 32, v3
	v_lshl_or_b32 v18, v4, 4, v5
	s_mul_i32 s18, s6, s6
	v_and_b32_e32 v0, 3, v0
	v_lshlrev_b32_e32 v19, 2, v2
	v_cndmask_b32_e32 v3, v6, v3, vcc_lo
	v_mul_lo_u32 v2, v4, s6
	s_waitcnt lgkmcnt(0)
	v_add_co_u32 v22, s0, s20, v7
	s_delay_alu instid0(VALU_DEP_1)
	v_add_co_ci_u32_e64 v23, null, s21, 0, s0
	v_dual_mov_b32 v3, 0 :: v_dual_lshlrev_b32 v20, 2, v3
	s_cselect_b32 vcc_lo, -1, 0
	s_abs_i32 s19, s6
	v_xor_b32_e32 v7, 8, v6
	s_sub_i32 s1, 0, s19
	v_lshlrev_b64 v[4:5], 3, v[2:3]
	v_or_b32_e32 v2, 32, v6
	s_lshl_b32 s15, s6, 2
	v_dual_mov_b32 v9, v3 :: v_dual_lshlrev_b32 v34, 3, v0
	v_mov_b32_e32 v11, v3
	s_delay_alu instid0(VALU_DEP_4) | instskip(NEXT) | instid1(VALU_DEP_1)
	v_add_co_u32 v24, s0, s20, v4
	v_add_co_ci_u32_e64 v25, s0, s21, v5, s0
	v_xor_b32_e32 v4, 16, v6
	v_cmp_gt_i32_e64 s0, 32, v2
	v_cvt_f32_u32_e32 v5, s19
	v_mov_b32_e32 v13, v3
	v_mov_b32_e32 v33, 1
	s_delay_alu instid0(VALU_DEP_4) | instskip(SKIP_2) | instid1(VALU_DEP_2)
	v_cndmask_b32_e64 v2, v6, v2, s0
	v_cmp_gt_i32_e64 s0, 32, v4
	v_rcp_iflag_f32_e32 v5, v5
	v_lshlrev_b32_e32 v26, 2, v2
	s_delay_alu instid0(VALU_DEP_2) | instskip(SKIP_1) | instid1(VALU_DEP_2)
	v_cndmask_b32_e64 v4, v6, v4, s0
	v_cmp_gt_i32_e64 s0, 32, v7
	v_lshlrev_b32_e32 v27, 2, v4
	s_waitcnt_depctr 0xfff
	v_mul_f32_e32 v5, 0x4f7ffffe, v5
	v_cndmask_b32_e64 v7, v6, v7, s0
	v_cmp_gt_i32_e64 s0, 32, v8
	v_or_b32_e32 v4, v18, v0
	s_delay_alu instid0(VALU_DEP_3) | instskip(NEXT) | instid1(VALU_DEP_3)
	v_lshlrev_b32_e32 v28, 2, v7
	v_cndmask_b32_e64 v2, v6, v8, s0
	s_delay_alu instid0(VALU_DEP_3)
	v_lshlrev_b32_e32 v31, 3, v4
	v_cvt_u32_f32_e32 v4, v5
	v_or_b32_e32 v5, 4, v0
	v_or_b32_e32 v7, 8, v0
	v_lshlrev_b32_e32 v29, 2, v2
	v_mul_lo_u32 v2, v0, s6
	v_mul_lo_u32 v6, s1, v4
	v_cmp_gt_u32_e64 s1, s6, v5
	v_or_b32_e32 v5, 12, v0
	v_cmp_gt_u32_e64 s0, s6, v0
	v_cmp_gt_u32_e64 s3, s6, v7
	s_delay_alu instid0(VALU_DEP_4)
	s_and_b32 s21, s2, s1
	v_add_nc_u32_e32 v8, s15, v2
	v_mul_hi_u32 v6, v4, v6
	v_cmp_gt_u32_e64 s4, s6, v5
	s_and_b32 s20, s0, s2
	s_and_b32 s3, s2, s3
	v_add_nc_u32_e32 v10, s15, v8
	v_lshlrev_b64 v[8:9], 3, v[8:9]
	s_and_b32 s2, s2, s4
	s_ashr_i32 s4, s6, 31
	v_add_nc_u32_e32 v32, v4, v6
	v_add_nc_u32_e32 v12, s15, v10
	s_mov_b32 s15, s14
	s_delay_alu instid0(SALU_CYCLE_1)
	v_dual_mov_b32 v4, s14 :: v_dual_mov_b32 v5, s15
	v_lshlrev_b64 v[6:7], 3, v[2:3]
	v_lshlrev_b64 v[10:11], 3, v[10:11]
	;; [unrolled: 1-line block ×3, first 2 shown]
	s_branch .LBB76_10
.LBB76_8:                               ;   in Loop: Header=BB76_10 Depth=1
	s_or_b32 exec_lo, exec_lo, s15
	v_mov_b32_e32 v2, 1
.LBB76_9:                               ;   in Loop: Header=BB76_10 Depth=1
	s_or_b32 exec_lo, exec_lo, s1
	ds_bpermute_b32 v15, v26, v35
	v_add_nc_u32_e32 v1, v2, v1
	s_waitcnt lgkmcnt(0)
	s_waitcnt_vscnt null, 0x0
	buffer_gl0_inv
	buffer_gl0_inv
	v_min_i32_e32 v15, v15, v35
	ds_bpermute_b32 v35, v27, v15
	s_waitcnt lgkmcnt(0)
	v_min_i32_e32 v15, v35, v15
	ds_bpermute_b32 v35, v28, v15
	s_waitcnt lgkmcnt(0)
	;; [unrolled: 3-line block ×6, first 2 shown]
	v_cmp_le_i32_e64 s0, s5, v36
	s_delay_alu instid0(VALU_DEP_1) | instskip(NEXT) | instid1(SALU_CYCLE_1)
	s_or_b32 s14, s0, s14
	s_and_not1_b32 exec_lo, exec_lo, s14
	s_cbranch_execz .LBB76_27
.LBB76_10:                              ; =>This Loop Header: Depth=1
                                        ;     Child Loop BB76_13 Depth 2
	v_dual_mov_b32 v35, s5 :: v_dual_add_nc_u32 v14, v14, v0
	v_mov_b32_e32 v37, v17
	s_mov_b32 s15, exec_lo
	ds_store_b8 v16, v3 offset:8192
	ds_store_2addr_b64 v31, v[4:5], v[4:5] offset1:4
	ds_store_2addr_b64 v31, v[4:5], v[4:5] offset0:8 offset1:12
	s_waitcnt lgkmcnt(0)
	buffer_gl0_inv
	v_cmpx_lt_i32_e64 v14, v17
	s_cbranch_execz .LBB76_18
; %bb.11:                               ;   in Loop: Header=BB76_10 Depth=1
	v_mul_lo_u32 v2, v36, s6
	v_mov_b32_e32 v35, s5
	v_mov_b32_e32 v37, v17
	s_mov_b32 s22, 0
	s_branch .LBB76_13
.LBB76_12:                              ;   in Loop: Header=BB76_13 Depth=2
	s_or_b32 exec_lo, exec_lo, s23
	v_add_nc_u32_e32 v14, 4, v14
	s_xor_b32 s0, s0, -1
	s_delay_alu instid0(VALU_DEP_1) | instskip(NEXT) | instid1(VALU_DEP_1)
	v_cmp_ge_i32_e64 s1, v14, v17
	s_or_b32 s0, s0, s1
	s_delay_alu instid0(SALU_CYCLE_1) | instskip(NEXT) | instid1(SALU_CYCLE_1)
	s_and_b32 s0, exec_lo, s0
	s_or_b32 s22, s0, s22
	s_delay_alu instid0(SALU_CYCLE_1)
	s_and_not1_b32 exec_lo, exec_lo, s22
	s_cbranch_execz .LBB76_17
.LBB76_13:                              ;   Parent Loop BB76_10 Depth=1
                                        ; =>  This Inner Loop Header: Depth=2
	v_ashrrev_i32_e32 v15, 31, v14
	s_delay_alu instid0(VALU_DEP_1) | instskip(NEXT) | instid1(VALU_DEP_1)
	v_lshlrev_b64 v[38:39], 2, v[14:15]
	v_add_co_u32 v38, s0, s12, v38
	s_delay_alu instid0(VALU_DEP_1) | instskip(SKIP_3) | instid1(VALU_DEP_1)
	v_add_co_ci_u32_e64 v39, s0, s13, v39, s0
	global_load_b32 v38, v[38:39], off
	s_waitcnt vmcnt(0)
	v_subrev_nc_u32_e32 v38, s7, v38
	v_sub_nc_u32_e32 v39, 0, v38
	s_delay_alu instid0(VALU_DEP_1) | instskip(NEXT) | instid1(VALU_DEP_1)
	v_max_i32_e32 v39, v38, v39
	v_mul_hi_u32 v40, v39, v32
	s_delay_alu instid0(VALU_DEP_1) | instskip(NEXT) | instid1(VALU_DEP_1)
	v_mul_lo_u32 v41, v40, s19
	v_sub_nc_u32_e32 v39, v39, v41
	v_add_nc_u32_e32 v41, 1, v40
	s_delay_alu instid0(VALU_DEP_2) | instskip(SKIP_1) | instid1(VALU_DEP_1)
	v_subrev_nc_u32_e32 v42, s19, v39
	v_cmp_le_u32_e64 s0, s19, v39
	v_cndmask_b32_e64 v40, v40, v41, s0
	s_delay_alu instid0(VALU_DEP_3) | instskip(SKIP_1) | instid1(VALU_DEP_3)
	v_cndmask_b32_e64 v39, v39, v42, s0
	v_ashrrev_i32_e32 v41, 31, v38
	v_add_nc_u32_e32 v42, 1, v40
	s_delay_alu instid0(VALU_DEP_3) | instskip(NEXT) | instid1(VALU_DEP_3)
	v_cmp_le_u32_e64 s0, s19, v39
	v_xor_b32_e32 v41, s4, v41
	s_delay_alu instid0(VALU_DEP_2) | instskip(NEXT) | instid1(VALU_DEP_1)
	v_cndmask_b32_e64 v39, v40, v42, s0
	v_xor_b32_e32 v39, v39, v41
	s_delay_alu instid0(VALU_DEP_1) | instskip(SKIP_1) | instid1(VALU_DEP_2)
	v_sub_nc_u32_e32 v40, v39, v41
	v_mov_b32_e32 v39, v37
	v_cmp_eq_u32_e64 s0, v40, v36
	v_cmp_ne_u32_e64 s1, v40, v36
	s_delay_alu instid0(VALU_DEP_1) | instskip(NEXT) | instid1(SALU_CYCLE_1)
	s_and_saveexec_b32 s23, s1
	s_xor_b32 s1, exec_lo, s23
; %bb.14:                               ;   in Loop: Header=BB76_13 Depth=2
	v_min_i32_e32 v35, v40, v35
                                        ; implicit-def: $vgpr38
                                        ; implicit-def: $vgpr39
; %bb.15:                               ;   in Loop: Header=BB76_13 Depth=2
	s_or_saveexec_b32 s23, s1
	v_mov_b32_e32 v37, v14
	s_xor_b32 exec_lo, exec_lo, s23
	s_cbranch_execz .LBB76_12
; %bb.16:                               ;   in Loop: Header=BB76_13 Depth=2
	v_lshlrev_b64 v[40:41], 3, v[14:15]
	v_sub_nc_u32_e32 v15, v38, v2
	v_mov_b32_e32 v37, v39
	s_delay_alu instid0(VALU_DEP_2) | instskip(NEXT) | instid1(VALU_DEP_4)
	v_add_lshl_u32 v15, v18, v15, 3
	v_add_co_u32 v40, s1, s8, v40
	s_delay_alu instid0(VALU_DEP_1)
	v_add_co_ci_u32_e64 v41, s1, s9, v41, s1
	global_load_b64 v[40:41], v[40:41], off
	ds_store_b8 v16, v33 offset:8192
	s_waitcnt vmcnt(0)
	ds_store_b64 v15, v[40:41]
	s_branch .LBB76_12
.LBB76_17:                              ;   in Loop: Header=BB76_10 Depth=1
	s_or_b32 exec_lo, exec_lo, s22
.LBB76_18:                              ;   in Loop: Header=BB76_10 Depth=1
	s_delay_alu instid0(SALU_CYCLE_1)
	s_or_b32 exec_lo, exec_lo, s15
	ds_bpermute_b32 v2, v19, v37
	s_waitcnt lgkmcnt(0)
	buffer_gl0_inv
	ds_load_u8 v15, v16 offset:8192
	v_min_i32_e32 v2, v2, v37
	ds_bpermute_b32 v14, v20, v2
	s_waitcnt lgkmcnt(0)
	v_min_i32_e32 v2, v14, v2
	ds_bpermute_b32 v14, v21, v2
	v_and_b32_e32 v2, 1, v15
	s_delay_alu instid0(VALU_DEP_1) | instskip(SKIP_1) | instid1(VALU_DEP_2)
	v_cmp_eq_u32_e64 s0, 1, v2
	v_mov_b32_e32 v2, 0
	s_and_saveexec_b32 s1, s0
	s_cbranch_execz .LBB76_9
; %bb.19:                               ;   in Loop: Header=BB76_10 Depth=1
	v_ashrrev_i32_e32 v2, 31, v1
	v_mul_lo_u32 v15, s16, v1
	v_mad_u64_u32 v[37:38], null, s18, v1, 0
	v_add_nc_u32_e32 v41, s17, v36
	s_delay_alu instid0(VALU_DEP_4) | instskip(NEXT) | instid1(VALU_DEP_1)
	v_mul_lo_u32 v39, s18, v2
	v_add3_u32 v38, v38, v39, v15
	v_lshlrev_b64 v[39:40], 2, v[1:2]
	s_delay_alu instid0(VALU_DEP_2) | instskip(NEXT) | instid1(VALU_DEP_2)
	v_lshlrev_b64 v[36:37], 3, v[37:38]
	v_add_co_u32 v38, s0, s10, v39
	s_delay_alu instid0(VALU_DEP_1) | instskip(NEXT) | instid1(VALU_DEP_3)
	v_add_co_ci_u32_e64 v39, s0, s11, v40, s0
	v_add_co_u32 v2, s0, v22, v36
	s_delay_alu instid0(VALU_DEP_1) | instskip(SKIP_1) | instid1(VALU_DEP_1)
	v_add_co_ci_u32_e64 v15, s0, v23, v37, s0
	v_add_co_u32 v36, s0, v24, v36
	v_add_co_ci_u32_e64 v37, s0, v25, v37, s0
	global_store_b32 v[38:39], v41, off
	s_and_saveexec_b32 s15, s20
	s_cbranch_execnz .LBB76_23
; %bb.20:                               ;   in Loop: Header=BB76_10 Depth=1
	s_or_b32 exec_lo, exec_lo, s15
	s_and_saveexec_b32 s15, s21
	s_cbranch_execnz .LBB76_24
.LBB76_21:                              ;   in Loop: Header=BB76_10 Depth=1
	s_or_b32 exec_lo, exec_lo, s15
	s_and_saveexec_b32 s15, s3
	s_cbranch_execnz .LBB76_25
.LBB76_22:                              ;   in Loop: Header=BB76_10 Depth=1
	s_or_b32 exec_lo, exec_lo, s15
	s_and_saveexec_b32 s15, s2
	s_cbranch_execz .LBB76_8
	s_branch .LBB76_26
.LBB76_23:                              ;   in Loop: Header=BB76_10 Depth=1
	ds_load_b64 v[38:39], v31
	v_add_co_u32 v40, s0, v2, v6
	s_delay_alu instid0(VALU_DEP_1) | instskip(SKIP_1) | instid1(VALU_DEP_1)
	v_add_co_ci_u32_e64 v41, s0, v15, v7, s0
	v_add_co_u32 v42, s0, v36, v34
	v_add_co_ci_u32_e64 v43, s0, 0, v37, s0
	s_delay_alu instid0(VALU_DEP_1)
	v_dual_cndmask_b32 v40, v40, v42 :: v_dual_cndmask_b32 v41, v41, v43
	s_waitcnt lgkmcnt(0)
	global_store_b64 v[40:41], v[38:39], off
	s_or_b32 exec_lo, exec_lo, s15
	s_and_saveexec_b32 s15, s21
	s_cbranch_execz .LBB76_21
.LBB76_24:                              ;   in Loop: Header=BB76_10 Depth=1
	v_add_co_u32 v40, s0, v36, v34
	ds_load_b64 v[38:39], v31 offset:32
	v_add_co_ci_u32_e64 v41, s0, 0, v37, s0
	v_add_co_u32 v40, s0, v40, 32
	s_delay_alu instid0(VALU_DEP_1) | instskip(SKIP_1) | instid1(VALU_DEP_1)
	v_add_co_ci_u32_e64 v41, s0, 0, v41, s0
	v_add_co_u32 v42, s0, v2, v8
	v_add_co_ci_u32_e64 v43, s0, v15, v9, s0
	s_delay_alu instid0(VALU_DEP_1)
	v_dual_cndmask_b32 v40, v42, v40 :: v_dual_cndmask_b32 v41, v43, v41
	s_waitcnt lgkmcnt(0)
	global_store_b64 v[40:41], v[38:39], off
	s_or_b32 exec_lo, exec_lo, s15
	s_and_saveexec_b32 s15, s3
	s_cbranch_execz .LBB76_22
.LBB76_25:                              ;   in Loop: Header=BB76_10 Depth=1
	v_add_co_u32 v40, s0, v36, v34
	ds_load_b64 v[38:39], v31 offset:64
	v_add_co_ci_u32_e64 v41, s0, 0, v37, s0
	v_add_co_u32 v40, s0, v40, 64
	s_delay_alu instid0(VALU_DEP_1) | instskip(SKIP_1) | instid1(VALU_DEP_1)
	v_add_co_ci_u32_e64 v41, s0, 0, v41, s0
	v_add_co_u32 v42, s0, v2, v10
	v_add_co_ci_u32_e64 v43, s0, v15, v11, s0
	s_delay_alu instid0(VALU_DEP_1)
	v_dual_cndmask_b32 v40, v42, v40 :: v_dual_cndmask_b32 v41, v43, v41
	s_waitcnt lgkmcnt(0)
	global_store_b64 v[40:41], v[38:39], off
	s_or_b32 exec_lo, exec_lo, s15
	s_and_saveexec_b32 s15, s2
	s_cbranch_execz .LBB76_8
.LBB76_26:                              ;   in Loop: Header=BB76_10 Depth=1
	v_add_co_u32 v38, s0, v36, v34
	s_delay_alu instid0(VALU_DEP_1) | instskip(SKIP_2) | instid1(VALU_DEP_1)
	v_add_co_ci_u32_e64 v39, s0, 0, v37, s0
	ds_load_b64 v[36:37], v31 offset:96
	v_add_co_u32 v38, s0, 0x60, v38
	v_add_co_ci_u32_e64 v39, s0, 0, v39, s0
	v_add_co_u32 v2, s0, v2, v12
	s_delay_alu instid0(VALU_DEP_1) | instskip(NEXT) | instid1(VALU_DEP_1)
	v_add_co_ci_u32_e64 v15, s0, v15, v13, s0
	v_dual_cndmask_b32 v38, v2, v38 :: v_dual_cndmask_b32 v39, v15, v39
	s_waitcnt lgkmcnt(0)
	global_store_b64 v[38:39], v[36:37], off
	s_branch .LBB76_8
.LBB76_27:
	s_endpgm
	.section	.rodata,"a",@progbits
	.p2align	6, 0x0
	.amdhsa_kernel _ZN9rocsparseL42csr2bsr_wavefront_per_row_multipass_kernelILj256ELj64ELj16E21rocsparse_complex_numIfEiiEEv20rocsparse_direction_T4_S4_S4_S4_S4_21rocsparse_index_base_PKT2_PKT3_PKS4_S5_PS6_PS9_PS4_
		.amdhsa_group_segment_fixed_size 8196
		.amdhsa_private_segment_fixed_size 0
		.amdhsa_kernarg_size 88
		.amdhsa_user_sgpr_count 15
		.amdhsa_user_sgpr_dispatch_ptr 0
		.amdhsa_user_sgpr_queue_ptr 0
		.amdhsa_user_sgpr_kernarg_segment_ptr 1
		.amdhsa_user_sgpr_dispatch_id 0
		.amdhsa_user_sgpr_private_segment_size 0
		.amdhsa_wavefront_size32 1
		.amdhsa_uses_dynamic_stack 0
		.amdhsa_enable_private_segment 0
		.amdhsa_system_sgpr_workgroup_id_x 1
		.amdhsa_system_sgpr_workgroup_id_y 0
		.amdhsa_system_sgpr_workgroup_id_z 0
		.amdhsa_system_sgpr_workgroup_info 0
		.amdhsa_system_vgpr_workitem_id 0
		.amdhsa_next_free_vgpr 44
		.amdhsa_next_free_sgpr 24
		.amdhsa_reserve_vcc 1
		.amdhsa_float_round_mode_32 0
		.amdhsa_float_round_mode_16_64 0
		.amdhsa_float_denorm_mode_32 3
		.amdhsa_float_denorm_mode_16_64 3
		.amdhsa_dx10_clamp 1
		.amdhsa_ieee_mode 1
		.amdhsa_fp16_overflow 0
		.amdhsa_workgroup_processor_mode 1
		.amdhsa_memory_ordered 1
		.amdhsa_forward_progress 0
		.amdhsa_shared_vgpr_count 0
		.amdhsa_exception_fp_ieee_invalid_op 0
		.amdhsa_exception_fp_denorm_src 0
		.amdhsa_exception_fp_ieee_div_zero 0
		.amdhsa_exception_fp_ieee_overflow 0
		.amdhsa_exception_fp_ieee_underflow 0
		.amdhsa_exception_fp_ieee_inexact 0
		.amdhsa_exception_int_div_zero 0
	.end_amdhsa_kernel
	.section	.text._ZN9rocsparseL42csr2bsr_wavefront_per_row_multipass_kernelILj256ELj64ELj16E21rocsparse_complex_numIfEiiEEv20rocsparse_direction_T4_S4_S4_S4_S4_21rocsparse_index_base_PKT2_PKT3_PKS4_S5_PS6_PS9_PS4_,"axG",@progbits,_ZN9rocsparseL42csr2bsr_wavefront_per_row_multipass_kernelILj256ELj64ELj16E21rocsparse_complex_numIfEiiEEv20rocsparse_direction_T4_S4_S4_S4_S4_21rocsparse_index_base_PKT2_PKT3_PKS4_S5_PS6_PS9_PS4_,comdat
.Lfunc_end76:
	.size	_ZN9rocsparseL42csr2bsr_wavefront_per_row_multipass_kernelILj256ELj64ELj16E21rocsparse_complex_numIfEiiEEv20rocsparse_direction_T4_S4_S4_S4_S4_21rocsparse_index_base_PKT2_PKT3_PKS4_S5_PS6_PS9_PS4_, .Lfunc_end76-_ZN9rocsparseL42csr2bsr_wavefront_per_row_multipass_kernelILj256ELj64ELj16E21rocsparse_complex_numIfEiiEEv20rocsparse_direction_T4_S4_S4_S4_S4_21rocsparse_index_base_PKT2_PKT3_PKS4_S5_PS6_PS9_PS4_
                                        ; -- End function
	.section	.AMDGPU.csdata,"",@progbits
; Kernel info:
; codeLenInByte = 2104
; NumSgprs: 26
; NumVgprs: 44
; ScratchSize: 0
; MemoryBound: 0
; FloatMode: 240
; IeeeMode: 1
; LDSByteSize: 8196 bytes/workgroup (compile time only)
; SGPRBlocks: 3
; VGPRBlocks: 5
; NumSGPRsForWavesPerEU: 26
; NumVGPRsForWavesPerEU: 44
; Occupancy: 16
; WaveLimiterHint : 0
; COMPUTE_PGM_RSRC2:SCRATCH_EN: 0
; COMPUTE_PGM_RSRC2:USER_SGPR: 15
; COMPUTE_PGM_RSRC2:TRAP_HANDLER: 0
; COMPUTE_PGM_RSRC2:TGID_X_EN: 1
; COMPUTE_PGM_RSRC2:TGID_Y_EN: 0
; COMPUTE_PGM_RSRC2:TGID_Z_EN: 0
; COMPUTE_PGM_RSRC2:TIDIG_COMP_CNT: 0
	.section	.text._ZN9rocsparseL42csr2bsr_wavefront_per_row_multipass_kernelILj256ELj32ELj16E21rocsparse_complex_numIfEiiEEv20rocsparse_direction_T4_S4_S4_S4_S4_21rocsparse_index_base_PKT2_PKT3_PKS4_S5_PS6_PS9_PS4_,"axG",@progbits,_ZN9rocsparseL42csr2bsr_wavefront_per_row_multipass_kernelILj256ELj32ELj16E21rocsparse_complex_numIfEiiEEv20rocsparse_direction_T4_S4_S4_S4_S4_21rocsparse_index_base_PKT2_PKT3_PKS4_S5_PS6_PS9_PS4_,comdat
	.globl	_ZN9rocsparseL42csr2bsr_wavefront_per_row_multipass_kernelILj256ELj32ELj16E21rocsparse_complex_numIfEiiEEv20rocsparse_direction_T4_S4_S4_S4_S4_21rocsparse_index_base_PKT2_PKT3_PKS4_S5_PS6_PS9_PS4_ ; -- Begin function _ZN9rocsparseL42csr2bsr_wavefront_per_row_multipass_kernelILj256ELj32ELj16E21rocsparse_complex_numIfEiiEEv20rocsparse_direction_T4_S4_S4_S4_S4_21rocsparse_index_base_PKT2_PKT3_PKS4_S5_PS6_PS9_PS4_
	.p2align	8
	.type	_ZN9rocsparseL42csr2bsr_wavefront_per_row_multipass_kernelILj256ELj32ELj16E21rocsparse_complex_numIfEiiEEv20rocsparse_direction_T4_S4_S4_S4_S4_21rocsparse_index_base_PKT2_PKT3_PKS4_S5_PS6_PS9_PS4_,@function
_ZN9rocsparseL42csr2bsr_wavefront_per_row_multipass_kernelILj256ELj32ELj16E21rocsparse_complex_numIfEiiEEv20rocsparse_direction_T4_S4_S4_S4_S4_21rocsparse_index_base_PKT2_PKT3_PKS4_S5_PS6_PS9_PS4_: ; @_ZN9rocsparseL42csr2bsr_wavefront_per_row_multipass_kernelILj256ELj32ELj16E21rocsparse_complex_numIfEiiEEv20rocsparse_direction_T4_S4_S4_S4_S4_21rocsparse_index_base_PKT2_PKT3_PKS4_S5_PS6_PS9_PS4_
; %bb.0:
	s_clause 0x1
	s_load_b128 s[8:11], s[0:1], 0xc
	s_load_b64 s[4:5], s[0:1], 0x0
	v_lshrrev_b32_e32 v24, 5, v0
	v_bfe_u32 v4, v0, 1, 4
	s_load_b64 s[6:7], s[0:1], 0x28
	v_dual_mov_b32 v25, 0 :: v_dual_mov_b32 v22, 0
	s_delay_alu instid0(VALU_DEP_3) | instskip(SKIP_1) | instid1(VALU_DEP_1)
	v_lshl_or_b32 v2, s15, 3, v24
	s_waitcnt lgkmcnt(0)
	v_mad_u64_u32 v[5:6], null, v2, s10, v[4:5]
	v_cmp_gt_i32_e64 s2, s10, v4
	s_delay_alu instid0(VALU_DEP_2) | instskip(NEXT) | instid1(VALU_DEP_2)
	v_cmp_gt_i32_e32 vcc_lo, s5, v5
	s_and_b32 s3, s2, vcc_lo
	s_delay_alu instid0(SALU_CYCLE_1)
	s_and_saveexec_b32 s5, s3
	s_cbranch_execz .LBB77_2
; %bb.1:
	v_ashrrev_i32_e32 v6, 31, v5
	s_delay_alu instid0(VALU_DEP_1) | instskip(NEXT) | instid1(VALU_DEP_1)
	v_lshlrev_b64 v[6:7], 2, v[5:6]
	v_add_co_u32 v6, vcc_lo, s6, v6
	s_delay_alu instid0(VALU_DEP_2)
	v_add_co_ci_u32_e32 v7, vcc_lo, s7, v7, vcc_lo
	global_load_b32 v1, v[6:7], off
	s_waitcnt vmcnt(0)
	v_subrev_nc_u32_e32 v22, s11, v1
.LBB77_2:
	s_or_b32 exec_lo, exec_lo, s5
	s_and_saveexec_b32 s5, s3
	s_cbranch_execz .LBB77_4
; %bb.3:
	v_ashrrev_i32_e32 v6, 31, v5
	s_delay_alu instid0(VALU_DEP_1) | instskip(NEXT) | instid1(VALU_DEP_1)
	v_lshlrev_b64 v[5:6], 2, v[5:6]
	v_add_co_u32 v5, vcc_lo, s6, v5
	s_delay_alu instid0(VALU_DEP_2)
	v_add_co_ci_u32_e32 v6, vcc_lo, s7, v6, vcc_lo
	global_load_b32 v1, v[5:6], off offset:4
	s_waitcnt vmcnt(0)
	v_subrev_nc_u32_e32 v25, s11, v1
.LBB77_4:
	s_or_b32 exec_lo, exec_lo, s5
	s_load_b32 s20, s[0:1], 0x38
	v_mov_b32_e32 v1, 0
	s_mov_b32 s3, exec_lo
	v_cmpx_gt_i32_e64 s8, v2
	s_cbranch_execz .LBB77_6
; %bb.5:
	s_load_b64 s[6:7], s[0:1], 0x48
	v_ashrrev_i32_e32 v3, 31, v2
	s_delay_alu instid0(VALU_DEP_1) | instskip(SKIP_1) | instid1(VALU_DEP_1)
	v_lshlrev_b64 v[1:2], 2, v[2:3]
	s_waitcnt lgkmcnt(0)
	v_add_co_u32 v1, vcc_lo, s6, v1
	s_delay_alu instid0(VALU_DEP_2)
	v_add_co_ci_u32_e32 v2, vcc_lo, s7, v2, vcc_lo
	global_load_b32 v1, v[1:2], off
	s_waitcnt vmcnt(0)
	v_subrev_nc_u32_e32 v1, s20, v1
.LBB77_6:
	s_or_b32 exec_lo, exec_lo, s3
	s_cmp_lt_i32 s9, 1
	s_cbranch_scc1 .LBB77_35
; %bb.7:
	v_mbcnt_lo_u32_b32 v6, -1, 0
	s_clause 0x2
	s_load_b64 s[12:13], s[0:1], 0x20
	s_load_b64 s[14:15], s[0:1], 0x50
	;; [unrolled: 1-line block ×3, first 2 shown]
	s_mov_b32 s18, 0
	v_lshlrev_b32_e32 v3, 8, v24
	v_dual_mov_b32 v40, 1 :: v_dual_lshlrev_b32 v7, 3, v4
	v_xor_b32_e32 v2, 1, v6
	s_load_b64 s[16:17], s[0:1], 0x30
	s_delay_alu instid0(VALU_DEP_3)
	v_lshl_or_b32 v26, v4, 4, v3
	s_cmp_eq_u32 s4, 0
	v_lshl_or_b32 v27, v6, 2, 4
	v_cmp_gt_i32_e32 vcc_lo, 32, v2
	v_and_b32_e32 v0, 1, v0
	s_mul_hi_u32 s21, s10, s10
	s_mul_i32 s22, s10, s10
	v_mov_b32_e32 v3, 0
	v_cndmask_b32_e32 v5, v6, v2, vcc_lo
	v_mul_lo_u32 v2, v4, s10
	s_cselect_b32 vcc_lo, -1, 0
	s_abs_i32 s23, s10
	s_lshl_b32 s19, s10, 1
	v_lshlrev_b32_e32 v28, 2, v5
	s_waitcnt lgkmcnt(0)
	v_add_co_u32 v29, s0, s6, v7
	s_delay_alu instid0(VALU_DEP_1)
	v_add_co_ci_u32_e64 v30, null, s7, 0, s0
	v_lshlrev_b64 v[4:5], 3, v[2:3]
	v_xor_b32_e32 v2, 16, v6
	v_xor_b32_e32 v7, 2, v6
	v_dual_mov_b32 v42, 0 :: v_dual_mov_b32 v37, 0x7c
	v_mov_b32_e32 v13, v3
	v_add_co_u32 v31, s0, s6, v4
	s_delay_alu instid0(VALU_DEP_1)
	v_add_co_ci_u32_e64 v32, s0, s7, v5, s0
	v_xor_b32_e32 v4, 8, v6
	v_cmp_gt_i32_e64 s0, 32, v2
	v_xor_b32_e32 v5, 4, v6
	s_sub_i32 s7, 0, s23
	v_mov_b32_e32 v11, v3
	v_mov_b32_e32 v9, v3
	v_cndmask_b32_e64 v2, v6, v2, s0
	v_cmp_gt_i32_e64 s0, 32, v4
	v_mov_b32_e32 v15, v3
	v_mov_b32_e32 v17, v3
	;; [unrolled: 1-line block ×3, first 2 shown]
	v_lshlrev_b32_e32 v33, 2, v2
	v_cndmask_b32_e64 v4, v6, v4, s0
	v_cmp_gt_i32_e64 s0, 32, v5
	v_mul_lo_u32 v2, v0, s10
	s_delay_alu instid0(VALU_DEP_3) | instskip(NEXT) | instid1(VALU_DEP_3)
	v_dual_mov_b32 v21, v3 :: v_dual_lshlrev_b32 v34, 2, v4
	v_cndmask_b32_e64 v5, v6, v5, s0
	v_or_b32_e32 v4, v26, v0
	v_cmp_gt_i32_e64 s0, 32, v7
	v_add_nc_u32_e32 v8, s19, v2
	s_delay_alu instid0(VALU_DEP_4)
	v_lshlrev_b32_e32 v35, 2, v5
	v_cvt_f32_u32_e32 v5, s23
	v_lshlrev_b32_e32 v38, 3, v4
	v_or_b32_e32 v4, 2, v0
	v_cndmask_b32_e64 v6, v6, v7, s0
	v_cmp_gt_u32_e64 s0, s10, v0
	v_rcp_iflag_f32_e32 v5, v5
	v_add_nc_u32_e32 v10, s19, v8
	v_cmp_gt_u32_e64 s1, s10, v4
	v_or_b32_e32 v4, 4, v0
	v_lshlrev_b32_e32 v36, 2, v6
	v_or_b32_e32 v6, 6, v0
	v_lshlrev_b64 v[8:9], 3, v[8:9]
	s_and_b32 s24, s0, s2
	v_cmp_gt_u32_e64 s3, s10, v4
	v_or_b32_e32 v4, 8, v0
	v_dual_mul_f32 v5, 0x4f7ffffe, v5 :: v_dual_add_nc_u32 v12, s19, v10
	v_cmp_gt_u32_e64 s4, s10, v6
	v_or_b32_e32 v6, 10, v0
	s_delay_alu instid0(VALU_DEP_4) | instskip(NEXT) | instid1(VALU_DEP_4)
	v_cmp_gt_u32_e64 s5, s10, v4
	v_cvt_u32_f32_e32 v4, v5
	v_add_nc_u32_e32 v14, s19, v12
	v_or_b32_e32 v5, 12, v0
	v_cmp_gt_u32_e64 s6, s10, v6
	v_or_b32_e32 v6, 14, v0
	v_mul_lo_u32 v7, s7, v4
	v_add_nc_u32_e32 v16, s19, v14
	v_cmp_gt_u32_e64 s7, s10, v5
	v_lshlrev_b64 v[10:11], 3, v[10:11]
	v_cmp_gt_u32_e64 s8, s10, v6
	v_lshlrev_b64 v[12:13], 3, v[12:13]
	v_add_nc_u32_e32 v18, s19, v16
	v_lshlrev_b64 v[14:15], 3, v[14:15]
	v_mul_hi_u32 v5, v4, v7
	v_lshlrev_b64 v[6:7], 3, v[2:3]
	v_lshlrev_b64 v[16:17], 3, v[16:17]
	v_add_nc_u32_e32 v20, s19, v18
	s_mov_b32 s19, s18
	v_lshlrev_b64 v[18:19], 3, v[18:19]
	s_and_b32 s25, s2, s1
	s_and_b32 s3, s2, s3
	v_dual_mov_b32 v4, s18 :: v_dual_add_nc_u32 v39, v4, v5
	v_mov_b32_e32 v5, s19
	v_lshlrev_b64 v[20:21], 3, v[20:21]
	s_and_b32 s4, s2, s4
	s_and_b32 s5, s2, s5
	s_and_b32 s6, s2, s6
	s_and_b32 s7, s2, s7
	s_and_b32 s2, s2, s8
	s_ashr_i32 s8, s10, 31
	s_branch .LBB77_10
.LBB77_8:                               ;   in Loop: Header=BB77_10 Depth=1
	s_or_b32 exec_lo, exec_lo, s19
	v_mov_b32_e32 v2, 1
.LBB77_9:                               ;   in Loop: Header=BB77_10 Depth=1
	s_or_b32 exec_lo, exec_lo, s1
	ds_bpermute_b32 v23, v33, v41
	v_add_nc_u32_e32 v1, v2, v1
	s_waitcnt lgkmcnt(0)
	s_waitcnt_vscnt null, 0x0
	buffer_gl0_inv
	buffer_gl0_inv
	v_min_i32_e32 v23, v23, v41
	ds_bpermute_b32 v41, v34, v23
	s_waitcnt lgkmcnt(0)
	v_min_i32_e32 v23, v41, v23
	ds_bpermute_b32 v41, v35, v23
	s_waitcnt lgkmcnt(0)
	;; [unrolled: 3-line block ×5, first 2 shown]
	v_cmp_le_i32_e64 s0, s9, v42
	s_delay_alu instid0(VALU_DEP_1) | instskip(NEXT) | instid1(SALU_CYCLE_1)
	s_or_b32 s18, s0, s18
	s_and_not1_b32 exec_lo, exec_lo, s18
	s_cbranch_execz .LBB77_35
.LBB77_10:                              ; =>This Loop Header: Depth=1
                                        ;     Child Loop BB77_13 Depth 2
	v_dual_mov_b32 v41, s9 :: v_dual_add_nc_u32 v22, v22, v0
	v_mov_b32_e32 v43, v25
	s_mov_b32 s19, exec_lo
	ds_store_b8 v24, v3 offset:16384
	ds_store_2addr_b64 v38, v[4:5], v[4:5] offset1:2
	ds_store_2addr_b64 v38, v[4:5], v[4:5] offset0:4 offset1:6
	ds_store_2addr_b64 v38, v[4:5], v[4:5] offset0:8 offset1:10
	;; [unrolled: 1-line block ×3, first 2 shown]
	s_waitcnt lgkmcnt(0)
	buffer_gl0_inv
	v_cmpx_lt_i32_e64 v22, v25
	s_cbranch_execz .LBB77_18
; %bb.11:                               ;   in Loop: Header=BB77_10 Depth=1
	v_mul_lo_u32 v2, v42, s10
	v_mov_b32_e32 v41, s9
	v_mov_b32_e32 v43, v25
	s_mov_b32 s26, 0
	s_branch .LBB77_13
.LBB77_12:                              ;   in Loop: Header=BB77_13 Depth=2
	s_or_b32 exec_lo, exec_lo, s27
	v_add_nc_u32_e32 v22, 2, v22
	s_xor_b32 s0, s0, -1
	s_delay_alu instid0(VALU_DEP_1) | instskip(NEXT) | instid1(VALU_DEP_1)
	v_cmp_ge_i32_e64 s1, v22, v25
	s_or_b32 s0, s0, s1
	s_delay_alu instid0(SALU_CYCLE_1) | instskip(NEXT) | instid1(SALU_CYCLE_1)
	s_and_b32 s0, exec_lo, s0
	s_or_b32 s26, s0, s26
	s_delay_alu instid0(SALU_CYCLE_1)
	s_and_not1_b32 exec_lo, exec_lo, s26
	s_cbranch_execz .LBB77_17
.LBB77_13:                              ;   Parent Loop BB77_10 Depth=1
                                        ; =>  This Inner Loop Header: Depth=2
	v_ashrrev_i32_e32 v23, 31, v22
	s_delay_alu instid0(VALU_DEP_1) | instskip(NEXT) | instid1(VALU_DEP_1)
	v_lshlrev_b64 v[44:45], 2, v[22:23]
	v_add_co_u32 v44, s0, s16, v44
	s_delay_alu instid0(VALU_DEP_1) | instskip(SKIP_3) | instid1(VALU_DEP_1)
	v_add_co_ci_u32_e64 v45, s0, s17, v45, s0
	global_load_b32 v44, v[44:45], off
	s_waitcnt vmcnt(0)
	v_subrev_nc_u32_e32 v44, s11, v44
	v_sub_nc_u32_e32 v45, 0, v44
	s_delay_alu instid0(VALU_DEP_1) | instskip(NEXT) | instid1(VALU_DEP_1)
	v_max_i32_e32 v45, v44, v45
	v_mul_hi_u32 v46, v45, v39
	s_delay_alu instid0(VALU_DEP_1) | instskip(NEXT) | instid1(VALU_DEP_1)
	v_mul_lo_u32 v47, v46, s23
	v_sub_nc_u32_e32 v45, v45, v47
	v_add_nc_u32_e32 v47, 1, v46
	s_delay_alu instid0(VALU_DEP_2) | instskip(SKIP_1) | instid1(VALU_DEP_1)
	v_subrev_nc_u32_e32 v48, s23, v45
	v_cmp_le_u32_e64 s0, s23, v45
	v_cndmask_b32_e64 v46, v46, v47, s0
	s_delay_alu instid0(VALU_DEP_3) | instskip(SKIP_1) | instid1(VALU_DEP_3)
	v_cndmask_b32_e64 v45, v45, v48, s0
	v_ashrrev_i32_e32 v47, 31, v44
	v_add_nc_u32_e32 v48, 1, v46
	s_delay_alu instid0(VALU_DEP_3) | instskip(NEXT) | instid1(VALU_DEP_3)
	v_cmp_le_u32_e64 s0, s23, v45
	v_xor_b32_e32 v47, s8, v47
	s_delay_alu instid0(VALU_DEP_2) | instskip(NEXT) | instid1(VALU_DEP_1)
	v_cndmask_b32_e64 v45, v46, v48, s0
	v_xor_b32_e32 v45, v45, v47
	s_delay_alu instid0(VALU_DEP_1) | instskip(SKIP_1) | instid1(VALU_DEP_2)
	v_sub_nc_u32_e32 v46, v45, v47
	v_mov_b32_e32 v45, v43
	v_cmp_eq_u32_e64 s0, v46, v42
	v_cmp_ne_u32_e64 s1, v46, v42
	s_delay_alu instid0(VALU_DEP_1) | instskip(NEXT) | instid1(SALU_CYCLE_1)
	s_and_saveexec_b32 s27, s1
	s_xor_b32 s1, exec_lo, s27
; %bb.14:                               ;   in Loop: Header=BB77_13 Depth=2
	v_min_i32_e32 v41, v46, v41
                                        ; implicit-def: $vgpr44
                                        ; implicit-def: $vgpr45
; %bb.15:                               ;   in Loop: Header=BB77_13 Depth=2
	s_or_saveexec_b32 s27, s1
	v_mov_b32_e32 v43, v22
	s_xor_b32 exec_lo, exec_lo, s27
	s_cbranch_execz .LBB77_12
; %bb.16:                               ;   in Loop: Header=BB77_13 Depth=2
	v_lshlrev_b64 v[46:47], 3, v[22:23]
	v_sub_nc_u32_e32 v23, v44, v2
	v_mov_b32_e32 v43, v45
	s_delay_alu instid0(VALU_DEP_2) | instskip(NEXT) | instid1(VALU_DEP_4)
	v_add_lshl_u32 v23, v26, v23, 3
	v_add_co_u32 v46, s1, s12, v46
	s_delay_alu instid0(VALU_DEP_1)
	v_add_co_ci_u32_e64 v47, s1, s13, v47, s1
	global_load_b64 v[46:47], v[46:47], off
	ds_store_b8 v24, v40 offset:16384
	s_waitcnt vmcnt(0)
	ds_store_b64 v23, v[46:47]
	s_branch .LBB77_12
.LBB77_17:                              ;   in Loop: Header=BB77_10 Depth=1
	s_or_b32 exec_lo, exec_lo, s26
.LBB77_18:                              ;   in Loop: Header=BB77_10 Depth=1
	s_delay_alu instid0(SALU_CYCLE_1)
	s_or_b32 exec_lo, exec_lo, s19
	ds_bpermute_b32 v2, v28, v43
	s_waitcnt lgkmcnt(0)
	buffer_gl0_inv
	ds_load_u8 v23, v24 offset:16384
	v_min_i32_e32 v2, v2, v43
	ds_bpermute_b32 v22, v27, v2
	s_waitcnt lgkmcnt(1)
	v_and_b32_e32 v2, 1, v23
	s_delay_alu instid0(VALU_DEP_1) | instskip(SKIP_1) | instid1(VALU_DEP_2)
	v_cmp_eq_u32_e64 s0, 1, v2
	v_mov_b32_e32 v2, 0
	s_and_saveexec_b32 s1, s0
	s_cbranch_execz .LBB77_9
; %bb.19:                               ;   in Loop: Header=BB77_10 Depth=1
	v_ashrrev_i32_e32 v2, 31, v1
	v_mul_lo_u32 v23, s21, v1
	v_mad_u64_u32 v[43:44], null, s22, v1, 0
	v_add_nc_u32_e32 v47, s20, v42
	s_delay_alu instid0(VALU_DEP_4) | instskip(NEXT) | instid1(VALU_DEP_1)
	v_mul_lo_u32 v45, s22, v2
	v_add3_u32 v44, v44, v45, v23
	v_lshlrev_b64 v[45:46], 2, v[1:2]
	s_delay_alu instid0(VALU_DEP_2) | instskip(SKIP_1) | instid1(VALU_DEP_3)
	v_lshlrev_b64 v[42:43], 3, v[43:44]
	v_lshlrev_b32_e32 v44, 3, v0
	v_add_co_u32 v45, s0, s14, v45
	s_delay_alu instid0(VALU_DEP_1) | instskip(NEXT) | instid1(VALU_DEP_4)
	v_add_co_ci_u32_e64 v46, s0, s15, v46, s0
	v_add_co_u32 v2, s0, v29, v42
	s_delay_alu instid0(VALU_DEP_1) | instskip(SKIP_1) | instid1(VALU_DEP_1)
	v_add_co_ci_u32_e64 v23, s0, v30, v43, s0
	v_add_co_u32 v42, s0, v31, v42
	v_add_co_ci_u32_e64 v43, s0, v32, v43, s0
	global_store_b32 v[45:46], v47, off
	s_and_saveexec_b32 s19, s24
	s_cbranch_execnz .LBB77_27
; %bb.20:                               ;   in Loop: Header=BB77_10 Depth=1
	s_or_b32 exec_lo, exec_lo, s19
	s_and_saveexec_b32 s19, s25
	s_cbranch_execnz .LBB77_28
.LBB77_21:                              ;   in Loop: Header=BB77_10 Depth=1
	s_or_b32 exec_lo, exec_lo, s19
	s_and_saveexec_b32 s19, s3
	s_cbranch_execnz .LBB77_29
.LBB77_22:                              ;   in Loop: Header=BB77_10 Depth=1
	s_or_b32 exec_lo, exec_lo, s19
	s_and_saveexec_b32 s19, s4
	s_cbranch_execnz .LBB77_30
.LBB77_23:                              ;   in Loop: Header=BB77_10 Depth=1
	s_or_b32 exec_lo, exec_lo, s19
	s_and_saveexec_b32 s19, s5
	s_cbranch_execnz .LBB77_31
.LBB77_24:                              ;   in Loop: Header=BB77_10 Depth=1
	s_or_b32 exec_lo, exec_lo, s19
	s_and_saveexec_b32 s19, s6
	s_cbranch_execnz .LBB77_32
.LBB77_25:                              ;   in Loop: Header=BB77_10 Depth=1
	s_or_b32 exec_lo, exec_lo, s19
	s_and_saveexec_b32 s19, s7
	s_cbranch_execnz .LBB77_33
.LBB77_26:                              ;   in Loop: Header=BB77_10 Depth=1
	s_or_b32 exec_lo, exec_lo, s19
	s_and_saveexec_b32 s19, s2
	s_cbranch_execz .LBB77_8
	s_branch .LBB77_34
.LBB77_27:                              ;   in Loop: Header=BB77_10 Depth=1
	ds_load_b64 v[45:46], v38
	v_add_co_u32 v47, s0, v2, v6
	s_delay_alu instid0(VALU_DEP_1) | instskip(SKIP_1) | instid1(VALU_DEP_1)
	v_add_co_ci_u32_e64 v48, s0, v23, v7, s0
	v_add_co_u32 v49, s0, v42, v44
	v_add_co_ci_u32_e64 v50, s0, 0, v43, s0
	s_delay_alu instid0(VALU_DEP_1)
	v_dual_cndmask_b32 v47, v47, v49 :: v_dual_cndmask_b32 v48, v48, v50
	s_waitcnt lgkmcnt(0)
	global_store_b64 v[47:48], v[45:46], off
	s_or_b32 exec_lo, exec_lo, s19
	s_and_saveexec_b32 s19, s25
	s_cbranch_execz .LBB77_21
.LBB77_28:                              ;   in Loop: Header=BB77_10 Depth=1
	v_add_co_u32 v47, s0, v42, v44
	ds_load_b64 v[45:46], v38 offset:16
	v_add_co_ci_u32_e64 v48, s0, 0, v43, s0
	v_add_co_u32 v47, s0, v47, 16
	s_delay_alu instid0(VALU_DEP_1) | instskip(SKIP_1) | instid1(VALU_DEP_1)
	v_add_co_ci_u32_e64 v48, s0, 0, v48, s0
	v_add_co_u32 v49, s0, v2, v8
	v_add_co_ci_u32_e64 v50, s0, v23, v9, s0
	s_delay_alu instid0(VALU_DEP_1)
	v_dual_cndmask_b32 v47, v49, v47 :: v_dual_cndmask_b32 v48, v50, v48
	s_waitcnt lgkmcnt(0)
	global_store_b64 v[47:48], v[45:46], off
	s_or_b32 exec_lo, exec_lo, s19
	s_and_saveexec_b32 s19, s3
	s_cbranch_execz .LBB77_22
.LBB77_29:                              ;   in Loop: Header=BB77_10 Depth=1
	v_add_co_u32 v47, s0, v42, v44
	ds_load_b64 v[45:46], v38 offset:32
	v_add_co_ci_u32_e64 v48, s0, 0, v43, s0
	v_add_co_u32 v47, s0, v47, 32
	s_delay_alu instid0(VALU_DEP_1) | instskip(SKIP_1) | instid1(VALU_DEP_1)
	v_add_co_ci_u32_e64 v48, s0, 0, v48, s0
	v_add_co_u32 v49, s0, v2, v10
	v_add_co_ci_u32_e64 v50, s0, v23, v11, s0
	s_delay_alu instid0(VALU_DEP_1)
	v_dual_cndmask_b32 v47, v49, v47 :: v_dual_cndmask_b32 v48, v50, v48
	s_waitcnt lgkmcnt(0)
	global_store_b64 v[47:48], v[45:46], off
	s_or_b32 exec_lo, exec_lo, s19
	s_and_saveexec_b32 s19, s4
	s_cbranch_execz .LBB77_23
.LBB77_30:                              ;   in Loop: Header=BB77_10 Depth=1
	v_add_co_u32 v47, s0, v42, v44
	ds_load_b64 v[45:46], v38 offset:48
	v_add_co_ci_u32_e64 v48, s0, 0, v43, s0
	v_add_co_u32 v47, s0, v47, 48
	s_delay_alu instid0(VALU_DEP_1) | instskip(SKIP_1) | instid1(VALU_DEP_1)
	v_add_co_ci_u32_e64 v48, s0, 0, v48, s0
	v_add_co_u32 v49, s0, v2, v12
	v_add_co_ci_u32_e64 v50, s0, v23, v13, s0
	s_delay_alu instid0(VALU_DEP_1)
	v_dual_cndmask_b32 v47, v49, v47 :: v_dual_cndmask_b32 v48, v50, v48
	s_waitcnt lgkmcnt(0)
	global_store_b64 v[47:48], v[45:46], off
	s_or_b32 exec_lo, exec_lo, s19
	s_and_saveexec_b32 s19, s5
	s_cbranch_execz .LBB77_24
.LBB77_31:                              ;   in Loop: Header=BB77_10 Depth=1
	v_add_co_u32 v47, s0, v42, v44
	ds_load_b64 v[45:46], v38 offset:64
	v_add_co_ci_u32_e64 v48, s0, 0, v43, s0
	v_add_co_u32 v47, s0, v47, 64
	s_delay_alu instid0(VALU_DEP_1) | instskip(SKIP_1) | instid1(VALU_DEP_1)
	v_add_co_ci_u32_e64 v48, s0, 0, v48, s0
	v_add_co_u32 v49, s0, v2, v14
	v_add_co_ci_u32_e64 v50, s0, v23, v15, s0
	s_delay_alu instid0(VALU_DEP_1)
	v_dual_cndmask_b32 v47, v49, v47 :: v_dual_cndmask_b32 v48, v50, v48
	s_waitcnt lgkmcnt(0)
	global_store_b64 v[47:48], v[45:46], off
	s_or_b32 exec_lo, exec_lo, s19
	s_and_saveexec_b32 s19, s6
	s_cbranch_execz .LBB77_25
.LBB77_32:                              ;   in Loop: Header=BB77_10 Depth=1
	v_add_co_u32 v47, s0, v42, v44
	ds_load_b64 v[45:46], v38 offset:80
	v_add_co_ci_u32_e64 v48, s0, 0, v43, s0
	v_add_co_u32 v47, s0, 0x50, v47
	s_delay_alu instid0(VALU_DEP_1) | instskip(SKIP_1) | instid1(VALU_DEP_1)
	v_add_co_ci_u32_e64 v48, s0, 0, v48, s0
	v_add_co_u32 v49, s0, v2, v16
	v_add_co_ci_u32_e64 v50, s0, v23, v17, s0
	s_delay_alu instid0(VALU_DEP_1)
	v_dual_cndmask_b32 v47, v49, v47 :: v_dual_cndmask_b32 v48, v50, v48
	s_waitcnt lgkmcnt(0)
	global_store_b64 v[47:48], v[45:46], off
	s_or_b32 exec_lo, exec_lo, s19
	s_and_saveexec_b32 s19, s7
	s_cbranch_execz .LBB77_26
.LBB77_33:                              ;   in Loop: Header=BB77_10 Depth=1
	v_add_co_u32 v47, s0, v42, v44
	ds_load_b64 v[45:46], v38 offset:96
	v_add_co_ci_u32_e64 v48, s0, 0, v43, s0
	v_add_co_u32 v47, s0, 0x60, v47
	s_delay_alu instid0(VALU_DEP_1) | instskip(SKIP_1) | instid1(VALU_DEP_1)
	v_add_co_ci_u32_e64 v48, s0, 0, v48, s0
	v_add_co_u32 v49, s0, v2, v18
	v_add_co_ci_u32_e64 v50, s0, v23, v19, s0
	s_delay_alu instid0(VALU_DEP_1)
	v_dual_cndmask_b32 v47, v49, v47 :: v_dual_cndmask_b32 v48, v50, v48
	s_waitcnt lgkmcnt(0)
	global_store_b64 v[47:48], v[45:46], off
	s_or_b32 exec_lo, exec_lo, s19
	s_and_saveexec_b32 s19, s2
	s_cbranch_execz .LBB77_8
.LBB77_34:                              ;   in Loop: Header=BB77_10 Depth=1
	v_add_co_u32 v44, s0, v42, v44
	s_delay_alu instid0(VALU_DEP_1) | instskip(SKIP_2) | instid1(VALU_DEP_1)
	v_add_co_ci_u32_e64 v45, s0, 0, v43, s0
	ds_load_b64 v[42:43], v38 offset:112
	v_add_co_u32 v44, s0, 0x70, v44
	v_add_co_ci_u32_e64 v45, s0, 0, v45, s0
	v_add_co_u32 v2, s0, v2, v20
	s_delay_alu instid0(VALU_DEP_1) | instskip(NEXT) | instid1(VALU_DEP_1)
	v_add_co_ci_u32_e64 v23, s0, v23, v21, s0
	v_dual_cndmask_b32 v44, v2, v44 :: v_dual_cndmask_b32 v45, v23, v45
	s_waitcnt lgkmcnt(0)
	global_store_b64 v[44:45], v[42:43], off
	s_branch .LBB77_8
.LBB77_35:
	s_endpgm
	.section	.rodata,"a",@progbits
	.p2align	6, 0x0
	.amdhsa_kernel _ZN9rocsparseL42csr2bsr_wavefront_per_row_multipass_kernelILj256ELj32ELj16E21rocsparse_complex_numIfEiiEEv20rocsparse_direction_T4_S4_S4_S4_S4_21rocsparse_index_base_PKT2_PKT3_PKS4_S5_PS6_PS9_PS4_
		.amdhsa_group_segment_fixed_size 16392
		.amdhsa_private_segment_fixed_size 0
		.amdhsa_kernarg_size 88
		.amdhsa_user_sgpr_count 15
		.amdhsa_user_sgpr_dispatch_ptr 0
		.amdhsa_user_sgpr_queue_ptr 0
		.amdhsa_user_sgpr_kernarg_segment_ptr 1
		.amdhsa_user_sgpr_dispatch_id 0
		.amdhsa_user_sgpr_private_segment_size 0
		.amdhsa_wavefront_size32 1
		.amdhsa_uses_dynamic_stack 0
		.amdhsa_enable_private_segment 0
		.amdhsa_system_sgpr_workgroup_id_x 1
		.amdhsa_system_sgpr_workgroup_id_y 0
		.amdhsa_system_sgpr_workgroup_id_z 0
		.amdhsa_system_sgpr_workgroup_info 0
		.amdhsa_system_vgpr_workitem_id 0
		.amdhsa_next_free_vgpr 51
		.amdhsa_next_free_sgpr 28
		.amdhsa_reserve_vcc 1
		.amdhsa_float_round_mode_32 0
		.amdhsa_float_round_mode_16_64 0
		.amdhsa_float_denorm_mode_32 3
		.amdhsa_float_denorm_mode_16_64 3
		.amdhsa_dx10_clamp 1
		.amdhsa_ieee_mode 1
		.amdhsa_fp16_overflow 0
		.amdhsa_workgroup_processor_mode 1
		.amdhsa_memory_ordered 1
		.amdhsa_forward_progress 0
		.amdhsa_shared_vgpr_count 0
		.amdhsa_exception_fp_ieee_invalid_op 0
		.amdhsa_exception_fp_denorm_src 0
		.amdhsa_exception_fp_ieee_div_zero 0
		.amdhsa_exception_fp_ieee_overflow 0
		.amdhsa_exception_fp_ieee_underflow 0
		.amdhsa_exception_fp_ieee_inexact 0
		.amdhsa_exception_int_div_zero 0
	.end_amdhsa_kernel
	.section	.text._ZN9rocsparseL42csr2bsr_wavefront_per_row_multipass_kernelILj256ELj32ELj16E21rocsparse_complex_numIfEiiEEv20rocsparse_direction_T4_S4_S4_S4_S4_21rocsparse_index_base_PKT2_PKT3_PKS4_S5_PS6_PS9_PS4_,"axG",@progbits,_ZN9rocsparseL42csr2bsr_wavefront_per_row_multipass_kernelILj256ELj32ELj16E21rocsparse_complex_numIfEiiEEv20rocsparse_direction_T4_S4_S4_S4_S4_21rocsparse_index_base_PKT2_PKT3_PKS4_S5_PS6_PS9_PS4_,comdat
.Lfunc_end77:
	.size	_ZN9rocsparseL42csr2bsr_wavefront_per_row_multipass_kernelILj256ELj32ELj16E21rocsparse_complex_numIfEiiEEv20rocsparse_direction_T4_S4_S4_S4_S4_21rocsparse_index_base_PKT2_PKT3_PKS4_S5_PS6_PS9_PS4_, .Lfunc_end77-_ZN9rocsparseL42csr2bsr_wavefront_per_row_multipass_kernelILj256ELj32ELj16E21rocsparse_complex_numIfEiiEEv20rocsparse_direction_T4_S4_S4_S4_S4_21rocsparse_index_base_PKT2_PKT3_PKS4_S5_PS6_PS9_PS4_
                                        ; -- End function
	.section	.AMDGPU.csdata,"",@progbits
; Kernel info:
; codeLenInByte = 2636
; NumSgprs: 30
; NumVgprs: 51
; ScratchSize: 0
; MemoryBound: 0
; FloatMode: 240
; IeeeMode: 1
; LDSByteSize: 16392 bytes/workgroup (compile time only)
; SGPRBlocks: 3
; VGPRBlocks: 6
; NumSGPRsForWavesPerEU: 30
; NumVGPRsForWavesPerEU: 51
; Occupancy: 14
; WaveLimiterHint : 0
; COMPUTE_PGM_RSRC2:SCRATCH_EN: 0
; COMPUTE_PGM_RSRC2:USER_SGPR: 15
; COMPUTE_PGM_RSRC2:TRAP_HANDLER: 0
; COMPUTE_PGM_RSRC2:TGID_X_EN: 1
; COMPUTE_PGM_RSRC2:TGID_Y_EN: 0
; COMPUTE_PGM_RSRC2:TGID_Z_EN: 0
; COMPUTE_PGM_RSRC2:TIDIG_COMP_CNT: 0
	.section	.text._ZN9rocsparseL38csr2bsr_block_per_row_multipass_kernelILj256ELj32E21rocsparse_complex_numIfEiiEEv20rocsparse_direction_T3_S4_S4_S4_S4_21rocsparse_index_base_PKT1_PKT2_PKS4_S5_PS6_PS9_PS4_,"axG",@progbits,_ZN9rocsparseL38csr2bsr_block_per_row_multipass_kernelILj256ELj32E21rocsparse_complex_numIfEiiEEv20rocsparse_direction_T3_S4_S4_S4_S4_21rocsparse_index_base_PKT1_PKT2_PKS4_S5_PS6_PS9_PS4_,comdat
	.globl	_ZN9rocsparseL38csr2bsr_block_per_row_multipass_kernelILj256ELj32E21rocsparse_complex_numIfEiiEEv20rocsparse_direction_T3_S4_S4_S4_S4_21rocsparse_index_base_PKT1_PKT2_PKS4_S5_PS6_PS9_PS4_ ; -- Begin function _ZN9rocsparseL38csr2bsr_block_per_row_multipass_kernelILj256ELj32E21rocsparse_complex_numIfEiiEEv20rocsparse_direction_T3_S4_S4_S4_S4_21rocsparse_index_base_PKT1_PKT2_PKS4_S5_PS6_PS9_PS4_
	.p2align	8
	.type	_ZN9rocsparseL38csr2bsr_block_per_row_multipass_kernelILj256ELj32E21rocsparse_complex_numIfEiiEEv20rocsparse_direction_T3_S4_S4_S4_S4_21rocsparse_index_base_PKT1_PKT2_PKS4_S5_PS6_PS9_PS4_,@function
_ZN9rocsparseL38csr2bsr_block_per_row_multipass_kernelILj256ELj32E21rocsparse_complex_numIfEiiEEv20rocsparse_direction_T3_S4_S4_S4_S4_21rocsparse_index_base_PKT1_PKT2_PKS4_S5_PS6_PS9_PS4_: ; @_ZN9rocsparseL38csr2bsr_block_per_row_multipass_kernelILj256ELj32E21rocsparse_complex_numIfEiiEEv20rocsparse_direction_T3_S4_S4_S4_S4_21rocsparse_index_base_PKT1_PKT2_PKS4_S5_PS6_PS9_PS4_
; %bb.0:
	s_clause 0x1
	s_load_b128 s[16:19], s[0:1], 0x10
	s_load_b64 s[8:9], s[0:1], 0x0
	v_lshrrev_b32_e32 v1, 3, v0
	s_load_b64 s[6:7], s[0:1], 0x28
	s_mov_b32 s4, s15
	v_mov_b32_e32 v13, 0
	v_mov_b32_e32 v11, 0
	s_waitcnt lgkmcnt(0)
	v_mad_u64_u32 v[2:3], null, s4, s17, v[1:2]
	v_cmp_gt_i32_e32 vcc_lo, s17, v1
	s_delay_alu instid0(VALU_DEP_2) | instskip(NEXT) | instid1(VALU_DEP_1)
	v_cmp_gt_i32_e64 s2, s9, v2
	s_and_b32 s3, vcc_lo, s2
	s_delay_alu instid0(SALU_CYCLE_1)
	s_and_saveexec_b32 s5, s3
	s_cbranch_execnz .LBB78_3
; %bb.1:
	s_or_b32 exec_lo, exec_lo, s5
	s_and_saveexec_b32 s5, s3
	s_cbranch_execnz .LBB78_4
.LBB78_2:
	s_or_b32 exec_lo, exec_lo, s5
	s_cmp_lt_i32 s16, 1
	s_cbranch_scc0 .LBB78_5
	s_branch .LBB78_41
.LBB78_3:
	v_ashrrev_i32_e32 v3, 31, v2
	s_delay_alu instid0(VALU_DEP_1) | instskip(NEXT) | instid1(VALU_DEP_1)
	v_lshlrev_b64 v[3:4], 2, v[2:3]
	v_add_co_u32 v3, s2, s6, v3
	s_delay_alu instid0(VALU_DEP_1)
	v_add_co_ci_u32_e64 v4, s2, s7, v4, s2
	global_load_b32 v3, v[3:4], off
	s_waitcnt vmcnt(0)
	v_subrev_nc_u32_e32 v11, s18, v3
	s_or_b32 exec_lo, exec_lo, s5
	s_and_saveexec_b32 s5, s3
	s_cbranch_execz .LBB78_2
.LBB78_4:
	v_ashrrev_i32_e32 v3, 31, v2
	s_delay_alu instid0(VALU_DEP_1) | instskip(NEXT) | instid1(VALU_DEP_1)
	v_lshlrev_b64 v[2:3], 2, v[2:3]
	v_add_co_u32 v2, s2, s6, v2
	s_delay_alu instid0(VALU_DEP_1)
	v_add_co_ci_u32_e64 v3, s2, s7, v3, s2
	global_load_b32 v2, v[2:3], off offset:4
	s_waitcnt vmcnt(0)
	v_subrev_nc_u32_e32 v13, s18, v2
	s_or_b32 exec_lo, exec_lo, s5
	s_cmp_lt_i32 s16, 1
	s_cbranch_scc1 .LBB78_41
.LBB78_5:
	s_clause 0x4
	s_load_b128 s[20:23], s[0:1], 0x40
	s_load_b64 s[14:15], s[0:1], 0x50
	s_load_b64 s[24:25], s[0:1], 0x20
	;; [unrolled: 1-line block ×3, first 2 shown]
	s_load_b32 s19, s[0:1], 0x38
	s_ashr_i32 s5, s4, 31
	v_mbcnt_lo_u32_b32 v5, -1, 0
	s_lshl_b64 s[0:1], s[4:5], 2
	s_mov_b32 s10, 0
	v_cmp_gt_u32_e64 s2, 32, v0
	v_cmp_gt_u32_e64 s3, 16, v0
	;; [unrolled: 1-line block ×5, first 2 shown]
	s_mov_b32 s11, s10
	v_dual_mov_b32 v3, s10 :: v_dual_and_b32 v14, 7, v0
	v_cmp_eq_u32_e64 s7, 0, v0
	v_dual_mov_b32 v4, s11 :: v_dual_lshlrev_b32 v7, 3, v1
	s_waitcnt lgkmcnt(0)
	s_add_u32 s0, s22, s0
	s_addc_u32 s1, s23, s1
	v_xor_b32_e32 v6, 2, v5
	s_load_b32 s12, s[0:1], 0x0
	v_cmp_gt_u32_e64 s0, 0x80, v0
	v_cmp_gt_u32_e64 s1, 64, v0
	v_xor_b32_e32 v9, 1, v5
	v_dual_mov_b32 v2, 0 :: v_dual_lshlrev_b32 v15, 5, v1
	v_mul_lo_u32 v1, v1, s17
	v_lshl_or_b32 v17, v5, 2, 28
	v_or_b32_e32 v19, 8, v14
	v_or_b32_e32 v22, 24, v14
	;; [unrolled: 1-line block ×3, first 2 shown]
	v_lshlrev_b32_e32 v12, 3, v14
	v_or_b32_e32 v18, v15, v14
	v_cmp_gt_u32_e64 s9, s17, v14
	v_lshlrev_b64 v[24:25], 3, v[1:2]
	v_mul_lo_u32 v1, v14, s17
	v_cmp_gt_u32_e64 s11, s17, v20
	v_lshlrev_b32_e32 v18, 3, v18
	s_mul_hi_u32 s28, s17, s17
	s_mul_i32 s29, s17, s17
	s_waitcnt lgkmcnt(0)
	s_sub_i32 s22, s12, s19
	s_cmp_eq_u32 s8, 0
	v_cmp_gt_u32_e64 s12, s17, v22
	s_cselect_b32 s8, -1, 0
	s_abs_i32 s30, s17
	s_lshl_b32 s23, s17, 3
	v_cvt_f32_u32_e32 v21, s30
	s_sub_i32 s13, 0, s30
	v_mov_b32_e32 v28, v2
	s_and_b32 s11, vcc_lo, s11
	s_and_b32 s12, vcc_lo, s12
	v_rcp_iflag_f32_e32 v21, v21
	v_lshlrev_b32_e32 v16, 2, v0
	v_xor_b32_e32 v0, 4, v5
	s_delay_alu instid0(VALU_DEP_1) | instskip(NEXT) | instid1(VALU_DEP_1)
	v_cmp_gt_i32_e64 s10, 32, v0
	v_cndmask_b32_e64 v0, v5, v0, s10
	v_cmp_gt_i32_e64 s10, 32, v6
	v_mov_b32_e32 v8, v2
	s_delay_alu instid0(VALU_DEP_2) | instskip(SKIP_1) | instid1(VALU_DEP_2)
	v_cndmask_b32_e64 v6, v5, v6, s10
	v_cmp_gt_i32_e64 s10, 32, v9
	v_lshlrev_b32_e32 v20, 2, v6
	s_delay_alu instid0(VALU_DEP_2) | instskip(SKIP_3) | instid1(VALU_DEP_4)
	v_cndmask_b32_e64 v5, v5, v9, s10
	v_mul_f32_e32 v9, 0x4f7ffffe, v21
	v_cmp_gt_u32_e64 s10, s17, v19
	v_dual_mov_b32 v10, v2 :: v_dual_lshlrev_b32 v19, 2, v0
	v_lshlrev_b32_e32 v21, 2, v5
	s_delay_alu instid0(VALU_DEP_4) | instskip(SKIP_2) | instid1(VALU_DEP_2)
	v_cvt_u32_f32_e32 v26, v9
	v_lshlrev_b64 v[5:6], 3, v[1:2]
	s_and_b32 s10, vcc_lo, s10
	v_mul_lo_u32 v0, s13, v26
	v_add_co_u32 v22, s13, s20, v7
	v_add_nc_u32_e32 v7, s23, v1
	v_add_co_ci_u32_e64 v23, null, s21, 0, s13
	v_add_co_u32 v1, s13, s20, v24
	s_delay_alu instid0(VALU_DEP_3) | instskip(SKIP_2) | instid1(VALU_DEP_4)
	v_add_nc_u32_e32 v9, s23, v7
	v_mul_hi_u32 v29, v26, v0
	v_add_co_ci_u32_e64 v25, s13, s21, v25, s13
	v_add_co_u32 v24, s13, v1, v12
	s_delay_alu instid0(VALU_DEP_4) | instskip(SKIP_3) | instid1(VALU_DEP_4)
	v_add_nc_u32_e32 v27, s23, v9
	v_lshlrev_b64 v[0:1], 3, v[7:8]
	v_lshlrev_b64 v[7:8], 3, v[9:10]
	v_add_co_ci_u32_e64 v25, s13, 0, v25, s13
	v_lshlrev_b64 v[9:10], 3, v[27:28]
	v_dual_mov_b32 v27, 1 :: v_dual_add_nc_u32 v26, v26, v29
	v_mov_b32_e32 v29, 0
	s_and_b32 s13, vcc_lo, s9
	s_ashr_i32 s20, s17, 31
	s_branch .LBB78_7
.LBB78_6:                               ;   in Loop: Header=BB78_7 Depth=1
	s_or_b32 exec_lo, exec_lo, s21
	s_waitcnt lgkmcnt(0)
	s_barrier
	buffer_gl0_inv
	ds_load_b32 v29, v2
	s_add_i32 s22, s9, s22
	s_waitcnt lgkmcnt(0)
	s_barrier
	buffer_gl0_inv
	v_cmp_gt_i32_e32 vcc_lo, s16, v29
	s_cbranch_vccz .LBB78_41
.LBB78_7:                               ; =>This Loop Header: Depth=1
                                        ;     Child Loop BB78_10 Depth 2
	v_dual_mov_b32 v28, s16 :: v_dual_add_nc_u32 v11, v11, v14
	v_mov_b32_e32 v31, v13
	s_mov_b32 s21, exec_lo
	ds_store_b8 v2, v2 offset:8192
	ds_store_2addr_b64 v18, v[3:4], v[3:4] offset1:8
	ds_store_2addr_b64 v18, v[3:4], v[3:4] offset0:16 offset1:24
	s_waitcnt lgkmcnt(0)
	s_barrier
	buffer_gl0_inv
	v_cmpx_lt_i32_e64 v11, v13
	s_cbranch_execz .LBB78_15
; %bb.8:                                ;   in Loop: Header=BB78_7 Depth=1
	v_mul_lo_u32 v30, v29, s17
	v_dual_mov_b32 v28, s16 :: v_dual_mov_b32 v31, v13
	s_mov_b32 s23, 0
	s_branch .LBB78_10
.LBB78_9:                               ;   in Loop: Header=BB78_10 Depth=2
	s_or_b32 exec_lo, exec_lo, s31
	v_add_nc_u32_e32 v11, 8, v11
	s_xor_b32 s31, vcc_lo, -1
	s_delay_alu instid0(VALU_DEP_1) | instskip(NEXT) | instid1(VALU_DEP_1)
	v_cmp_ge_i32_e64 s9, v11, v13
	s_or_b32 s9, s31, s9
	s_delay_alu instid0(SALU_CYCLE_1) | instskip(NEXT) | instid1(SALU_CYCLE_1)
	s_and_b32 s9, exec_lo, s9
	s_or_b32 s23, s9, s23
	s_delay_alu instid0(SALU_CYCLE_1)
	s_and_not1_b32 exec_lo, exec_lo, s23
	s_cbranch_execz .LBB78_14
.LBB78_10:                              ;   Parent Loop BB78_7 Depth=1
                                        ; =>  This Inner Loop Header: Depth=2
	v_ashrrev_i32_e32 v12, 31, v11
	s_delay_alu instid0(VALU_DEP_1) | instskip(NEXT) | instid1(VALU_DEP_1)
	v_lshlrev_b64 v[32:33], 2, v[11:12]
	v_add_co_u32 v32, vcc_lo, s26, v32
	s_delay_alu instid0(VALU_DEP_2) | instskip(SKIP_3) | instid1(VALU_DEP_1)
	v_add_co_ci_u32_e32 v33, vcc_lo, s27, v33, vcc_lo
	global_load_b32 v32, v[32:33], off
	s_waitcnt vmcnt(0)
	v_subrev_nc_u32_e32 v32, s18, v32
	v_sub_nc_u32_e32 v33, 0, v32
	s_delay_alu instid0(VALU_DEP_1) | instskip(NEXT) | instid1(VALU_DEP_1)
	v_max_i32_e32 v33, v32, v33
	v_mul_hi_u32 v34, v33, v26
	s_delay_alu instid0(VALU_DEP_1) | instskip(NEXT) | instid1(VALU_DEP_1)
	v_mul_lo_u32 v35, v34, s30
	v_sub_nc_u32_e32 v33, v33, v35
	v_add_nc_u32_e32 v35, 1, v34
	s_delay_alu instid0(VALU_DEP_2) | instskip(SKIP_1) | instid1(VALU_DEP_2)
	v_subrev_nc_u32_e32 v36, s30, v33
	v_cmp_le_u32_e32 vcc_lo, s30, v33
	v_dual_cndmask_b32 v34, v34, v35 :: v_dual_cndmask_b32 v33, v33, v36
	v_ashrrev_i32_e32 v35, 31, v32
	s_delay_alu instid0(VALU_DEP_2) | instskip(NEXT) | instid1(VALU_DEP_3)
	v_add_nc_u32_e32 v36, 1, v34
	v_cmp_le_u32_e32 vcc_lo, s30, v33
	s_delay_alu instid0(VALU_DEP_3) | instskip(NEXT) | instid1(VALU_DEP_3)
	v_xor_b32_e32 v35, s20, v35
	v_cndmask_b32_e32 v33, v34, v36, vcc_lo
	s_delay_alu instid0(VALU_DEP_1) | instskip(NEXT) | instid1(VALU_DEP_1)
	v_xor_b32_e32 v33, v33, v35
	v_sub_nc_u32_e32 v34, v33, v35
	v_mov_b32_e32 v33, v31
	s_delay_alu instid0(VALU_DEP_2) | instskip(SKIP_1) | instid1(VALU_DEP_1)
	v_cmp_eq_u32_e32 vcc_lo, v34, v29
	v_cmp_ne_u32_e64 s9, v34, v29
	s_and_saveexec_b32 s31, s9
	s_delay_alu instid0(SALU_CYCLE_1)
	s_xor_b32 s9, exec_lo, s31
; %bb.11:                               ;   in Loop: Header=BB78_10 Depth=2
	v_min_i32_e32 v28, v34, v28
                                        ; implicit-def: $vgpr32
                                        ; implicit-def: $vgpr33
; %bb.12:                               ;   in Loop: Header=BB78_10 Depth=2
	s_or_saveexec_b32 s31, s9
	v_mov_b32_e32 v31, v11
	s_xor_b32 exec_lo, exec_lo, s31
	s_cbranch_execz .LBB78_9
; %bb.13:                               ;   in Loop: Header=BB78_10 Depth=2
	v_lshlrev_b64 v[34:35], 3, v[11:12]
	v_sub_nc_u32_e32 v12, v32, v30
	v_mov_b32_e32 v31, v33
	s_delay_alu instid0(VALU_DEP_2) | instskip(NEXT) | instid1(VALU_DEP_4)
	v_add_lshl_u32 v12, v12, v15, 3
	v_add_co_u32 v34, s9, s24, v34
	s_delay_alu instid0(VALU_DEP_1)
	v_add_co_ci_u32_e64 v35, s9, s25, v35, s9
	global_load_b64 v[34:35], v[34:35], off
	ds_store_b8 v2, v27 offset:8192
	s_waitcnt vmcnt(0)
	ds_store_b64 v12, v[34:35]
	s_branch .LBB78_9
.LBB78_14:                              ;   in Loop: Header=BB78_7 Depth=1
	s_or_b32 exec_lo, exec_lo, s23
.LBB78_15:                              ;   in Loop: Header=BB78_7 Depth=1
	s_delay_alu instid0(SALU_CYCLE_1)
	s_or_b32 exec_lo, exec_lo, s21
	ds_bpermute_b32 v11, v19, v31
	s_waitcnt lgkmcnt(0)
	s_barrier
	buffer_gl0_inv
	ds_load_u8 v30, v2 offset:8192
	s_mov_b32 s9, 0
	v_min_i32_e32 v11, v11, v31
	s_waitcnt lgkmcnt(0)
	v_cmp_eq_u32_e32 vcc_lo, 0, v30
	ds_bpermute_b32 v12, v20, v11
	s_and_b32 vcc_lo, exec_lo, vcc_lo
	s_waitcnt lgkmcnt(0)
	v_min_i32_e32 v11, v12, v11
	ds_bpermute_b32 v12, v21, v11
	s_waitcnt lgkmcnt(0)
	v_min_i32_e32 v11, v12, v11
	ds_bpermute_b32 v11, v17, v11
	s_cbranch_vccnz .LBB78_22
; %bb.16:                               ;   in Loop: Header=BB78_7 Depth=1
	s_ashr_i32 s23, s22, 31
	s_mul_hi_u32 s9, s29, s22
	s_lshl_b64 s[34:35], s[22:23], 2
	s_mul_i32 s21, s29, s23
	s_add_u32 s34, s14, s34
	s_addc_u32 s35, s15, s35
	s_add_i32 s9, s9, s21
	s_mul_i32 s21, s28, s22
	s_mul_i32 s36, s29, s22
	s_add_i32 s37, s9, s21
	v_add_nc_u32_e32 v32, s19, v29
	s_lshl_b64 s[36:37], s[36:37], 3
	s_delay_alu instid0(SALU_CYCLE_1)
	v_add_co_u32 v12, vcc_lo, v22, s36
	v_add_co_ci_u32_e32 v29, vcc_lo, s37, v23, vcc_lo
	v_add_co_u32 v30, vcc_lo, v24, s36
	v_add_co_ci_u32_e32 v31, vcc_lo, s37, v25, vcc_lo
	global_store_b32 v2, v32, s[34:35]
	s_and_saveexec_b32 s9, s13
	s_cbranch_execnz .LBB78_38
; %bb.17:                               ;   in Loop: Header=BB78_7 Depth=1
	s_or_b32 exec_lo, exec_lo, s9
	s_and_saveexec_b32 s9, s10
	s_cbranch_execnz .LBB78_39
.LBB78_18:                              ;   in Loop: Header=BB78_7 Depth=1
	s_or_b32 exec_lo, exec_lo, s9
	s_and_saveexec_b32 s9, s11
	s_cbranch_execnz .LBB78_40
.LBB78_19:                              ;   in Loop: Header=BB78_7 Depth=1
	s_or_b32 exec_lo, exec_lo, s9
	s_and_saveexec_b32 s9, s12
	s_cbranch_execz .LBB78_21
.LBB78_20:                              ;   in Loop: Header=BB78_7 Depth=1
	ds_load_b64 v[32:33], v18 offset:192
	v_add_co_u32 v34, vcc_lo, 0xc0, v30
	v_add_co_ci_u32_e32 v30, vcc_lo, 0, v31, vcc_lo
	v_add_co_u32 v12, vcc_lo, v12, v9
	v_add_co_ci_u32_e32 v29, vcc_lo, v29, v10, vcc_lo
	s_delay_alu instid0(VALU_DEP_1) | instskip(NEXT) | instid1(VALU_DEP_3)
	v_cndmask_b32_e64 v30, v29, v30, s8
	v_cndmask_b32_e64 v29, v12, v34, s8
	s_waitcnt lgkmcnt(0)
	global_store_b64 v[29:30], v[32:33], off
.LBB78_21:                              ;   in Loop: Header=BB78_7 Depth=1
	s_or_b32 exec_lo, exec_lo, s9
	s_mov_b32 s9, 1
.LBB78_22:                              ;   in Loop: Header=BB78_7 Depth=1
	s_waitcnt lgkmcnt(0)
	s_waitcnt_vscnt null, 0x0
	s_barrier
	buffer_gl0_inv
	ds_store_b32 v16, v28
	s_waitcnt lgkmcnt(0)
	s_barrier
	buffer_gl0_inv
	s_and_saveexec_b32 s21, s0
	s_cbranch_execz .LBB78_24
; %bb.23:                               ;   in Loop: Header=BB78_7 Depth=1
	ds_load_2addr_stride64_b32 v[28:29], v16 offset1:2
	s_waitcnt lgkmcnt(0)
	v_min_i32_e32 v12, v29, v28
	ds_store_b32 v16, v12
.LBB78_24:                              ;   in Loop: Header=BB78_7 Depth=1
	s_or_b32 exec_lo, exec_lo, s21
	s_waitcnt lgkmcnt(0)
	s_barrier
	buffer_gl0_inv
	s_and_saveexec_b32 s21, s1
	s_cbranch_execz .LBB78_26
; %bb.25:                               ;   in Loop: Header=BB78_7 Depth=1
	ds_load_2addr_stride64_b32 v[28:29], v16 offset1:1
	s_waitcnt lgkmcnt(0)
	v_min_i32_e32 v12, v29, v28
	ds_store_b32 v16, v12
.LBB78_26:                              ;   in Loop: Header=BB78_7 Depth=1
	s_or_b32 exec_lo, exec_lo, s21
	s_waitcnt lgkmcnt(0)
	s_barrier
	buffer_gl0_inv
	s_and_saveexec_b32 s21, s2
	s_cbranch_execz .LBB78_28
; %bb.27:                               ;   in Loop: Header=BB78_7 Depth=1
	ds_load_2addr_b32 v[28:29], v16 offset1:32
	s_waitcnt lgkmcnt(0)
	v_min_i32_e32 v12, v29, v28
	ds_store_b32 v16, v12
.LBB78_28:                              ;   in Loop: Header=BB78_7 Depth=1
	s_or_b32 exec_lo, exec_lo, s21
	s_waitcnt lgkmcnt(0)
	s_barrier
	buffer_gl0_inv
	s_and_saveexec_b32 s21, s3
	s_cbranch_execz .LBB78_30
; %bb.29:                               ;   in Loop: Header=BB78_7 Depth=1
	ds_load_2addr_b32 v[28:29], v16 offset1:16
	s_waitcnt lgkmcnt(0)
	v_min_i32_e32 v12, v29, v28
	ds_store_b32 v16, v12
.LBB78_30:                              ;   in Loop: Header=BB78_7 Depth=1
	;; [unrolled: 12-line block ×5, first 2 shown]
	s_or_b32 exec_lo, exec_lo, s21
	s_waitcnt lgkmcnt(0)
	s_barrier
	buffer_gl0_inv
	s_and_saveexec_b32 s21, s7
	s_cbranch_execz .LBB78_6
; %bb.37:                               ;   in Loop: Header=BB78_7 Depth=1
	ds_load_b64 v[28:29], v2
	s_waitcnt lgkmcnt(0)
	v_min_i32_e32 v12, v29, v28
	ds_store_b32 v2, v12
	s_branch .LBB78_6
.LBB78_38:                              ;   in Loop: Header=BB78_7 Depth=1
	ds_load_b64 v[32:33], v18
	v_add_co_u32 v34, vcc_lo, v12, v5
	v_add_co_ci_u32_e32 v35, vcc_lo, v29, v6, vcc_lo
	s_delay_alu instid0(VALU_DEP_2) | instskip(NEXT) | instid1(VALU_DEP_2)
	v_cndmask_b32_e64 v34, v34, v30, s8
	v_cndmask_b32_e64 v35, v35, v31, s8
	s_waitcnt lgkmcnt(0)
	global_store_b64 v[34:35], v[32:33], off
	s_or_b32 exec_lo, exec_lo, s9
	s_and_saveexec_b32 s9, s10
	s_cbranch_execz .LBB78_18
.LBB78_39:                              ;   in Loop: Header=BB78_7 Depth=1
	ds_load_b64 v[32:33], v18 offset:64
	v_add_co_u32 v34, vcc_lo, v30, 64
	v_add_co_ci_u32_e32 v35, vcc_lo, 0, v31, vcc_lo
	v_add_co_u32 v36, vcc_lo, v12, v0
	v_add_co_ci_u32_e32 v37, vcc_lo, v29, v1, vcc_lo
	s_delay_alu instid0(VALU_DEP_2) | instskip(NEXT) | instid1(VALU_DEP_2)
	v_cndmask_b32_e64 v34, v36, v34, s8
	v_cndmask_b32_e64 v35, v37, v35, s8
	s_waitcnt lgkmcnt(0)
	global_store_b64 v[34:35], v[32:33], off
	s_or_b32 exec_lo, exec_lo, s9
	s_and_saveexec_b32 s9, s11
	s_cbranch_execz .LBB78_19
.LBB78_40:                              ;   in Loop: Header=BB78_7 Depth=1
	ds_load_b64 v[32:33], v18 offset:128
	v_add_co_u32 v34, vcc_lo, 0x80, v30
	v_add_co_ci_u32_e32 v35, vcc_lo, 0, v31, vcc_lo
	v_add_co_u32 v36, vcc_lo, v12, v7
	v_add_co_ci_u32_e32 v37, vcc_lo, v29, v8, vcc_lo
	s_delay_alu instid0(VALU_DEP_2) | instskip(NEXT) | instid1(VALU_DEP_2)
	v_cndmask_b32_e64 v34, v36, v34, s8
	v_cndmask_b32_e64 v35, v37, v35, s8
	s_waitcnt lgkmcnt(0)
	global_store_b64 v[34:35], v[32:33], off
	s_or_b32 exec_lo, exec_lo, s9
	s_and_saveexec_b32 s9, s12
	s_cbranch_execnz .LBB78_20
	s_branch .LBB78_21
.LBB78_41:
	s_endpgm
	.section	.rodata,"a",@progbits
	.p2align	6, 0x0
	.amdhsa_kernel _ZN9rocsparseL38csr2bsr_block_per_row_multipass_kernelILj256ELj32E21rocsparse_complex_numIfEiiEEv20rocsparse_direction_T3_S4_S4_S4_S4_21rocsparse_index_base_PKT1_PKT2_PKS4_S5_PS6_PS9_PS4_
		.amdhsa_group_segment_fixed_size 8196
		.amdhsa_private_segment_fixed_size 0
		.amdhsa_kernarg_size 88
		.amdhsa_user_sgpr_count 15
		.amdhsa_user_sgpr_dispatch_ptr 0
		.amdhsa_user_sgpr_queue_ptr 0
		.amdhsa_user_sgpr_kernarg_segment_ptr 1
		.amdhsa_user_sgpr_dispatch_id 0
		.amdhsa_user_sgpr_private_segment_size 0
		.amdhsa_wavefront_size32 1
		.amdhsa_uses_dynamic_stack 0
		.amdhsa_enable_private_segment 0
		.amdhsa_system_sgpr_workgroup_id_x 1
		.amdhsa_system_sgpr_workgroup_id_y 0
		.amdhsa_system_sgpr_workgroup_id_z 0
		.amdhsa_system_sgpr_workgroup_info 0
		.amdhsa_system_vgpr_workitem_id 0
		.amdhsa_next_free_vgpr 38
		.amdhsa_next_free_sgpr 38
		.amdhsa_reserve_vcc 1
		.amdhsa_float_round_mode_32 0
		.amdhsa_float_round_mode_16_64 0
		.amdhsa_float_denorm_mode_32 3
		.amdhsa_float_denorm_mode_16_64 3
		.amdhsa_dx10_clamp 1
		.amdhsa_ieee_mode 1
		.amdhsa_fp16_overflow 0
		.amdhsa_workgroup_processor_mode 1
		.amdhsa_memory_ordered 1
		.amdhsa_forward_progress 0
		.amdhsa_shared_vgpr_count 0
		.amdhsa_exception_fp_ieee_invalid_op 0
		.amdhsa_exception_fp_denorm_src 0
		.amdhsa_exception_fp_ieee_div_zero 0
		.amdhsa_exception_fp_ieee_overflow 0
		.amdhsa_exception_fp_ieee_underflow 0
		.amdhsa_exception_fp_ieee_inexact 0
		.amdhsa_exception_int_div_zero 0
	.end_amdhsa_kernel
	.section	.text._ZN9rocsparseL38csr2bsr_block_per_row_multipass_kernelILj256ELj32E21rocsparse_complex_numIfEiiEEv20rocsparse_direction_T3_S4_S4_S4_S4_21rocsparse_index_base_PKT1_PKT2_PKS4_S5_PS6_PS9_PS4_,"axG",@progbits,_ZN9rocsparseL38csr2bsr_block_per_row_multipass_kernelILj256ELj32E21rocsparse_complex_numIfEiiEEv20rocsparse_direction_T3_S4_S4_S4_S4_21rocsparse_index_base_PKT1_PKT2_PKS4_S5_PS6_PS9_PS4_,comdat
.Lfunc_end78:
	.size	_ZN9rocsparseL38csr2bsr_block_per_row_multipass_kernelILj256ELj32E21rocsparse_complex_numIfEiiEEv20rocsparse_direction_T3_S4_S4_S4_S4_21rocsparse_index_base_PKT1_PKT2_PKS4_S5_PS6_PS9_PS4_, .Lfunc_end78-_ZN9rocsparseL38csr2bsr_block_per_row_multipass_kernelILj256ELj32E21rocsparse_complex_numIfEiiEEv20rocsparse_direction_T3_S4_S4_S4_S4_21rocsparse_index_base_PKT1_PKT2_PKS4_S5_PS6_PS9_PS4_
                                        ; -- End function
	.section	.AMDGPU.csdata,"",@progbits
; Kernel info:
; codeLenInByte = 2288
; NumSgprs: 40
; NumVgprs: 38
; ScratchSize: 0
; MemoryBound: 0
; FloatMode: 240
; IeeeMode: 1
; LDSByteSize: 8196 bytes/workgroup (compile time only)
; SGPRBlocks: 4
; VGPRBlocks: 4
; NumSGPRsForWavesPerEU: 40
; NumVGPRsForWavesPerEU: 38
; Occupancy: 16
; WaveLimiterHint : 0
; COMPUTE_PGM_RSRC2:SCRATCH_EN: 0
; COMPUTE_PGM_RSRC2:USER_SGPR: 15
; COMPUTE_PGM_RSRC2:TRAP_HANDLER: 0
; COMPUTE_PGM_RSRC2:TGID_X_EN: 1
; COMPUTE_PGM_RSRC2:TGID_Y_EN: 0
; COMPUTE_PGM_RSRC2:TGID_Z_EN: 0
; COMPUTE_PGM_RSRC2:TIDIG_COMP_CNT: 0
	.section	.text._ZN9rocsparseL38csr2bsr_block_per_row_multipass_kernelILj256ELj64E21rocsparse_complex_numIfEiiEEv20rocsparse_direction_T3_S4_S4_S4_S4_21rocsparse_index_base_PKT1_PKT2_PKS4_S5_PS6_PS9_PS4_,"axG",@progbits,_ZN9rocsparseL38csr2bsr_block_per_row_multipass_kernelILj256ELj64E21rocsparse_complex_numIfEiiEEv20rocsparse_direction_T3_S4_S4_S4_S4_21rocsparse_index_base_PKT1_PKT2_PKS4_S5_PS6_PS9_PS4_,comdat
	.globl	_ZN9rocsparseL38csr2bsr_block_per_row_multipass_kernelILj256ELj64E21rocsparse_complex_numIfEiiEEv20rocsparse_direction_T3_S4_S4_S4_S4_21rocsparse_index_base_PKT1_PKT2_PKS4_S5_PS6_PS9_PS4_ ; -- Begin function _ZN9rocsparseL38csr2bsr_block_per_row_multipass_kernelILj256ELj64E21rocsparse_complex_numIfEiiEEv20rocsparse_direction_T3_S4_S4_S4_S4_21rocsparse_index_base_PKT1_PKT2_PKS4_S5_PS6_PS9_PS4_
	.p2align	8
	.type	_ZN9rocsparseL38csr2bsr_block_per_row_multipass_kernelILj256ELj64E21rocsparse_complex_numIfEiiEEv20rocsparse_direction_T3_S4_S4_S4_S4_21rocsparse_index_base_PKT1_PKT2_PKS4_S5_PS6_PS9_PS4_,@function
_ZN9rocsparseL38csr2bsr_block_per_row_multipass_kernelILj256ELj64E21rocsparse_complex_numIfEiiEEv20rocsparse_direction_T3_S4_S4_S4_S4_21rocsparse_index_base_PKT1_PKT2_PKS4_S5_PS6_PS9_PS4_: ; @_ZN9rocsparseL38csr2bsr_block_per_row_multipass_kernelILj256ELj64E21rocsparse_complex_numIfEiiEEv20rocsparse_direction_T3_S4_S4_S4_S4_21rocsparse_index_base_PKT1_PKT2_PKS4_S5_PS6_PS9_PS4_
; %bb.0:
	s_mov_b32 s10, s15
	s_clause 0x1
	s_load_b128 s[12:15], s[0:1], 0x10
	s_load_b64 s[8:9], s[0:1], 0x0
	v_lshrrev_b32_e32 v1, 2, v0
	s_load_b64 s[4:5], s[0:1], 0x28
	v_mov_b32_e32 v37, 0
	v_mov_b32_e32 v35, 0
	s_waitcnt lgkmcnt(0)
	v_mad_u64_u32 v[2:3], null, s10, s13, v[1:2]
	v_cmp_gt_i32_e32 vcc_lo, s13, v1
	s_delay_alu instid0(VALU_DEP_2) | instskip(NEXT) | instid1(VALU_DEP_1)
	v_cmp_gt_i32_e64 s2, s9, v2
	s_and_b32 s3, vcc_lo, s2
	s_delay_alu instid0(SALU_CYCLE_1)
	s_and_saveexec_b32 s6, s3
	s_cbranch_execnz .LBB79_3
; %bb.1:
	s_or_b32 exec_lo, exec_lo, s6
	s_and_saveexec_b32 s6, s3
	s_cbranch_execnz .LBB79_4
.LBB79_2:
	s_or_b32 exec_lo, exec_lo, s6
	s_cmp_lt_i32 s12, 1
	s_cbranch_scc0 .LBB79_5
	s_branch .LBB79_65
.LBB79_3:
	v_ashrrev_i32_e32 v3, 31, v2
	s_delay_alu instid0(VALU_DEP_1) | instskip(NEXT) | instid1(VALU_DEP_1)
	v_lshlrev_b64 v[3:4], 2, v[2:3]
	v_add_co_u32 v3, s2, s4, v3
	s_delay_alu instid0(VALU_DEP_1)
	v_add_co_ci_u32_e64 v4, s2, s5, v4, s2
	global_load_b32 v3, v[3:4], off
	s_waitcnt vmcnt(0)
	v_subrev_nc_u32_e32 v35, s14, v3
	s_or_b32 exec_lo, exec_lo, s6
	s_and_saveexec_b32 s6, s3
	s_cbranch_execz .LBB79_2
.LBB79_4:
	v_ashrrev_i32_e32 v3, 31, v2
	s_delay_alu instid0(VALU_DEP_1) | instskip(NEXT) | instid1(VALU_DEP_1)
	v_lshlrev_b64 v[2:3], 2, v[2:3]
	v_add_co_u32 v2, s2, s4, v2
	s_delay_alu instid0(VALU_DEP_1)
	v_add_co_ci_u32_e64 v3, s2, s5, v3, s2
	global_load_b32 v2, v[2:3], off offset:4
	s_waitcnt vmcnt(0)
	v_subrev_nc_u32_e32 v37, s14, v2
	s_or_b32 exec_lo, exec_lo, s6
	s_cmp_lt_i32 s12, 1
	s_cbranch_scc1 .LBB79_65
.LBB79_5:
	s_clause 0x4
	s_load_b128 s[4:7], s[0:1], 0x40
	s_load_b64 s[16:17], s[0:1], 0x50
	s_load_b64 s[18:19], s[0:1], 0x20
	;; [unrolled: 1-line block ×3, first 2 shown]
	s_load_b32 s15, s[0:1], 0x38
	v_mbcnt_lo_u32_b32 v3, -1, 0
	s_ashr_i32 s11, s10, 31
	v_dual_mov_b32 v2, 0 :: v_dual_lshlrev_b32 v39, 6, v1
	s_lshl_b64 s[0:1], s[10:11], 2
	s_delay_alu instid0(VALU_DEP_2)
	v_xor_b32_e32 v4, 2, v3
	v_xor_b32_e32 v6, 1, v3
	v_lshlrev_b32_e32 v5, 3, v1
	v_mul_lo_u32 v1, v1, s13
	v_lshl_or_b32 v41, v3, 2, 12
	s_mov_b32 s24, 0
	v_and_b32_e32 v38, 3, v0
	v_lshlrev_b32_e32 v40, 2, v0
	v_cmp_gt_u32_e64 s3, 32, v0
	v_mov_b32_e32 v52, 0
	s_waitcnt lgkmcnt(0)
	s_add_u32 s0, s6, s0
	s_addc_u32 s1, s7, s1
	v_lshlrev_b32_e32 v8, 3, v38
	s_load_b32 s2, s[0:1], 0x0
	v_cmp_gt_i32_e64 s1, 32, v4
	v_cmp_gt_u32_e64 s0, 0x80, v0
	v_cmp_gt_u32_e64 s6, 4, v0
	;; [unrolled: 1-line block ×4, first 2 shown]
	v_cndmask_b32_e64 v7, v3, v4, s1
	v_cmp_gt_i32_e64 s1, 32, v6
	s_mul_hi_u32 s26, s13, s13
	s_mul_i32 s27, s13, s13
	v_mov_b32_e32 v50, 1
	v_lshlrev_b32_e32 v42, 2, v7
	v_cndmask_b32_e64 v6, v3, v6, s1
	v_lshlrev_b64 v[3:4], 3, v[1:2]
	v_mov_b32_e32 v10, v2
	v_mov_b32_e32 v12, v2
	s_delay_alu instid0(VALU_DEP_4) | instskip(SKIP_2) | instid1(VALU_DEP_1)
	v_dual_mov_b32 v14, v2 :: v_dual_lshlrev_b32 v43, 2, v6
	v_mov_b32_e32 v6, v2
	v_add_co_u32 v44, s1, s4, v5
	v_add_co_ci_u32_e64 v45, null, s5, 0, s1
	v_add_co_u32 v1, s1, s4, v3
	s_delay_alu instid0(VALU_DEP_1)
	v_add_co_ci_u32_e64 v3, s1, s5, v4, s1
	s_waitcnt lgkmcnt(0)
	s_sub_i32 s22, s2, s15
	s_cmp_eq_u32 s8, 0
	v_cmp_gt_u32_e64 s2, 64, v0
	v_cmp_gt_u32_e64 s4, 16, v0
	;; [unrolled: 1-line block ×3, first 2 shown]
	v_cmp_eq_u32_e64 s8, 0, v0
	v_or_b32_e32 v0, 4, v38
	v_or_b32_e32 v4, 8, v38
	v_add_co_u32 v46, s1, v1, v8
	v_mov_b32_e32 v8, v2
	v_add_co_ci_u32_e64 v47, s1, 0, v3, s1
	s_cselect_b32 s1, -1, 0
	v_or_b32_e32 v3, v39, v38
	v_cmp_gt_u32_e64 s10, s13, v0
	s_and_b32 s11, vcc_lo, s9
	v_cmp_gt_u32_e64 s9, s13, v4
	v_or_b32_e32 v0, 12, v38
	v_lshlrev_b32_e32 v48, 3, v3
	v_or_b32_e32 v3, 16, v38
	s_and_b32 s28, vcc_lo, s10
	s_and_b32 s29, vcc_lo, s9
	v_cmp_gt_u32_e64 s9, s13, v0
	v_or_b32_e32 v0, 20, v38
	v_cmp_gt_u32_e64 s10, s13, v3
	v_or_b32_e32 v3, 28, v38
	s_abs_i32 s37, s13
	s_and_b32 s30, vcc_lo, s9
	v_cmp_gt_u32_e64 s9, s13, v0
	v_or_b32_e32 v0, 24, v38
	s_and_b32 s31, vcc_lo, s10
	v_cmp_gt_u32_e64 s10, s13, v3
	v_cvt_f32_u32_e32 v3, s37
	s_and_b32 s33, vcc_lo, s9
	v_cmp_gt_u32_e64 s9, s13, v0
	v_or_b32_e32 v0, 32, v38
	s_lshl_b32 s23, s13, 2
	v_rcp_iflag_f32_e32 v3, v3
	s_sub_i32 s25, 0, s37
	s_and_b32 s34, vcc_lo, s9
	v_cmp_gt_u32_e64 s9, s13, v0
	v_or_b32_e32 v0, 36, v38
	v_or_b32_e32 v4, 40, v38
	s_and_b32 s35, vcc_lo, s10
	v_mov_b32_e32 v16, v2
	s_and_b32 s36, vcc_lo, s9
	v_cmp_gt_u32_e64 s9, s13, v0
	v_or_b32_e32 v0, 44, v38
	v_cmp_gt_u32_e64 s10, s13, v4
	v_or_b32_e32 v4, 52, v38
	v_mov_b32_e32 v18, v2
	s_and_b32 s38, vcc_lo, s9
	v_cmp_gt_u32_e64 s9, s13, v0
	v_mul_f32_e32 v0, 0x4f7ffffe, v3
	v_or_b32_e32 v3, 48, v38
	s_and_b32 s39, vcc_lo, s10
	v_cmp_gt_u32_e64 s10, s13, v4
	s_and_b32 s40, vcc_lo, s9
	v_cvt_u32_f32_e32 v0, v0
	v_cmp_gt_u32_e64 s9, s13, v3
	v_or_b32_e32 v4, 56, v38
	s_and_b32 s42, vcc_lo, s10
	v_mov_b32_e32 v20, v2
	v_mul_lo_u32 v3, s25, v0
	s_and_b32 s41, vcc_lo, s9
	v_cmp_gt_u32_e64 s9, s13, v4
	s_mov_b32 s25, s24
	v_mov_b32_e32 v22, v2
	v_mov_b32_e32 v24, v2
	;; [unrolled: 1-line block ×4, first 2 shown]
	v_mul_hi_u32 v3, v0, v3
	v_mov_b32_e32 v30, v2
	v_mov_b32_e32 v32, v2
	s_delay_alu instid0(VALU_DEP_3)
	v_dual_mov_b32 v34, v2 :: v_dual_add_nc_u32 v49, v0, v3
	v_mov_b32_e32 v3, s24
	v_mul_lo_u32 v1, v38, s13
	v_or_b32_e32 v33, 60, v38
	v_mov_b32_e32 v4, s25
	s_and_b32 s24, vcc_lo, s9
	s_ashr_i32 s25, s13, 31
	s_delay_alu instid0(VALU_DEP_2) | instskip(NEXT) | instid1(VALU_DEP_4)
	v_cmp_gt_u32_e64 s10, s13, v33
	v_add_nc_u32_e32 v5, s23, v1
	v_lshlrev_b64 v[0:1], 3, v[1:2]
	s_delay_alu instid0(VALU_DEP_3) | instskip(NEXT) | instid1(VALU_DEP_2)
	s_and_b32 s10, vcc_lo, s10
	v_add_nc_u32_e32 v7, s23, v5
	v_lshlrev_b64 v[5:6], 3, v[5:6]
	s_delay_alu instid0(VALU_DEP_2) | instskip(SKIP_1) | instid1(VALU_DEP_2)
	v_add_nc_u32_e32 v9, s23, v7
	v_lshlrev_b64 v[7:8], 3, v[7:8]
	v_add_nc_u32_e32 v11, s23, v9
	v_lshlrev_b64 v[9:10], 3, v[9:10]
	s_delay_alu instid0(VALU_DEP_2) | instskip(SKIP_1) | instid1(VALU_DEP_2)
	v_add_nc_u32_e32 v13, s23, v11
	v_lshlrev_b64 v[11:12], 3, v[11:12]
	;; [unrolled: 5-line block ×7, first 2 shown]
	v_lshlrev_b64 v[33:34], 3, v[33:34]
	s_branch .LBB79_7
.LBB79_6:                               ;   in Loop: Header=BB79_7 Depth=1
	s_or_b32 exec_lo, exec_lo, s23
	s_waitcnt lgkmcnt(0)
	s_barrier
	buffer_gl0_inv
	ds_load_b32 v52, v2
	s_add_i32 s22, s9, s22
	s_waitcnt lgkmcnt(0)
	s_barrier
	buffer_gl0_inv
	v_cmp_gt_i32_e32 vcc_lo, s12, v52
	s_cbranch_vccz .LBB79_65
.LBB79_7:                               ; =>This Loop Header: Depth=1
                                        ;     Child Loop BB79_10 Depth 2
	v_dual_mov_b32 v54, v37 :: v_dual_add_nc_u32 v35, v35, v38
	v_mov_b32_e32 v51, s12
	s_mov_b32 s23, exec_lo
	ds_store_b8 v2, v2 offset:32768
	ds_store_2addr_b64 v48, v[3:4], v[3:4] offset1:4
	ds_store_2addr_b64 v48, v[3:4], v[3:4] offset0:8 offset1:12
	ds_store_2addr_b64 v48, v[3:4], v[3:4] offset0:16 offset1:20
	;; [unrolled: 1-line block ×7, first 2 shown]
	s_waitcnt lgkmcnt(0)
	s_barrier
	buffer_gl0_inv
	v_cmpx_lt_i32_e64 v35, v37
	s_cbranch_execz .LBB79_15
; %bb.8:                                ;   in Loop: Header=BB79_7 Depth=1
	v_mul_lo_u32 v53, v52, s13
	v_dual_mov_b32 v51, s12 :: v_dual_mov_b32 v54, v37
	s_mov_b32 s43, 0
	s_branch .LBB79_10
.LBB79_9:                               ;   in Loop: Header=BB79_10 Depth=2
	s_or_b32 exec_lo, exec_lo, s44
	v_add_nc_u32_e32 v35, 4, v35
	s_xor_b32 s44, vcc_lo, -1
	s_delay_alu instid0(VALU_DEP_1) | instskip(NEXT) | instid1(VALU_DEP_1)
	v_cmp_ge_i32_e64 s9, v35, v37
	s_or_b32 s9, s44, s9
	s_delay_alu instid0(SALU_CYCLE_1) | instskip(NEXT) | instid1(SALU_CYCLE_1)
	s_and_b32 s9, exec_lo, s9
	s_or_b32 s43, s9, s43
	s_delay_alu instid0(SALU_CYCLE_1)
	s_and_not1_b32 exec_lo, exec_lo, s43
	s_cbranch_execz .LBB79_14
.LBB79_10:                              ;   Parent Loop BB79_7 Depth=1
                                        ; =>  This Inner Loop Header: Depth=2
	v_ashrrev_i32_e32 v36, 31, v35
	s_delay_alu instid0(VALU_DEP_1) | instskip(NEXT) | instid1(VALU_DEP_1)
	v_lshlrev_b64 v[55:56], 2, v[35:36]
	v_add_co_u32 v55, vcc_lo, s20, v55
	s_delay_alu instid0(VALU_DEP_2) | instskip(SKIP_3) | instid1(VALU_DEP_1)
	v_add_co_ci_u32_e32 v56, vcc_lo, s21, v56, vcc_lo
	global_load_b32 v55, v[55:56], off
	s_waitcnt vmcnt(0)
	v_subrev_nc_u32_e32 v55, s14, v55
	v_sub_nc_u32_e32 v56, 0, v55
	s_delay_alu instid0(VALU_DEP_1) | instskip(NEXT) | instid1(VALU_DEP_1)
	v_max_i32_e32 v56, v55, v56
	v_mul_hi_u32 v57, v56, v49
	s_delay_alu instid0(VALU_DEP_1) | instskip(NEXT) | instid1(VALU_DEP_1)
	v_mul_lo_u32 v58, v57, s37
	v_sub_nc_u32_e32 v56, v56, v58
	v_add_nc_u32_e32 v58, 1, v57
	s_delay_alu instid0(VALU_DEP_2) | instskip(SKIP_1) | instid1(VALU_DEP_2)
	v_subrev_nc_u32_e32 v59, s37, v56
	v_cmp_le_u32_e32 vcc_lo, s37, v56
	v_dual_cndmask_b32 v57, v57, v58 :: v_dual_cndmask_b32 v56, v56, v59
	v_ashrrev_i32_e32 v58, 31, v55
	s_delay_alu instid0(VALU_DEP_2) | instskip(NEXT) | instid1(VALU_DEP_3)
	v_add_nc_u32_e32 v59, 1, v57
	v_cmp_le_u32_e32 vcc_lo, s37, v56
	s_delay_alu instid0(VALU_DEP_3) | instskip(NEXT) | instid1(VALU_DEP_3)
	v_xor_b32_e32 v58, s25, v58
	v_cndmask_b32_e32 v56, v57, v59, vcc_lo
	s_delay_alu instid0(VALU_DEP_1) | instskip(NEXT) | instid1(VALU_DEP_1)
	v_xor_b32_e32 v56, v56, v58
	v_sub_nc_u32_e32 v57, v56, v58
	v_mov_b32_e32 v56, v54
	s_delay_alu instid0(VALU_DEP_2) | instskip(SKIP_1) | instid1(VALU_DEP_1)
	v_cmp_eq_u32_e32 vcc_lo, v57, v52
	v_cmp_ne_u32_e64 s9, v57, v52
	s_and_saveexec_b32 s44, s9
	s_delay_alu instid0(SALU_CYCLE_1)
	s_xor_b32 s9, exec_lo, s44
; %bb.11:                               ;   in Loop: Header=BB79_10 Depth=2
	v_min_i32_e32 v51, v57, v51
                                        ; implicit-def: $vgpr55
                                        ; implicit-def: $vgpr56
; %bb.12:                               ;   in Loop: Header=BB79_10 Depth=2
	s_or_saveexec_b32 s44, s9
	v_mov_b32_e32 v54, v35
	s_xor_b32 exec_lo, exec_lo, s44
	s_cbranch_execz .LBB79_9
; %bb.13:                               ;   in Loop: Header=BB79_10 Depth=2
	v_lshlrev_b64 v[57:58], 3, v[35:36]
	v_sub_nc_u32_e32 v36, v55, v53
	v_mov_b32_e32 v54, v56
	s_delay_alu instid0(VALU_DEP_2) | instskip(NEXT) | instid1(VALU_DEP_4)
	v_add_lshl_u32 v36, v36, v39, 3
	v_add_co_u32 v57, s9, s18, v57
	s_delay_alu instid0(VALU_DEP_1)
	v_add_co_ci_u32_e64 v58, s9, s19, v58, s9
	global_load_b64 v[57:58], v[57:58], off
	ds_store_b8 v2, v50 offset:32768
	s_waitcnt vmcnt(0)
	ds_store_b64 v36, v[57:58]
	s_branch .LBB79_9
.LBB79_14:                              ;   in Loop: Header=BB79_7 Depth=1
	s_or_b32 exec_lo, exec_lo, s43
.LBB79_15:                              ;   in Loop: Header=BB79_7 Depth=1
	s_delay_alu instid0(SALU_CYCLE_1)
	s_or_b32 exec_lo, exec_lo, s23
	ds_bpermute_b32 v35, v42, v54
	s_waitcnt lgkmcnt(0)
	s_barrier
	buffer_gl0_inv
	ds_load_u8 v53, v2 offset:32768
	s_mov_b32 s9, 0
	v_min_i32_e32 v35, v35, v54
	s_waitcnt lgkmcnt(0)
	v_cmp_eq_u32_e32 vcc_lo, 0, v53
	ds_bpermute_b32 v36, v43, v35
	s_waitcnt lgkmcnt(0)
	v_min_i32_e32 v35, v36, v35
	ds_bpermute_b32 v35, v41, v35
	s_cbranch_vccnz .LBB79_34
; %bb.16:                               ;   in Loop: Header=BB79_7 Depth=1
	s_ashr_i32 s23, s22, 31
	s_mul_hi_u32 s9, s27, s22
	s_lshl_b64 s[44:45], s[22:23], 2
	s_mul_i32 s23, s27, s23
	s_add_u32 s44, s16, s44
	s_addc_u32 s45, s17, s45
	s_add_i32 s9, s9, s23
	s_mul_i32 s23, s26, s22
	s_mul_i32 s46, s27, s22
	s_add_i32 s47, s9, s23
	v_add_nc_u32_e32 v55, s15, v52
	s_lshl_b64 s[46:47], s[46:47], 3
	s_delay_alu instid0(SALU_CYCLE_1)
	v_add_co_u32 v36, vcc_lo, v44, s46
	v_add_co_ci_u32_e32 v52, vcc_lo, s47, v45, vcc_lo
	v_add_co_u32 v53, vcc_lo, v46, s46
	v_add_co_ci_u32_e32 v54, vcc_lo, s47, v47, vcc_lo
	global_store_b32 v2, v55, s[44:45]
	s_and_saveexec_b32 s9, s11
	s_cbranch_execnz .LBB79_50
; %bb.17:                               ;   in Loop: Header=BB79_7 Depth=1
	s_or_b32 exec_lo, exec_lo, s9
	s_and_saveexec_b32 s9, s28
	s_cbranch_execnz .LBB79_51
.LBB79_18:                              ;   in Loop: Header=BB79_7 Depth=1
	s_or_b32 exec_lo, exec_lo, s9
	s_and_saveexec_b32 s9, s29
	s_cbranch_execnz .LBB79_52
.LBB79_19:                              ;   in Loop: Header=BB79_7 Depth=1
	s_or_b32 exec_lo, exec_lo, s9
	s_and_saveexec_b32 s9, s30
	s_cbranch_execnz .LBB79_53
.LBB79_20:                              ;   in Loop: Header=BB79_7 Depth=1
	s_or_b32 exec_lo, exec_lo, s9
	s_and_saveexec_b32 s9, s31
	s_cbranch_execnz .LBB79_54
.LBB79_21:                              ;   in Loop: Header=BB79_7 Depth=1
	s_or_b32 exec_lo, exec_lo, s9
	s_and_saveexec_b32 s9, s33
	s_cbranch_execnz .LBB79_55
.LBB79_22:                              ;   in Loop: Header=BB79_7 Depth=1
	s_or_b32 exec_lo, exec_lo, s9
	s_and_saveexec_b32 s9, s34
	s_cbranch_execnz .LBB79_56
.LBB79_23:                              ;   in Loop: Header=BB79_7 Depth=1
	s_or_b32 exec_lo, exec_lo, s9
	s_and_saveexec_b32 s9, s35
	s_cbranch_execnz .LBB79_57
.LBB79_24:                              ;   in Loop: Header=BB79_7 Depth=1
	s_or_b32 exec_lo, exec_lo, s9
	s_and_saveexec_b32 s9, s36
	s_cbranch_execnz .LBB79_58
.LBB79_25:                              ;   in Loop: Header=BB79_7 Depth=1
	s_or_b32 exec_lo, exec_lo, s9
	s_and_saveexec_b32 s9, s38
	s_cbranch_execnz .LBB79_59
.LBB79_26:                              ;   in Loop: Header=BB79_7 Depth=1
	s_or_b32 exec_lo, exec_lo, s9
	s_and_saveexec_b32 s9, s39
	s_cbranch_execnz .LBB79_60
.LBB79_27:                              ;   in Loop: Header=BB79_7 Depth=1
	s_or_b32 exec_lo, exec_lo, s9
	s_and_saveexec_b32 s9, s40
	s_cbranch_execnz .LBB79_61
.LBB79_28:                              ;   in Loop: Header=BB79_7 Depth=1
	s_or_b32 exec_lo, exec_lo, s9
	s_and_saveexec_b32 s9, s41
	s_cbranch_execnz .LBB79_62
.LBB79_29:                              ;   in Loop: Header=BB79_7 Depth=1
	s_or_b32 exec_lo, exec_lo, s9
	s_and_saveexec_b32 s9, s42
	s_cbranch_execnz .LBB79_63
.LBB79_30:                              ;   in Loop: Header=BB79_7 Depth=1
	s_or_b32 exec_lo, exec_lo, s9
	s_and_saveexec_b32 s9, s24
	s_cbranch_execnz .LBB79_64
.LBB79_31:                              ;   in Loop: Header=BB79_7 Depth=1
	s_or_b32 exec_lo, exec_lo, s9
	s_and_saveexec_b32 s9, s10
	s_cbranch_execz .LBB79_33
.LBB79_32:                              ;   in Loop: Header=BB79_7 Depth=1
	ds_load_b64 v[55:56], v48 offset:480
	v_add_co_u32 v57, vcc_lo, 0x1e0, v53
	v_add_co_ci_u32_e32 v53, vcc_lo, 0, v54, vcc_lo
	v_add_co_u32 v36, vcc_lo, v36, v33
	v_add_co_ci_u32_e32 v52, vcc_lo, v52, v34, vcc_lo
	s_delay_alu instid0(VALU_DEP_1) | instskip(NEXT) | instid1(VALU_DEP_3)
	v_cndmask_b32_e64 v53, v52, v53, s1
	v_cndmask_b32_e64 v52, v36, v57, s1
	s_waitcnt lgkmcnt(0)
	global_store_b64 v[52:53], v[55:56], off
.LBB79_33:                              ;   in Loop: Header=BB79_7 Depth=1
	s_or_b32 exec_lo, exec_lo, s9
	s_mov_b32 s9, 1
.LBB79_34:                              ;   in Loop: Header=BB79_7 Depth=1
	s_waitcnt lgkmcnt(0)
	s_waitcnt_vscnt null, 0x0
	s_barrier
	buffer_gl0_inv
	ds_store_b32 v40, v51
	s_waitcnt lgkmcnt(0)
	s_barrier
	buffer_gl0_inv
	s_and_saveexec_b32 s23, s0
	s_cbranch_execz .LBB79_36
; %bb.35:                               ;   in Loop: Header=BB79_7 Depth=1
	ds_load_2addr_stride64_b32 v[51:52], v40 offset1:2
	s_waitcnt lgkmcnt(0)
	v_min_i32_e32 v36, v52, v51
	ds_store_b32 v40, v36
.LBB79_36:                              ;   in Loop: Header=BB79_7 Depth=1
	s_or_b32 exec_lo, exec_lo, s23
	s_waitcnt lgkmcnt(0)
	s_barrier
	buffer_gl0_inv
	s_and_saveexec_b32 s23, s2
	s_cbranch_execz .LBB79_38
; %bb.37:                               ;   in Loop: Header=BB79_7 Depth=1
	ds_load_2addr_stride64_b32 v[51:52], v40 offset1:1
	s_waitcnt lgkmcnt(0)
	v_min_i32_e32 v36, v52, v51
	ds_store_b32 v40, v36
.LBB79_38:                              ;   in Loop: Header=BB79_7 Depth=1
	s_or_b32 exec_lo, exec_lo, s23
	s_waitcnt lgkmcnt(0)
	s_barrier
	buffer_gl0_inv
	s_and_saveexec_b32 s23, s3
	s_cbranch_execz .LBB79_40
; %bb.39:                               ;   in Loop: Header=BB79_7 Depth=1
	ds_load_2addr_b32 v[51:52], v40 offset1:32
	s_waitcnt lgkmcnt(0)
	v_min_i32_e32 v36, v52, v51
	ds_store_b32 v40, v36
.LBB79_40:                              ;   in Loop: Header=BB79_7 Depth=1
	s_or_b32 exec_lo, exec_lo, s23
	s_waitcnt lgkmcnt(0)
	s_barrier
	buffer_gl0_inv
	s_and_saveexec_b32 s23, s4
	s_cbranch_execz .LBB79_42
; %bb.41:                               ;   in Loop: Header=BB79_7 Depth=1
	ds_load_2addr_b32 v[51:52], v40 offset1:16
	s_waitcnt lgkmcnt(0)
	v_min_i32_e32 v36, v52, v51
	ds_store_b32 v40, v36
.LBB79_42:                              ;   in Loop: Header=BB79_7 Depth=1
	;; [unrolled: 12-line block ×5, first 2 shown]
	s_or_b32 exec_lo, exec_lo, s23
	s_waitcnt lgkmcnt(0)
	s_barrier
	buffer_gl0_inv
	s_and_saveexec_b32 s23, s8
	s_cbranch_execz .LBB79_6
; %bb.49:                               ;   in Loop: Header=BB79_7 Depth=1
	ds_load_b64 v[51:52], v2
	s_waitcnt lgkmcnt(0)
	v_min_i32_e32 v36, v52, v51
	ds_store_b32 v2, v36
	s_branch .LBB79_6
.LBB79_50:                              ;   in Loop: Header=BB79_7 Depth=1
	ds_load_b64 v[55:56], v48
	v_add_co_u32 v57, vcc_lo, v36, v0
	v_add_co_ci_u32_e32 v58, vcc_lo, v52, v1, vcc_lo
	s_delay_alu instid0(VALU_DEP_2) | instskip(NEXT) | instid1(VALU_DEP_2)
	v_cndmask_b32_e64 v57, v57, v53, s1
	v_cndmask_b32_e64 v58, v58, v54, s1
	s_waitcnt lgkmcnt(0)
	global_store_b64 v[57:58], v[55:56], off
	s_or_b32 exec_lo, exec_lo, s9
	s_and_saveexec_b32 s9, s28
	s_cbranch_execz .LBB79_18
.LBB79_51:                              ;   in Loop: Header=BB79_7 Depth=1
	ds_load_b64 v[55:56], v48 offset:32
	v_add_co_u32 v57, vcc_lo, v53, 32
	v_add_co_ci_u32_e32 v58, vcc_lo, 0, v54, vcc_lo
	v_add_co_u32 v59, vcc_lo, v36, v5
	v_add_co_ci_u32_e32 v60, vcc_lo, v52, v6, vcc_lo
	s_delay_alu instid0(VALU_DEP_2) | instskip(NEXT) | instid1(VALU_DEP_2)
	v_cndmask_b32_e64 v57, v59, v57, s1
	v_cndmask_b32_e64 v58, v60, v58, s1
	s_waitcnt lgkmcnt(0)
	global_store_b64 v[57:58], v[55:56], off
	s_or_b32 exec_lo, exec_lo, s9
	s_and_saveexec_b32 s9, s29
	s_cbranch_execz .LBB79_19
.LBB79_52:                              ;   in Loop: Header=BB79_7 Depth=1
	ds_load_b64 v[55:56], v48 offset:64
	v_add_co_u32 v57, vcc_lo, v53, 64
	v_add_co_ci_u32_e32 v58, vcc_lo, 0, v54, vcc_lo
	v_add_co_u32 v59, vcc_lo, v36, v7
	v_add_co_ci_u32_e32 v60, vcc_lo, v52, v8, vcc_lo
	s_delay_alu instid0(VALU_DEP_2) | instskip(NEXT) | instid1(VALU_DEP_2)
	v_cndmask_b32_e64 v57, v59, v57, s1
	v_cndmask_b32_e64 v58, v60, v58, s1
	s_waitcnt lgkmcnt(0)
	global_store_b64 v[57:58], v[55:56], off
	s_or_b32 exec_lo, exec_lo, s9
	s_and_saveexec_b32 s9, s30
	s_cbranch_execz .LBB79_20
.LBB79_53:                              ;   in Loop: Header=BB79_7 Depth=1
	ds_load_b64 v[55:56], v48 offset:96
	v_add_co_u32 v57, vcc_lo, 0x60, v53
	v_add_co_ci_u32_e32 v58, vcc_lo, 0, v54, vcc_lo
	v_add_co_u32 v59, vcc_lo, v36, v9
	v_add_co_ci_u32_e32 v60, vcc_lo, v52, v10, vcc_lo
	s_delay_alu instid0(VALU_DEP_2) | instskip(NEXT) | instid1(VALU_DEP_2)
	v_cndmask_b32_e64 v57, v59, v57, s1
	v_cndmask_b32_e64 v58, v60, v58, s1
	s_waitcnt lgkmcnt(0)
	global_store_b64 v[57:58], v[55:56], off
	s_or_b32 exec_lo, exec_lo, s9
	s_and_saveexec_b32 s9, s31
	s_cbranch_execz .LBB79_21
.LBB79_54:                              ;   in Loop: Header=BB79_7 Depth=1
	ds_load_b64 v[55:56], v48 offset:128
	v_add_co_u32 v57, vcc_lo, 0x80, v53
	v_add_co_ci_u32_e32 v58, vcc_lo, 0, v54, vcc_lo
	v_add_co_u32 v59, vcc_lo, v36, v11
	v_add_co_ci_u32_e32 v60, vcc_lo, v52, v12, vcc_lo
	s_delay_alu instid0(VALU_DEP_2) | instskip(NEXT) | instid1(VALU_DEP_2)
	v_cndmask_b32_e64 v57, v59, v57, s1
	v_cndmask_b32_e64 v58, v60, v58, s1
	s_waitcnt lgkmcnt(0)
	global_store_b64 v[57:58], v[55:56], off
	s_or_b32 exec_lo, exec_lo, s9
	s_and_saveexec_b32 s9, s33
	s_cbranch_execz .LBB79_22
.LBB79_55:                              ;   in Loop: Header=BB79_7 Depth=1
	ds_load_b64 v[55:56], v48 offset:160
	v_add_co_u32 v57, vcc_lo, 0xa0, v53
	v_add_co_ci_u32_e32 v58, vcc_lo, 0, v54, vcc_lo
	v_add_co_u32 v59, vcc_lo, v36, v13
	v_add_co_ci_u32_e32 v60, vcc_lo, v52, v14, vcc_lo
	s_delay_alu instid0(VALU_DEP_2) | instskip(NEXT) | instid1(VALU_DEP_2)
	v_cndmask_b32_e64 v57, v59, v57, s1
	v_cndmask_b32_e64 v58, v60, v58, s1
	s_waitcnt lgkmcnt(0)
	global_store_b64 v[57:58], v[55:56], off
	s_or_b32 exec_lo, exec_lo, s9
	s_and_saveexec_b32 s9, s34
	s_cbranch_execz .LBB79_23
.LBB79_56:                              ;   in Loop: Header=BB79_7 Depth=1
	ds_load_b64 v[55:56], v48 offset:192
	v_add_co_u32 v57, vcc_lo, 0xc0, v53
	v_add_co_ci_u32_e32 v58, vcc_lo, 0, v54, vcc_lo
	v_add_co_u32 v59, vcc_lo, v36, v15
	v_add_co_ci_u32_e32 v60, vcc_lo, v52, v16, vcc_lo
	s_delay_alu instid0(VALU_DEP_2) | instskip(NEXT) | instid1(VALU_DEP_2)
	v_cndmask_b32_e64 v57, v59, v57, s1
	v_cndmask_b32_e64 v58, v60, v58, s1
	s_waitcnt lgkmcnt(0)
	global_store_b64 v[57:58], v[55:56], off
	s_or_b32 exec_lo, exec_lo, s9
	s_and_saveexec_b32 s9, s35
	s_cbranch_execz .LBB79_24
.LBB79_57:                              ;   in Loop: Header=BB79_7 Depth=1
	ds_load_b64 v[55:56], v48 offset:224
	v_add_co_u32 v57, vcc_lo, 0xe0, v53
	v_add_co_ci_u32_e32 v58, vcc_lo, 0, v54, vcc_lo
	v_add_co_u32 v59, vcc_lo, v36, v17
	v_add_co_ci_u32_e32 v60, vcc_lo, v52, v18, vcc_lo
	s_delay_alu instid0(VALU_DEP_2) | instskip(NEXT) | instid1(VALU_DEP_2)
	v_cndmask_b32_e64 v57, v59, v57, s1
	v_cndmask_b32_e64 v58, v60, v58, s1
	s_waitcnt lgkmcnt(0)
	global_store_b64 v[57:58], v[55:56], off
	s_or_b32 exec_lo, exec_lo, s9
	s_and_saveexec_b32 s9, s36
	s_cbranch_execz .LBB79_25
.LBB79_58:                              ;   in Loop: Header=BB79_7 Depth=1
	ds_load_b64 v[55:56], v48 offset:256
	v_add_co_u32 v57, vcc_lo, 0x100, v53
	v_add_co_ci_u32_e32 v58, vcc_lo, 0, v54, vcc_lo
	v_add_co_u32 v59, vcc_lo, v36, v19
	v_add_co_ci_u32_e32 v60, vcc_lo, v52, v20, vcc_lo
	s_delay_alu instid0(VALU_DEP_2) | instskip(NEXT) | instid1(VALU_DEP_2)
	v_cndmask_b32_e64 v57, v59, v57, s1
	v_cndmask_b32_e64 v58, v60, v58, s1
	s_waitcnt lgkmcnt(0)
	global_store_b64 v[57:58], v[55:56], off
	s_or_b32 exec_lo, exec_lo, s9
	s_and_saveexec_b32 s9, s38
	s_cbranch_execz .LBB79_26
.LBB79_59:                              ;   in Loop: Header=BB79_7 Depth=1
	ds_load_b64 v[55:56], v48 offset:288
	v_add_co_u32 v57, vcc_lo, 0x120, v53
	v_add_co_ci_u32_e32 v58, vcc_lo, 0, v54, vcc_lo
	v_add_co_u32 v59, vcc_lo, v36, v21
	v_add_co_ci_u32_e32 v60, vcc_lo, v52, v22, vcc_lo
	s_delay_alu instid0(VALU_DEP_2) | instskip(NEXT) | instid1(VALU_DEP_2)
	v_cndmask_b32_e64 v57, v59, v57, s1
	v_cndmask_b32_e64 v58, v60, v58, s1
	s_waitcnt lgkmcnt(0)
	global_store_b64 v[57:58], v[55:56], off
	s_or_b32 exec_lo, exec_lo, s9
	s_and_saveexec_b32 s9, s39
	s_cbranch_execz .LBB79_27
.LBB79_60:                              ;   in Loop: Header=BB79_7 Depth=1
	ds_load_b64 v[55:56], v48 offset:320
	v_add_co_u32 v57, vcc_lo, 0x140, v53
	v_add_co_ci_u32_e32 v58, vcc_lo, 0, v54, vcc_lo
	v_add_co_u32 v59, vcc_lo, v36, v23
	v_add_co_ci_u32_e32 v60, vcc_lo, v52, v24, vcc_lo
	s_delay_alu instid0(VALU_DEP_2) | instskip(NEXT) | instid1(VALU_DEP_2)
	v_cndmask_b32_e64 v57, v59, v57, s1
	v_cndmask_b32_e64 v58, v60, v58, s1
	s_waitcnt lgkmcnt(0)
	global_store_b64 v[57:58], v[55:56], off
	s_or_b32 exec_lo, exec_lo, s9
	s_and_saveexec_b32 s9, s40
	s_cbranch_execz .LBB79_28
.LBB79_61:                              ;   in Loop: Header=BB79_7 Depth=1
	ds_load_b64 v[55:56], v48 offset:352
	v_add_co_u32 v57, vcc_lo, 0x160, v53
	v_add_co_ci_u32_e32 v58, vcc_lo, 0, v54, vcc_lo
	v_add_co_u32 v59, vcc_lo, v36, v25
	v_add_co_ci_u32_e32 v60, vcc_lo, v52, v26, vcc_lo
	s_delay_alu instid0(VALU_DEP_2) | instskip(NEXT) | instid1(VALU_DEP_2)
	v_cndmask_b32_e64 v57, v59, v57, s1
	v_cndmask_b32_e64 v58, v60, v58, s1
	s_waitcnt lgkmcnt(0)
	global_store_b64 v[57:58], v[55:56], off
	s_or_b32 exec_lo, exec_lo, s9
	s_and_saveexec_b32 s9, s41
	s_cbranch_execz .LBB79_29
.LBB79_62:                              ;   in Loop: Header=BB79_7 Depth=1
	ds_load_b64 v[55:56], v48 offset:384
	v_add_co_u32 v57, vcc_lo, 0x180, v53
	v_add_co_ci_u32_e32 v58, vcc_lo, 0, v54, vcc_lo
	v_add_co_u32 v59, vcc_lo, v36, v27
	v_add_co_ci_u32_e32 v60, vcc_lo, v52, v28, vcc_lo
	s_delay_alu instid0(VALU_DEP_2) | instskip(NEXT) | instid1(VALU_DEP_2)
	v_cndmask_b32_e64 v57, v59, v57, s1
	v_cndmask_b32_e64 v58, v60, v58, s1
	s_waitcnt lgkmcnt(0)
	global_store_b64 v[57:58], v[55:56], off
	s_or_b32 exec_lo, exec_lo, s9
	s_and_saveexec_b32 s9, s42
	s_cbranch_execz .LBB79_30
.LBB79_63:                              ;   in Loop: Header=BB79_7 Depth=1
	ds_load_b64 v[55:56], v48 offset:416
	v_add_co_u32 v57, vcc_lo, 0x1a0, v53
	v_add_co_ci_u32_e32 v58, vcc_lo, 0, v54, vcc_lo
	v_add_co_u32 v59, vcc_lo, v36, v29
	v_add_co_ci_u32_e32 v60, vcc_lo, v52, v30, vcc_lo
	s_delay_alu instid0(VALU_DEP_2) | instskip(NEXT) | instid1(VALU_DEP_2)
	v_cndmask_b32_e64 v57, v59, v57, s1
	v_cndmask_b32_e64 v58, v60, v58, s1
	s_waitcnt lgkmcnt(0)
	global_store_b64 v[57:58], v[55:56], off
	s_or_b32 exec_lo, exec_lo, s9
	s_and_saveexec_b32 s9, s24
	s_cbranch_execz .LBB79_31
.LBB79_64:                              ;   in Loop: Header=BB79_7 Depth=1
	ds_load_b64 v[55:56], v48 offset:448
	v_add_co_u32 v57, vcc_lo, 0x1c0, v53
	v_add_co_ci_u32_e32 v58, vcc_lo, 0, v54, vcc_lo
	v_add_co_u32 v59, vcc_lo, v36, v31
	v_add_co_ci_u32_e32 v60, vcc_lo, v52, v32, vcc_lo
	s_delay_alu instid0(VALU_DEP_2) | instskip(NEXT) | instid1(VALU_DEP_2)
	v_cndmask_b32_e64 v57, v59, v57, s1
	v_cndmask_b32_e64 v58, v60, v58, s1
	s_waitcnt lgkmcnt(0)
	global_store_b64 v[57:58], v[55:56], off
	s_or_b32 exec_lo, exec_lo, s9
	s_and_saveexec_b32 s9, s10
	s_cbranch_execnz .LBB79_32
	s_branch .LBB79_33
.LBB79_65:
	s_endpgm
	.section	.rodata,"a",@progbits
	.p2align	6, 0x0
	.amdhsa_kernel _ZN9rocsparseL38csr2bsr_block_per_row_multipass_kernelILj256ELj64E21rocsparse_complex_numIfEiiEEv20rocsparse_direction_T3_S4_S4_S4_S4_21rocsparse_index_base_PKT1_PKT2_PKS4_S5_PS6_PS9_PS4_
		.amdhsa_group_segment_fixed_size 32772
		.amdhsa_private_segment_fixed_size 0
		.amdhsa_kernarg_size 88
		.amdhsa_user_sgpr_count 15
		.amdhsa_user_sgpr_dispatch_ptr 0
		.amdhsa_user_sgpr_queue_ptr 0
		.amdhsa_user_sgpr_kernarg_segment_ptr 1
		.amdhsa_user_sgpr_dispatch_id 0
		.amdhsa_user_sgpr_private_segment_size 0
		.amdhsa_wavefront_size32 1
		.amdhsa_uses_dynamic_stack 0
		.amdhsa_enable_private_segment 0
		.amdhsa_system_sgpr_workgroup_id_x 1
		.amdhsa_system_sgpr_workgroup_id_y 0
		.amdhsa_system_sgpr_workgroup_id_z 0
		.amdhsa_system_sgpr_workgroup_info 0
		.amdhsa_system_vgpr_workitem_id 0
		.amdhsa_next_free_vgpr 61
		.amdhsa_next_free_sgpr 48
		.amdhsa_reserve_vcc 1
		.amdhsa_float_round_mode_32 0
		.amdhsa_float_round_mode_16_64 0
		.amdhsa_float_denorm_mode_32 3
		.amdhsa_float_denorm_mode_16_64 3
		.amdhsa_dx10_clamp 1
		.amdhsa_ieee_mode 1
		.amdhsa_fp16_overflow 0
		.amdhsa_workgroup_processor_mode 1
		.amdhsa_memory_ordered 1
		.amdhsa_forward_progress 0
		.amdhsa_shared_vgpr_count 0
		.amdhsa_exception_fp_ieee_invalid_op 0
		.amdhsa_exception_fp_denorm_src 0
		.amdhsa_exception_fp_ieee_div_zero 0
		.amdhsa_exception_fp_ieee_overflow 0
		.amdhsa_exception_fp_ieee_underflow 0
		.amdhsa_exception_fp_ieee_inexact 0
		.amdhsa_exception_int_div_zero 0
	.end_amdhsa_kernel
	.section	.text._ZN9rocsparseL38csr2bsr_block_per_row_multipass_kernelILj256ELj64E21rocsparse_complex_numIfEiiEEv20rocsparse_direction_T3_S4_S4_S4_S4_21rocsparse_index_base_PKT1_PKT2_PKS4_S5_PS6_PS9_PS4_,"axG",@progbits,_ZN9rocsparseL38csr2bsr_block_per_row_multipass_kernelILj256ELj64E21rocsparse_complex_numIfEiiEEv20rocsparse_direction_T3_S4_S4_S4_S4_21rocsparse_index_base_PKT1_PKT2_PKS4_S5_PS6_PS9_PS4_,comdat
.Lfunc_end79:
	.size	_ZN9rocsparseL38csr2bsr_block_per_row_multipass_kernelILj256ELj64E21rocsparse_complex_numIfEiiEEv20rocsparse_direction_T3_S4_S4_S4_S4_21rocsparse_index_base_PKT1_PKT2_PKS4_S5_PS6_PS9_PS4_, .Lfunc_end79-_ZN9rocsparseL38csr2bsr_block_per_row_multipass_kernelILj256ELj64E21rocsparse_complex_numIfEiiEEv20rocsparse_direction_T3_S4_S4_S4_S4_21rocsparse_index_base_PKT1_PKT2_PKS4_S5_PS6_PS9_PS4_
                                        ; -- End function
	.section	.AMDGPU.csdata,"",@progbits
; Kernel info:
; codeLenInByte = 3804
; NumSgprs: 50
; NumVgprs: 61
; ScratchSize: 0
; MemoryBound: 0
; FloatMode: 240
; IeeeMode: 1
; LDSByteSize: 32772 bytes/workgroup (compile time only)
; SGPRBlocks: 6
; VGPRBlocks: 7
; NumSGPRsForWavesPerEU: 50
; NumVGPRsForWavesPerEU: 61
; Occupancy: 6
; WaveLimiterHint : 0
; COMPUTE_PGM_RSRC2:SCRATCH_EN: 0
; COMPUTE_PGM_RSRC2:USER_SGPR: 15
; COMPUTE_PGM_RSRC2:TRAP_HANDLER: 0
; COMPUTE_PGM_RSRC2:TGID_X_EN: 1
; COMPUTE_PGM_RSRC2:TGID_Y_EN: 0
; COMPUTE_PGM_RSRC2:TGID_Z_EN: 0
; COMPUTE_PGM_RSRC2:TIDIG_COMP_CNT: 0
	.section	.text._ZN9rocsparseL21csr2bsr_65_inf_kernelILj32E21rocsparse_complex_numIfEiiEEv20rocsparse_direction_T2_S4_S4_S4_S4_S4_21rocsparse_index_base_PKT0_PKT1_PKS4_S5_PS6_PS9_PS4_SF_SG_SE_,"axG",@progbits,_ZN9rocsparseL21csr2bsr_65_inf_kernelILj32E21rocsparse_complex_numIfEiiEEv20rocsparse_direction_T2_S4_S4_S4_S4_S4_21rocsparse_index_base_PKT0_PKT1_PKS4_S5_PS6_PS9_PS4_SF_SG_SE_,comdat
	.globl	_ZN9rocsparseL21csr2bsr_65_inf_kernelILj32E21rocsparse_complex_numIfEiiEEv20rocsparse_direction_T2_S4_S4_S4_S4_S4_21rocsparse_index_base_PKT0_PKT1_PKS4_S5_PS6_PS9_PS4_SF_SG_SE_ ; -- Begin function _ZN9rocsparseL21csr2bsr_65_inf_kernelILj32E21rocsparse_complex_numIfEiiEEv20rocsparse_direction_T2_S4_S4_S4_S4_S4_21rocsparse_index_base_PKT0_PKT1_PKS4_S5_PS6_PS9_PS4_SF_SG_SE_
	.p2align	8
	.type	_ZN9rocsparseL21csr2bsr_65_inf_kernelILj32E21rocsparse_complex_numIfEiiEEv20rocsparse_direction_T2_S4_S4_S4_S4_S4_21rocsparse_index_base_PKT0_PKT1_PKS4_S5_PS6_PS9_PS4_SF_SG_SE_,@function
_ZN9rocsparseL21csr2bsr_65_inf_kernelILj32E21rocsparse_complex_numIfEiiEEv20rocsparse_direction_T2_S4_S4_S4_S4_S4_21rocsparse_index_base_PKT0_PKT1_PKS4_S5_PS6_PS9_PS4_SF_SG_SE_: ; @_ZN9rocsparseL21csr2bsr_65_inf_kernelILj32E21rocsparse_complex_numIfEiiEEv20rocsparse_direction_T2_S4_S4_S4_S4_S4_21rocsparse_index_base_PKT0_PKT1_PKS4_S5_PS6_PS9_PS4_SF_SG_SE_
; %bb.0:
	s_clause 0x2
	s_load_b128 s[4:7], s[0:1], 0x0
	s_load_b64 s[2:3], s[0:1], 0x58
	s_load_b32 s26, s[0:1], 0x38
	s_mov_b32 s22, s15
	s_mov_b32 s25, 0
	s_waitcnt lgkmcnt(0)
	s_cmp_ge_i32 s15, s7
	s_mov_b32 s7, 0
	s_cbranch_scc1 .LBB80_2
; %bb.1:
	s_load_b64 s[8:9], s[0:1], 0x48
	s_ashr_i32 s23, s22, 31
	s_delay_alu instid0(SALU_CYCLE_1)
	s_lshl_b64 s[10:11], s[22:23], 2
	s_waitcnt lgkmcnt(0)
	s_add_u32 s8, s8, s10
	s_addc_u32 s9, s9, s11
	s_load_b32 s7, s[8:9], 0x0
	s_waitcnt lgkmcnt(0)
	s_sub_i32 s7, s7, s26
.LBB80_2:
	s_load_b128 s[8:11], s[0:1], 0x14
	s_waitcnt lgkmcnt(0)
	v_mul_lo_u32 v3, v0, s9
	s_mul_i32 s11, s22, s9
	s_delay_alu instid0(SALU_CYCLE_1) | instskip(NEXT) | instid1(SALU_CYCLE_1)
	s_lshl_b32 s24, s11, 6
	s_lshl_b64 s[12:13], s[24:25], 2
	s_delay_alu instid0(SALU_CYCLE_1) | instskip(NEXT) | instid1(VALU_DEP_1)
	s_add_u32 s27, s2, s12
	v_ashrrev_i32_e32 v4, 31, v3
	s_addc_u32 s28, s3, s13
	s_lshl_b32 s24, s9, 5
	s_cmp_gt_i32 s9, 0
	s_cselect_b32 s11, -1, 0
	v_lshlrev_b64 v[6:7], 2, v[3:4]
	s_cmp_lt_i32 s9, 1
	s_delay_alu instid0(VALU_DEP_1) | instskip(NEXT) | instid1(VALU_DEP_2)
	v_add_co_u32 v1, vcc_lo, s27, v6
	v_add_co_ci_u32_e32 v2, vcc_lo, s28, v7, vcc_lo
	s_cbranch_scc1 .LBB80_7
; %bb.3:
	s_load_b64 s[12:13], s[0:1], 0x28
	v_dual_mov_b32 v5, 0 :: v_dual_mov_b32 v14, v0
	s_delay_alu instid0(VALU_DEP_2)
	v_dual_mov_b32 v9, v2 :: v_dual_mov_b32 v8, v1
	s_mul_i32 s16, s22, s8
	s_lshl_b64 s[14:15], s[24:25], 2
	s_mov_b32 s17, s9
	s_set_inst_prefetch_distance 0x1
	s_branch .LBB80_5
	.p2align	6
.LBB80_4:                               ;   in Loop: Header=BB80_5 Depth=1
	s_or_b32 exec_lo, exec_lo, s2
	v_add_co_u32 v8, vcc_lo, v8, 4
	v_add_co_ci_u32_e32 v9, vcc_lo, 0, v9, vcc_lo
	v_add_nc_u32_e32 v14, 32, v14
	s_add_i32 s17, s17, -1
	s_delay_alu instid0(SALU_CYCLE_1)
	s_cmp_eq_u32 s17, 0
	s_cbranch_scc1 .LBB80_7
.LBB80_5:                               ; =>This Inner Loop Header: Depth=1
	s_delay_alu instid0(VALU_DEP_1) | instskip(SKIP_2) | instid1(VALU_DEP_1)
	v_add_nc_u32_e32 v12, s16, v14
	v_cmp_gt_u32_e32 vcc_lo, s8, v14
	v_add_co_u32 v10, s3, v8, s14
	v_add_co_ci_u32_e64 v11, s3, s15, v9, s3
	s_delay_alu instid0(VALU_DEP_4) | instskip(SKIP_4) | instid1(SALU_CYCLE_1)
	v_cmp_gt_i32_e64 s2, s5, v12
	s_clause 0x1
	global_store_b32 v[8:9], v5, off
	global_store_b32 v[10:11], v5, off
	s_and_b32 s3, vcc_lo, s2
	s_and_saveexec_b32 s2, s3
	s_cbranch_execz .LBB80_4
; %bb.6:                                ;   in Loop: Header=BB80_5 Depth=1
	v_ashrrev_i32_e32 v13, 31, v12
	s_delay_alu instid0(VALU_DEP_1) | instskip(SKIP_1) | instid1(VALU_DEP_1)
	v_lshlrev_b64 v[12:13], 2, v[12:13]
	s_waitcnt lgkmcnt(0)
	v_add_co_u32 v12, vcc_lo, s12, v12
	s_delay_alu instid0(VALU_DEP_2)
	v_add_co_ci_u32_e32 v13, vcc_lo, s13, v13, vcc_lo
	global_load_b64 v[12:13], v[12:13], off
	s_waitcnt vmcnt(0)
	v_subrev_nc_u32_e32 v12, s10, v12
	v_subrev_nc_u32_e32 v13, s10, v13
	s_clause 0x1
	global_store_b32 v[8:9], v12, off
	global_store_b32 v[10:11], v13, off
	s_branch .LBB80_4
.LBB80_7:
	s_set_inst_prefetch_distance 0x2
	s_cmp_lt_i32 s6, 1
	s_cbranch_scc1 .LBB80_37
; %bb.8:
	s_waitcnt lgkmcnt(0)
	s_clause 0x4
	s_load_b128 s[12:15], s[0:1], 0x60
	s_load_b64 s[2:3], s[0:1], 0x20
	s_load_b64 s[16:17], s[0:1], 0x50
	;; [unrolled: 1-line block ×4, first 2 shown]
	s_lshl_b64 s[30:31], s[24:25], 2
	s_mul_i32 s22, s24, s22
	s_mov_b32 s23, 0
	s_add_u32 s1, s27, s30
	s_addc_u32 s27, s28, s31
	s_lshl_b64 s[24:25], s[22:23], 2
	v_lshlrev_b64 v[8:9], 3, v[3:4]
	v_mbcnt_lo_u32_b32 v4, -1, 0
	v_add_co_u32 v24, vcc_lo, s1, v6
	v_add_co_ci_u32_e32 v25, vcc_lo, s27, v7, vcc_lo
	s_delay_alu instid0(VALU_DEP_3)
	v_xor_b32_e32 v11, 16, v4
	v_xor_b32_e32 v12, 8, v4
	;; [unrolled: 1-line block ×3, first 2 shown]
	s_waitcnt lgkmcnt(0)
	s_add_u32 s24, s12, s24
	s_addc_u32 s25, s13, s25
	s_lshl_b64 s[12:13], s[22:23], 3
	v_cmp_gt_i32_e32 vcc_lo, 32, v11
	s_add_u32 s14, s14, s12
	s_addc_u32 s15, s15, s13
	s_cmp_lg_u32 s4, 0
	v_xor_b32_e32 v14, 2, v4
	s_cselect_b32 s12, -1, 0
	s_abs_i32 s13, s8
	v_xor_b32_e32 v15, 1, v4
	v_cvt_f32_u32_e32 v10, s13
	s_sub_i32 s1, 0, s13
	v_mul_lo_u32 v23, v0, s8
	v_cmp_eq_u32_e64 s0, 31, v0
	v_dual_mov_b32 v22, 0x7c :: v_dual_mov_b32 v3, 0
	v_rcp_iflag_f32_e32 v10, v10
	v_dual_mov_b32 v5, 0 :: v_dual_mov_b32 v34, 0
	s_mul_hi_i32 s5, s8, s8
	s_mul_i32 s4, s8, s8
	v_cndmask_b32_e32 v11, v4, v11, vcc_lo
	v_cmp_gt_i32_e32 vcc_lo, 32, v12
	v_dual_mov_b32 v33, 0 :: v_dual_mov_b32 v32, 0
	s_waitcnt_depctr 0xfff
	v_mul_f32_e32 v10, 0x4f7ffffe, v10
	v_cndmask_b32_e32 v12, v4, v12, vcc_lo
	v_cmp_gt_i32_e32 vcc_lo, 32, v13
	v_lshlrev_b32_e32 v26, 2, v11
	s_delay_alu instid0(VALU_DEP_4) | instskip(SKIP_2) | instid1(VALU_DEP_3)
	v_cvt_u32_f32_e32 v10, v10
	v_cndmask_b32_e32 v13, v4, v13, vcc_lo
	v_cmp_gt_i32_e32 vcc_lo, 32, v14
	v_mul_lo_u32 v16, s1, v10
	s_delay_alu instid0(VALU_DEP_3) | instskip(SKIP_2) | instid1(VALU_DEP_2)
	v_lshlrev_b32_e32 v28, 2, v13
	v_cndmask_b32_e32 v14, v4, v14, vcc_lo
	v_cmp_gt_i32_e32 vcc_lo, 32, v15
	v_lshlrev_b32_e32 v29, 2, v14
	v_dual_cndmask_b32 v4, v4, v15 :: v_dual_lshlrev_b32 v27, 2, v12
	v_add_co_u32 v6, vcc_lo, s24, v6
	v_add_co_ci_u32_e32 v7, vcc_lo, s25, v7, vcc_lo
	s_delay_alu instid0(VALU_DEP_3)
	v_lshlrev_b32_e32 v30, 2, v4
	v_mul_hi_u32 v4, v10, v16
	v_add_co_u32 v8, vcc_lo, s14, v8
	v_add_co_ci_u32_e32 v9, vcc_lo, s15, v9, vcc_lo
	s_add_i32 s14, s7, -1
	s_ashr_i32 s15, s8, 31
	s_lshl_b32 s24, s8, 5
	s_delay_alu instid0(VALU_DEP_3)
	v_add_nc_u32_e32 v31, v10, v4
	s_mov_b32 s25, 0
	s_branch .LBB80_10
.LBB80_9:                               ;   in Loop: Header=BB80_10 Depth=1
	s_waitcnt lgkmcnt(1)
	v_add_nc_u32_e32 v34, 1, v34
	s_delay_alu instid0(VALU_DEP_1) | instskip(SKIP_1) | instid1(SALU_CYCLE_1)
	v_cmp_le_i32_e32 vcc_lo, s6, v34
	s_or_b32 s25, vcc_lo, s25
	s_and_not1_b32 exec_lo, exec_lo, s25
	s_cbranch_execz .LBB80_37
.LBB80_10:                              ; =>This Loop Header: Depth=1
                                        ;     Child Loop BB80_14 Depth 2
                                        ;       Child Loop BB80_17 Depth 3
                                        ;     Child Loop BB80_31 Depth 2
	v_mov_b32_e32 v35, s6
	s_and_not1_b32 vcc_lo, exec_lo, s11
	s_cbranch_vccnz .LBB80_23
; %bb.11:                               ;   in Loop: Header=BB80_10 Depth=1
	v_mov_b32_e32 v35, s6
	s_mov_b32 s22, 0
	s_branch .LBB80_14
.LBB80_12:                              ;   in Loop: Header=BB80_14 Depth=2
	s_or_b32 exec_lo, exec_lo, s1
.LBB80_13:                              ;   in Loop: Header=BB80_14 Depth=2
	s_delay_alu instid0(SALU_CYCLE_1) | instskip(SKIP_1) | instid1(SALU_CYCLE_1)
	s_or_b32 exec_lo, exec_lo, s27
	s_add_i32 s22, s22, 1
	s_cmp_eq_u32 s22, s9
	s_cbranch_scc1 .LBB80_23
.LBB80_14:                              ;   Parent Loop BB80_10 Depth=1
                                        ; =>  This Loop Header: Depth=2
                                        ;       Child Loop BB80_17 Depth 3
	s_lshl_b64 s[28:29], s[22:23], 2
	s_lshl_b64 s[30:31], s[22:23], 3
	v_add_co_u32 v10, vcc_lo, v1, s28
	v_add_co_ci_u32_e32 v11, vcc_lo, s29, v2, vcc_lo
	v_add_co_u32 v12, vcc_lo, v24, s28
	v_add_co_ci_u32_e32 v13, vcc_lo, s29, v25, vcc_lo
	v_mov_b32_e32 v4, v3
	s_clause 0x1
	global_load_b32 v18, v[10:11], off
	global_load_b32 v36, v[12:13], off
	v_add_co_u32 v12, vcc_lo, v8, s30
	v_add_co_ci_u32_e32 v13, vcc_lo, s31, v9, vcc_lo
	v_add_co_u32 v14, vcc_lo, v6, s28
	v_add_co_ci_u32_e32 v15, vcc_lo, s29, v7, vcc_lo
	v_mov_b32_e32 v16, s6
	s_mov_b32 s27, exec_lo
	global_store_b64 v[12:13], v[3:4], off
	global_store_b32 v[14:15], v16, off
	s_waitcnt vmcnt(0)
	v_cmpx_lt_i32_e64 v18, v36
	s_cbranch_execz .LBB80_13
; %bb.15:                               ;   in Loop: Header=BB80_14 Depth=2
	v_ashrrev_i32_e32 v19, 31, v18
	s_mov_b32 s28, 0
                                        ; implicit-def: $sgpr29
                                        ; implicit-def: $sgpr31
                                        ; implicit-def: $sgpr30
	s_delay_alu instid0(VALU_DEP_1) | instskip(NEXT) | instid1(VALU_DEP_1)
	v_lshlrev_b64 v[16:17], 2, v[18:19]
	v_add_co_u32 v20, vcc_lo, s20, v16
	s_delay_alu instid0(VALU_DEP_2)
	v_add_co_ci_u32_e32 v21, vcc_lo, s21, v17, vcc_lo
	s_set_inst_prefetch_distance 0x1
	s_branch .LBB80_17
	.p2align	6
.LBB80_16:                              ;   in Loop: Header=BB80_17 Depth=3
	s_or_b32 exec_lo, exec_lo, s33
	s_delay_alu instid0(SALU_CYCLE_1) | instskip(NEXT) | instid1(SALU_CYCLE_1)
	s_and_b32 s1, exec_lo, s31
	s_or_b32 s28, s1, s28
	s_and_not1_b32 s1, s29, exec_lo
	s_and_b32 s29, s30, exec_lo
	s_delay_alu instid0(SALU_CYCLE_1)
	s_or_b32 s29, s1, s29
	s_and_not1_b32 exec_lo, exec_lo, s28
	s_cbranch_execz .LBB80_19
.LBB80_17:                              ;   Parent Loop BB80_10 Depth=1
                                        ;     Parent Loop BB80_14 Depth=2
                                        ; =>    This Inner Loop Header: Depth=3
	global_load_b32 v4, v[20:21], off
	v_dual_mov_b32 v16, v18 :: v_dual_mov_b32 v17, v19
	s_or_b32 s30, s30, exec_lo
	s_or_b32 s31, s31, exec_lo
	s_mov_b32 s33, exec_lo
                                        ; implicit-def: $vgpr18_vgpr19
	s_waitcnt vmcnt(0)
	v_subrev_nc_u32_e32 v4, s10, v4
	s_delay_alu instid0(VALU_DEP_1)
	v_cmpx_lt_i32_e64 v4, v34
	s_cbranch_execz .LBB80_16
; %bb.18:                               ;   in Loop: Header=BB80_17 Depth=3
	v_add_co_u32 v18, vcc_lo, v16, 1
	v_add_co_ci_u32_e32 v19, vcc_lo, 0, v17, vcc_lo
	v_add_co_u32 v20, s1, v20, 4
	s_delay_alu instid0(VALU_DEP_3) | instskip(SKIP_4) | instid1(SALU_CYCLE_1)
	v_cmp_ge_i32_e32 vcc_lo, v18, v36
	v_add_co_ci_u32_e64 v21, s1, 0, v21, s1
	s_and_not1_b32 s1, s31, exec_lo
	s_and_not1_b32 s30, s30, exec_lo
	s_and_b32 s31, vcc_lo, exec_lo
	s_or_b32 s31, s1, s31
	s_branch .LBB80_16
.LBB80_19:                              ;   in Loop: Header=BB80_14 Depth=2
	s_set_inst_prefetch_distance 0x2
	s_or_b32 exec_lo, exec_lo, s28
	v_lshlrev_b64 v[17:18], 3, v[16:17]
	s_xor_b32 s1, s29, -1
	s_delay_alu instid0(SALU_CYCLE_1) | instskip(NEXT) | instid1(SALU_CYCLE_1)
	s_and_saveexec_b32 s28, s1
	s_xor_b32 s1, exec_lo, s28
	s_cbranch_execz .LBB80_21
; %bb.20:                               ;   in Loop: Header=BB80_14 Depth=2
	s_delay_alu instid0(VALU_DEP_1)
	v_add_co_u32 v10, vcc_lo, s2, v17
	v_add_co_ci_u32_e32 v11, vcc_lo, s3, v18, vcc_lo
                                        ; implicit-def: $vgpr17_vgpr18
	global_load_b64 v[10:11], v[10:11], off
	s_waitcnt vmcnt(0)
	global_store_b64 v[12:13], v[10:11], off
	global_store_b32 v[14:15], v4, off
                                        ; implicit-def: $vgpr12_vgpr13
                                        ; implicit-def: $vgpr14_vgpr15
                                        ; implicit-def: $vgpr10_vgpr11
.LBB80_21:                              ;   in Loop: Header=BB80_14 Depth=2
	s_and_not1_saveexec_b32 s1, s1
	s_cbranch_execz .LBB80_12
; %bb.22:                               ;   in Loop: Header=BB80_14 Depth=2
	v_add_co_u32 v17, vcc_lo, s2, v17
	v_add_co_ci_u32_e32 v18, vcc_lo, s3, v18, vcc_lo
	v_min_i32_e32 v35, v4, v35
	global_load_b64 v[17:18], v[17:18], off
	global_store_b32 v[14:15], v4, off
	s_waitcnt vmcnt(0)
	global_store_b64 v[12:13], v[17:18], off
	global_store_b32 v[10:11], v16, off
	s_branch .LBB80_12
.LBB80_23:                              ;   in Loop: Header=BB80_10 Depth=1
	ds_bpermute_b32 v4, v26, v35
	s_waitcnt lgkmcnt(0)
	v_min_i32_e32 v4, v4, v35
	ds_bpermute_b32 v10, v27, v4
	s_waitcnt lgkmcnt(0)
	v_min_i32_e32 v4, v10, v4
	;; [unrolled: 3-line block ×5, first 2 shown]
	s_delay_alu instid0(VALU_DEP_1) | instskip(SKIP_1) | instid1(SALU_CYCLE_1)
	v_cmp_gt_i32_e32 vcc_lo, s6, v4
	s_and_b32 s22, s0, vcc_lo
	s_and_saveexec_b32 s1, s22
	s_cbranch_execz .LBB80_27
; %bb.24:                               ;   in Loop: Header=BB80_10 Depth=1
	v_sub_nc_u32_e32 v10, 0, v4
	s_mov_b32 s22, exec_lo
	s_delay_alu instid0(VALU_DEP_1) | instskip(NEXT) | instid1(VALU_DEP_1)
	v_max_i32_e32 v10, v4, v10
	v_mul_hi_u32 v11, v10, v31
	s_delay_alu instid0(VALU_DEP_1) | instskip(NEXT) | instid1(VALU_DEP_1)
	v_mul_lo_u32 v12, v11, s13
	v_sub_nc_u32_e32 v10, v10, v12
	v_add_nc_u32_e32 v12, 1, v11
	s_delay_alu instid0(VALU_DEP_2) | instskip(SKIP_1) | instid1(VALU_DEP_2)
	v_subrev_nc_u32_e32 v13, s13, v10
	v_cmp_le_u32_e32 vcc_lo, s13, v10
	v_dual_cndmask_b32 v11, v11, v12 :: v_dual_cndmask_b32 v10, v10, v13
	v_ashrrev_i32_e32 v12, 31, v4
	s_delay_alu instid0(VALU_DEP_2) | instskip(NEXT) | instid1(VALU_DEP_3)
	v_add_nc_u32_e32 v13, 1, v11
	v_cmp_le_u32_e32 vcc_lo, s13, v10
	s_delay_alu instid0(VALU_DEP_3) | instskip(NEXT) | instid1(VALU_DEP_3)
	v_xor_b32_e32 v12, s15, v12
	v_cndmask_b32_e32 v10, v11, v13, vcc_lo
	s_delay_alu instid0(VALU_DEP_1) | instskip(NEXT) | instid1(VALU_DEP_1)
	v_xor_b32_e32 v10, v10, v12
	v_sub_nc_u32_e32 v10, v10, v12
	s_delay_alu instid0(VALU_DEP_1)
	v_cmpx_ge_i32_e64 v10, v32
	s_cbranch_execz .LBB80_26
; %bb.25:                               ;   in Loop: Header=BB80_10 Depth=1
	v_add_nc_u32_e32 v11, s7, v33
	v_add_nc_u32_e32 v32, 1, v10
	;; [unrolled: 1-line block ×4, first 2 shown]
	s_delay_alu instid0(VALU_DEP_4) | instskip(NEXT) | instid1(VALU_DEP_1)
	v_ashrrev_i32_e32 v12, 31, v11
	v_lshlrev_b64 v[11:12], 2, v[11:12]
	s_delay_alu instid0(VALU_DEP_1) | instskip(NEXT) | instid1(VALU_DEP_2)
	v_add_co_u32 v11, vcc_lo, s16, v11
	v_add_co_ci_u32_e32 v12, vcc_lo, s17, v12, vcc_lo
	global_store_b32 v[11:12], v10, off
.LBB80_26:                              ;   in Loop: Header=BB80_10 Depth=1
	s_or_b32 exec_lo, exec_lo, s22
.LBB80_27:                              ;   in Loop: Header=BB80_10 Depth=1
	s_delay_alu instid0(SALU_CYCLE_1)
	s_or_b32 exec_lo, exec_lo, s1
	ds_bpermute_b32 v34, v22, v4
	ds_bpermute_b32 v33, v22, v33
	s_and_not1_b32 vcc_lo, exec_lo, s11
	s_cbranch_vccnz .LBB80_9
; %bb.28:                               ;   in Loop: Header=BB80_10 Depth=1
	s_waitcnt lgkmcnt(1)
	v_sub_nc_u32_e32 v4, 0, v34
	s_mov_b32 s1, s9
	s_delay_alu instid0(VALU_DEP_1) | instskip(NEXT) | instid1(VALU_DEP_1)
	v_max_i32_e32 v4, v34, v4
	v_mul_hi_u32 v12, v4, v31
	s_delay_alu instid0(VALU_DEP_1) | instskip(SKIP_1) | instid1(VALU_DEP_2)
	v_mul_lo_u32 v10, v12, s13
	v_add_nc_u32_e32 v16, 1, v12
	v_sub_nc_u32_e32 v4, v4, v10
	s_delay_alu instid0(VALU_DEP_1) | instskip(SKIP_1) | instid1(VALU_DEP_3)
	v_cmp_le_u32_e32 vcc_lo, s13, v4
	s_waitcnt lgkmcnt(0)
	v_dual_cndmask_b32 v12, v12, v16 :: v_dual_add_nc_u32 v13, s14, v33
	s_delay_alu instid0(VALU_DEP_1) | instskip(SKIP_3) | instid1(VALU_DEP_4)
	v_ashrrev_i32_e32 v14, 31, v13
	v_mul_lo_u32 v15, s5, v13
	v_mad_u64_u32 v[10:11], null, s4, v13, 0
	v_ashrrev_i32_e32 v16, 31, v34
	v_mul_lo_u32 v13, s4, v14
	v_subrev_nc_u32_e32 v14, s13, v4
	s_delay_alu instid0(VALU_DEP_3) | instskip(NEXT) | instid1(VALU_DEP_2)
	v_xor_b32_e32 v17, s15, v16
	v_cndmask_b32_e32 v4, v4, v14, vcc_lo
	v_add_nc_u32_e32 v14, 1, v12
	v_add3_u32 v11, v11, v13, v15
	s_delay_alu instid0(VALU_DEP_3) | instskip(NEXT) | instid1(VALU_DEP_2)
	v_cmp_le_u32_e32 vcc_lo, s13, v4
	v_lshlrev_b64 v[15:16], 3, v[10:11]
	v_dual_mov_b32 v11, v9 :: v_dual_mov_b32 v10, v8
	v_dual_cndmask_b32 v4, v12, v14 :: v_dual_mov_b32 v13, v7
	v_mov_b32_e32 v12, v6
	s_delay_alu instid0(VALU_DEP_4) | instskip(NEXT) | instid1(VALU_DEP_3)
	v_add_co_u32 v35, vcc_lo, s18, v15
	v_xor_b32_e32 v4, v4, v17
	v_mov_b32_e32 v14, v0
	v_add_co_ci_u32_e32 v36, vcc_lo, s19, v16, vcc_lo
	s_delay_alu instid0(VALU_DEP_3)
	v_sub_nc_u32_e32 v37, v4, v17
	v_mov_b32_e32 v4, v23
	s_branch .LBB80_31
.LBB80_29:                              ;   in Loop: Header=BB80_31 Depth=2
	s_delay_alu instid0(VALU_DEP_1) | instskip(NEXT) | instid1(VALU_DEP_2)
	v_lshlrev_b64 v[18:19], 3, v[18:19]
	v_lshlrev_b64 v[20:21], 3, v[20:21]
	s_delay_alu instid0(VALU_DEP_2) | instskip(NEXT) | instid1(VALU_DEP_3)
	v_add_co_u32 v15, vcc_lo, v35, v18
	v_add_co_ci_u32_e32 v19, vcc_lo, v36, v19, vcc_lo
	s_delay_alu instid0(VALU_DEP_2) | instskip(NEXT) | instid1(VALU_DEP_2)
	v_add_co_u32 v18, vcc_lo, v15, v20
	v_add_co_ci_u32_e32 v19, vcc_lo, v19, v21, vcc_lo
	s_waitcnt vmcnt(0)
	global_store_b64 v[18:19], v[16:17], off
.LBB80_30:                              ;   in Loop: Header=BB80_31 Depth=2
	s_or_b32 exec_lo, exec_lo, s22
	v_add_co_u32 v12, vcc_lo, v12, 4
	v_add_co_ci_u32_e32 v13, vcc_lo, 0, v13, vcc_lo
	v_add_co_u32 v10, vcc_lo, v10, 8
	v_add_nc_u32_e32 v4, s24, v4
	v_add_nc_u32_e32 v14, 32, v14
	v_add_co_ci_u32_e32 v11, vcc_lo, 0, v11, vcc_lo
	s_add_i32 s1, s1, -1
	s_delay_alu instid0(SALU_CYCLE_1)
	s_cmp_eq_u32 s1, 0
	s_cbranch_scc1 .LBB80_9
.LBB80_31:                              ;   Parent Loop BB80_10 Depth=1
                                        ; =>  This Inner Loop Header: Depth=2
	global_load_b32 v15, v[12:13], off
	s_mov_b32 s22, exec_lo
	s_waitcnt vmcnt(0)
	v_cmpx_gt_i32_e64 s6, v15
	s_cbranch_execz .LBB80_30
; %bb.32:                               ;   in Loop: Header=BB80_31 Depth=2
	v_sub_nc_u32_e32 v16, 0, v15
	v_ashrrev_i32_e32 v39, 31, v15
	s_delay_alu instid0(VALU_DEP_2) | instskip(NEXT) | instid1(VALU_DEP_2)
	v_max_i32_e32 v16, v15, v16
	v_xor_b32_e32 v19, s15, v39
	s_delay_alu instid0(VALU_DEP_2) | instskip(NEXT) | instid1(VALU_DEP_1)
	v_mul_hi_u32 v17, v16, v31
	v_mul_lo_u32 v18, v17, s13
	s_delay_alu instid0(VALU_DEP_1) | instskip(NEXT) | instid1(VALU_DEP_1)
	v_sub_nc_u32_e32 v38, v16, v18
	v_subrev_nc_u32_e32 v40, s13, v38
	v_cmp_le_u32_e32 vcc_lo, s13, v38
	v_add_nc_u32_e32 v16, 1, v17
	s_delay_alu instid0(VALU_DEP_1) | instskip(NEXT) | instid1(VALU_DEP_4)
	v_cndmask_b32_e32 v16, v17, v16, vcc_lo
	v_cndmask_b32_e32 v17, v38, v40, vcc_lo
	s_delay_alu instid0(VALU_DEP_2) | instskip(NEXT) | instid1(VALU_DEP_2)
	v_add_nc_u32_e32 v18, 1, v16
	v_cmp_le_u32_e32 vcc_lo, s13, v17
	s_delay_alu instid0(VALU_DEP_2) | instskip(NEXT) | instid1(VALU_DEP_1)
	v_cndmask_b32_e32 v16, v16, v18, vcc_lo
	v_xor_b32_e32 v16, v16, v19
	s_delay_alu instid0(VALU_DEP_1) | instskip(NEXT) | instid1(VALU_DEP_1)
	v_sub_nc_u32_e32 v16, v16, v19
	v_cmp_eq_u32_e32 vcc_lo, v16, v37
	s_and_b32 exec_lo, exec_lo, vcc_lo
	s_cbranch_execz .LBB80_30
; %bb.33:                               ;   in Loop: Header=BB80_31 Depth=2
	global_load_b64 v[16:17], v[10:11], off
	s_and_b32 vcc_lo, exec_lo, s12
	s_cbranch_vccz .LBB80_35
; %bb.34:                               ;   in Loop: Header=BB80_31 Depth=2
	v_mul_lo_u32 v18, v37, s8
	s_delay_alu instid0(VALU_DEP_1) | instskip(NEXT) | instid1(VALU_DEP_1)
	v_sub_nc_u32_e32 v15, v15, v18
	v_mul_lo_u32 v18, v15, s8
	v_mov_b32_e32 v15, v3
	s_delay_alu instid0(VALU_DEP_1) | instskip(NEXT) | instid1(VALU_DEP_3)
	v_dual_mov_b32 v21, v15 :: v_dual_mov_b32 v20, v14
	v_ashrrev_i32_e32 v19, 31, v18
	s_cbranch_execnz .LBB80_29
	s_branch .LBB80_36
.LBB80_35:                              ;   in Loop: Header=BB80_31 Depth=2
                                        ; implicit-def: $vgpr20_vgpr21
                                        ; implicit-def: $vgpr18_vgpr19
.LBB80_36:                              ;   in Loop: Header=BB80_31 Depth=2
	v_cmp_le_u32_e32 vcc_lo, s13, v38
	v_cndmask_b32_e32 v15, v38, v40, vcc_lo
	s_delay_alu instid0(VALU_DEP_1) | instskip(SKIP_1) | instid1(VALU_DEP_2)
	v_subrev_nc_u32_e32 v18, s13, v15
	v_cmp_le_u32_e32 vcc_lo, s13, v15
	v_cndmask_b32_e32 v15, v15, v18, vcc_lo
	v_dual_mov_b32 v19, v5 :: v_dual_mov_b32 v18, v4
	s_delay_alu instid0(VALU_DEP_2) | instskip(NEXT) | instid1(VALU_DEP_1)
	v_xor_b32_e32 v15, v15, v39
	v_sub_nc_u32_e32 v20, v15, v39
	s_delay_alu instid0(VALU_DEP_1)
	v_ashrrev_i32_e32 v21, 31, v20
	s_branch .LBB80_29
.LBB80_37:
	s_nop 0
	s_sendmsg sendmsg(MSG_DEALLOC_VGPRS)
	s_endpgm
	.section	.rodata,"a",@progbits
	.p2align	6, 0x0
	.amdhsa_kernel _ZN9rocsparseL21csr2bsr_65_inf_kernelILj32E21rocsparse_complex_numIfEiiEEv20rocsparse_direction_T2_S4_S4_S4_S4_S4_21rocsparse_index_base_PKT0_PKT1_PKS4_S5_PS6_PS9_PS4_SF_SG_SE_
		.amdhsa_group_segment_fixed_size 0
		.amdhsa_private_segment_fixed_size 0
		.amdhsa_kernarg_size 112
		.amdhsa_user_sgpr_count 15
		.amdhsa_user_sgpr_dispatch_ptr 0
		.amdhsa_user_sgpr_queue_ptr 0
		.amdhsa_user_sgpr_kernarg_segment_ptr 1
		.amdhsa_user_sgpr_dispatch_id 0
		.amdhsa_user_sgpr_private_segment_size 0
		.amdhsa_wavefront_size32 1
		.amdhsa_uses_dynamic_stack 0
		.amdhsa_enable_private_segment 0
		.amdhsa_system_sgpr_workgroup_id_x 1
		.amdhsa_system_sgpr_workgroup_id_y 0
		.amdhsa_system_sgpr_workgroup_id_z 0
		.amdhsa_system_sgpr_workgroup_info 0
		.amdhsa_system_vgpr_workitem_id 0
		.amdhsa_next_free_vgpr 41
		.amdhsa_next_free_sgpr 34
		.amdhsa_reserve_vcc 1
		.amdhsa_float_round_mode_32 0
		.amdhsa_float_round_mode_16_64 0
		.amdhsa_float_denorm_mode_32 3
		.amdhsa_float_denorm_mode_16_64 3
		.amdhsa_dx10_clamp 1
		.amdhsa_ieee_mode 1
		.amdhsa_fp16_overflow 0
		.amdhsa_workgroup_processor_mode 1
		.amdhsa_memory_ordered 1
		.amdhsa_forward_progress 0
		.amdhsa_shared_vgpr_count 0
		.amdhsa_exception_fp_ieee_invalid_op 0
		.amdhsa_exception_fp_denorm_src 0
		.amdhsa_exception_fp_ieee_div_zero 0
		.amdhsa_exception_fp_ieee_overflow 0
		.amdhsa_exception_fp_ieee_underflow 0
		.amdhsa_exception_fp_ieee_inexact 0
		.amdhsa_exception_int_div_zero 0
	.end_amdhsa_kernel
	.section	.text._ZN9rocsparseL21csr2bsr_65_inf_kernelILj32E21rocsparse_complex_numIfEiiEEv20rocsparse_direction_T2_S4_S4_S4_S4_S4_21rocsparse_index_base_PKT0_PKT1_PKS4_S5_PS6_PS9_PS4_SF_SG_SE_,"axG",@progbits,_ZN9rocsparseL21csr2bsr_65_inf_kernelILj32E21rocsparse_complex_numIfEiiEEv20rocsparse_direction_T2_S4_S4_S4_S4_S4_21rocsparse_index_base_PKT0_PKT1_PKS4_S5_PS6_PS9_PS4_SF_SG_SE_,comdat
.Lfunc_end80:
	.size	_ZN9rocsparseL21csr2bsr_65_inf_kernelILj32E21rocsparse_complex_numIfEiiEEv20rocsparse_direction_T2_S4_S4_S4_S4_S4_21rocsparse_index_base_PKT0_PKT1_PKS4_S5_PS6_PS9_PS4_SF_SG_SE_, .Lfunc_end80-_ZN9rocsparseL21csr2bsr_65_inf_kernelILj32E21rocsparse_complex_numIfEiiEEv20rocsparse_direction_T2_S4_S4_S4_S4_S4_21rocsparse_index_base_PKT0_PKT1_PKS4_S5_PS6_PS9_PS4_SF_SG_SE_
                                        ; -- End function
	.section	.AMDGPU.csdata,"",@progbits
; Kernel info:
; codeLenInByte = 2272
; NumSgprs: 36
; NumVgprs: 41
; ScratchSize: 0
; MemoryBound: 0
; FloatMode: 240
; IeeeMode: 1
; LDSByteSize: 0 bytes/workgroup (compile time only)
; SGPRBlocks: 4
; VGPRBlocks: 5
; NumSGPRsForWavesPerEU: 36
; NumVGPRsForWavesPerEU: 41
; Occupancy: 16
; WaveLimiterHint : 0
; COMPUTE_PGM_RSRC2:SCRATCH_EN: 0
; COMPUTE_PGM_RSRC2:USER_SGPR: 15
; COMPUTE_PGM_RSRC2:TRAP_HANDLER: 0
; COMPUTE_PGM_RSRC2:TGID_X_EN: 1
; COMPUTE_PGM_RSRC2:TGID_Y_EN: 0
; COMPUTE_PGM_RSRC2:TGID_Z_EN: 0
; COMPUTE_PGM_RSRC2:TIDIG_COMP_CNT: 0
	.section	.text._ZN9rocsparseL35csr2bsr_block_dim_equals_one_kernelILj256E21rocsparse_complex_numIfEliEEvT2_S3_S3_S3_21rocsparse_index_base_PKT0_PKT1_PKS3_S4_PS5_PS8_PS3_,"axG",@progbits,_ZN9rocsparseL35csr2bsr_block_dim_equals_one_kernelILj256E21rocsparse_complex_numIfEliEEvT2_S3_S3_S3_21rocsparse_index_base_PKT0_PKT1_PKS3_S4_PS5_PS8_PS3_,comdat
	.globl	_ZN9rocsparseL35csr2bsr_block_dim_equals_one_kernelILj256E21rocsparse_complex_numIfEliEEvT2_S3_S3_S3_21rocsparse_index_base_PKT0_PKT1_PKS3_S4_PS5_PS8_PS3_ ; -- Begin function _ZN9rocsparseL35csr2bsr_block_dim_equals_one_kernelILj256E21rocsparse_complex_numIfEliEEvT2_S3_S3_S3_21rocsparse_index_base_PKT0_PKT1_PKS3_S4_PS5_PS8_PS3_
	.p2align	8
	.type	_ZN9rocsparseL35csr2bsr_block_dim_equals_one_kernelILj256E21rocsparse_complex_numIfEliEEvT2_S3_S3_S3_21rocsparse_index_base_PKT0_PKT1_PKS3_S4_PS5_PS8_PS3_,@function
_ZN9rocsparseL35csr2bsr_block_dim_equals_one_kernelILj256E21rocsparse_complex_numIfEliEEvT2_S3_S3_S3_21rocsparse_index_base_PKT0_PKT1_PKS3_S4_PS5_PS8_PS3_: ; @_ZN9rocsparseL35csr2bsr_block_dim_equals_one_kernelILj256E21rocsparse_complex_numIfEliEEvT2_S3_S3_S3_21rocsparse_index_base_PKT0_PKT1_PKS3_S4_PS5_PS8_PS3_
; %bb.0:
	s_clause 0x1
	s_load_b32 s2, s[0:1], 0x0
	s_load_b128 s[4:7], s[0:1], 0x18
	v_lshl_or_b32 v0, s15, 8, v0
	s_delay_alu instid0(VALU_DEP_1) | instskip(SKIP_2) | instid1(SALU_CYCLE_1)
	v_ashrrev_i32_e32 v1, 31, v0
	s_waitcnt lgkmcnt(0)
	s_ashr_i32 s3, s2, 31
	s_lshl_b64 s[2:3], s[2:3], 3
	s_delay_alu instid0(SALU_CYCLE_1)
	s_add_u32 s2, s6, s2
	s_addc_u32 s3, s7, s3
	s_clause 0x1
	s_load_b64 s[2:3], s[2:3], 0x0
	s_load_b64 s[6:7], s[6:7], 0x0
	s_waitcnt lgkmcnt(0)
	s_sub_u32 s2, s2, s6
	s_subb_u32 s3, s3, s7
	s_mov_b32 s6, exec_lo
	v_cmpx_gt_i64_e64 s[2:3], v[0:1]
	s_cbranch_execz .LBB81_3
; %bb.1:
	s_clause 0x5
	s_load_b32 s14, s[0:1], 0x30
	s_load_b64 s[6:7], s[0:1], 0x38
	s_load_b32 s12, s[0:1], 0x50
	s_load_b32 s15, s[0:1], 0x10
	s_load_b64 s[8:9], s[0:1], 0x28
	s_load_b64 s[10:11], s[0:1], 0x48
	v_lshlrev_b64 v[2:3], 3, v[0:1]
	v_lshlrev_b64 v[4:5], 2, v[0:1]
	s_mov_b32 s13, 0
	s_waitcnt lgkmcnt(0)
	s_lshl_b32 s12, s12, 8
	s_sub_i32 s1, s14, s15
	s_lshl_b64 s[14:15], s[12:13], 3
	s_lshl_b64 s[16:17], s[12:13], 2
	s_set_inst_prefetch_distance 0x1
	.p2align	6
.LBB81_2:                               ; =>This Inner Loop Header: Depth=1
	v_add_co_u32 v6, vcc_lo, s8, v4
	v_add_co_ci_u32_e32 v7, vcc_lo, s9, v5, vcc_lo
	global_load_b32 v9, v[6:7], off
	v_add_co_u32 v6, vcc_lo, s10, v4
	v_add_co_ci_u32_e32 v7, vcc_lo, s11, v5, vcc_lo
	v_add_co_u32 v8, vcc_lo, s4, v2
	v_add_co_u32 v4, s0, v4, s16
	s_delay_alu instid0(VALU_DEP_1)
	v_add_co_ci_u32_e64 v5, s0, s17, v5, s0
	s_waitcnt vmcnt(0)
	v_add_nc_u32_e32 v10, s1, v9
	v_add_co_ci_u32_e32 v9, vcc_lo, s5, v3, vcc_lo
	global_store_b32 v[6:7], v10, off
	global_load_b64 v[6:7], v[8:9], off
	v_add_co_u32 v8, vcc_lo, s6, v2
	v_add_co_ci_u32_e32 v9, vcc_lo, s7, v3, vcc_lo
	v_add_co_u32 v0, vcc_lo, v0, s12
	v_add_co_ci_u32_e32 v1, vcc_lo, 0, v1, vcc_lo
	v_add_co_u32 v2, vcc_lo, v2, s14
	v_add_co_ci_u32_e32 v3, vcc_lo, s15, v3, vcc_lo
	s_delay_alu instid0(VALU_DEP_3)
	v_cmp_le_i64_e32 vcc_lo, s[2:3], v[0:1]
	s_or_b32 s13, vcc_lo, s13
	s_waitcnt vmcnt(0)
	global_store_b64 v[8:9], v[6:7], off
	s_and_not1_b32 exec_lo, exec_lo, s13
	s_cbranch_execnz .LBB81_2
.LBB81_3:
	s_set_inst_prefetch_distance 0x2
	s_nop 0
	s_sendmsg sendmsg(MSG_DEALLOC_VGPRS)
	s_endpgm
	.section	.rodata,"a",@progbits
	.p2align	6, 0x0
	.amdhsa_kernel _ZN9rocsparseL35csr2bsr_block_dim_equals_one_kernelILj256E21rocsparse_complex_numIfEliEEvT2_S3_S3_S3_21rocsparse_index_base_PKT0_PKT1_PKS3_S4_PS5_PS8_PS3_
		.amdhsa_group_segment_fixed_size 0
		.amdhsa_private_segment_fixed_size 0
		.amdhsa_kernarg_size 336
		.amdhsa_user_sgpr_count 15
		.amdhsa_user_sgpr_dispatch_ptr 0
		.amdhsa_user_sgpr_queue_ptr 0
		.amdhsa_user_sgpr_kernarg_segment_ptr 1
		.amdhsa_user_sgpr_dispatch_id 0
		.amdhsa_user_sgpr_private_segment_size 0
		.amdhsa_wavefront_size32 1
		.amdhsa_uses_dynamic_stack 0
		.amdhsa_enable_private_segment 0
		.amdhsa_system_sgpr_workgroup_id_x 1
		.amdhsa_system_sgpr_workgroup_id_y 0
		.amdhsa_system_sgpr_workgroup_id_z 0
		.amdhsa_system_sgpr_workgroup_info 0
		.amdhsa_system_vgpr_workitem_id 0
		.amdhsa_next_free_vgpr 11
		.amdhsa_next_free_sgpr 18
		.amdhsa_reserve_vcc 1
		.amdhsa_float_round_mode_32 0
		.amdhsa_float_round_mode_16_64 0
		.amdhsa_float_denorm_mode_32 3
		.amdhsa_float_denorm_mode_16_64 3
		.amdhsa_dx10_clamp 1
		.amdhsa_ieee_mode 1
		.amdhsa_fp16_overflow 0
		.amdhsa_workgroup_processor_mode 1
		.amdhsa_memory_ordered 1
		.amdhsa_forward_progress 0
		.amdhsa_shared_vgpr_count 0
		.amdhsa_exception_fp_ieee_invalid_op 0
		.amdhsa_exception_fp_denorm_src 0
		.amdhsa_exception_fp_ieee_div_zero 0
		.amdhsa_exception_fp_ieee_overflow 0
		.amdhsa_exception_fp_ieee_underflow 0
		.amdhsa_exception_fp_ieee_inexact 0
		.amdhsa_exception_int_div_zero 0
	.end_amdhsa_kernel
	.section	.text._ZN9rocsparseL35csr2bsr_block_dim_equals_one_kernelILj256E21rocsparse_complex_numIfEliEEvT2_S3_S3_S3_21rocsparse_index_base_PKT0_PKT1_PKS3_S4_PS5_PS8_PS3_,"axG",@progbits,_ZN9rocsparseL35csr2bsr_block_dim_equals_one_kernelILj256E21rocsparse_complex_numIfEliEEvT2_S3_S3_S3_21rocsparse_index_base_PKT0_PKT1_PKS3_S4_PS5_PS8_PS3_,comdat
.Lfunc_end81:
	.size	_ZN9rocsparseL35csr2bsr_block_dim_equals_one_kernelILj256E21rocsparse_complex_numIfEliEEvT2_S3_S3_S3_21rocsparse_index_base_PKT0_PKT1_PKS3_S4_PS5_PS8_PS3_, .Lfunc_end81-_ZN9rocsparseL35csr2bsr_block_dim_equals_one_kernelILj256E21rocsparse_complex_numIfEliEEvT2_S3_S3_S3_21rocsparse_index_base_PKT0_PKT1_PKS3_S4_PS5_PS8_PS3_
                                        ; -- End function
	.section	.AMDGPU.csdata,"",@progbits
; Kernel info:
; codeLenInByte = 376
; NumSgprs: 20
; NumVgprs: 11
; ScratchSize: 0
; MemoryBound: 0
; FloatMode: 240
; IeeeMode: 1
; LDSByteSize: 0 bytes/workgroup (compile time only)
; SGPRBlocks: 2
; VGPRBlocks: 1
; NumSGPRsForWavesPerEU: 20
; NumVGPRsForWavesPerEU: 11
; Occupancy: 16
; WaveLimiterHint : 0
; COMPUTE_PGM_RSRC2:SCRATCH_EN: 0
; COMPUTE_PGM_RSRC2:USER_SGPR: 15
; COMPUTE_PGM_RSRC2:TRAP_HANDLER: 0
; COMPUTE_PGM_RSRC2:TGID_X_EN: 1
; COMPUTE_PGM_RSRC2:TGID_Y_EN: 0
; COMPUTE_PGM_RSRC2:TGID_Z_EN: 0
; COMPUTE_PGM_RSRC2:TIDIG_COMP_CNT: 0
	.section	.text._ZN9rocsparseL42csr2bsr_wavefront_per_row_multipass_kernelILj256ELj16ELj4E21rocsparse_complex_numIfEliEEv20rocsparse_direction_T4_S4_S4_S4_S4_21rocsparse_index_base_PKT2_PKT3_PKS4_S5_PS6_PS9_PS4_,"axG",@progbits,_ZN9rocsparseL42csr2bsr_wavefront_per_row_multipass_kernelILj256ELj16ELj4E21rocsparse_complex_numIfEliEEv20rocsparse_direction_T4_S4_S4_S4_S4_21rocsparse_index_base_PKT2_PKT3_PKS4_S5_PS6_PS9_PS4_,comdat
	.globl	_ZN9rocsparseL42csr2bsr_wavefront_per_row_multipass_kernelILj256ELj16ELj4E21rocsparse_complex_numIfEliEEv20rocsparse_direction_T4_S4_S4_S4_S4_21rocsparse_index_base_PKT2_PKT3_PKS4_S5_PS6_PS9_PS4_ ; -- Begin function _ZN9rocsparseL42csr2bsr_wavefront_per_row_multipass_kernelILj256ELj16ELj4E21rocsparse_complex_numIfEliEEv20rocsparse_direction_T4_S4_S4_S4_S4_21rocsparse_index_base_PKT2_PKT3_PKS4_S5_PS6_PS9_PS4_
	.p2align	8
	.type	_ZN9rocsparseL42csr2bsr_wavefront_per_row_multipass_kernelILj256ELj16ELj4E21rocsparse_complex_numIfEliEEv20rocsparse_direction_T4_S4_S4_S4_S4_21rocsparse_index_base_PKT2_PKT3_PKS4_S5_PS6_PS9_PS4_,@function
_ZN9rocsparseL42csr2bsr_wavefront_per_row_multipass_kernelILj256ELj16ELj4E21rocsparse_complex_numIfEliEEv20rocsparse_direction_T4_S4_S4_S4_S4_21rocsparse_index_base_PKT2_PKT3_PKS4_S5_PS6_PS9_PS4_: ; @_ZN9rocsparseL42csr2bsr_wavefront_per_row_multipass_kernelILj256ELj16ELj4E21rocsparse_complex_numIfEliEEv20rocsparse_direction_T4_S4_S4_S4_S4_21rocsparse_index_base_PKT2_PKT3_PKS4_S5_PS6_PS9_PS4_
; %bb.0:
	s_clause 0x1
	s_load_b128 s[4:7], s[0:1], 0xc
	s_load_b64 s[10:11], s[0:1], 0x0
	v_lshrrev_b32_e32 v20, 4, v0
	v_bfe_u32 v6, v0, 2, 2
	s_load_b64 s[8:9], s[0:1], 0x28
	v_mov_b32_e32 v1, 0
	v_mov_b32_e32 v2, 0
	v_lshl_or_b32 v9, s15, 4, v20
	s_waitcnt lgkmcnt(0)
	s_delay_alu instid0(VALU_DEP_1) | instskip(SKIP_2) | instid1(VALU_DEP_3)
	v_mad_u64_u32 v[3:4], null, v9, s6, v[6:7]
	v_cmp_gt_i32_e32 vcc_lo, s6, v6
	v_dual_mov_b32 v8, v2 :: v_dual_mov_b32 v7, v1
	v_cmp_gt_i32_e64 s2, s11, v3
	s_delay_alu instid0(VALU_DEP_1) | instskip(NEXT) | instid1(SALU_CYCLE_1)
	s_and_b32 s3, vcc_lo, s2
	s_and_saveexec_b32 s11, s3
	s_cbranch_execz .LBB82_2
; %bb.1:
	v_ashrrev_i32_e32 v4, 31, v3
	s_delay_alu instid0(VALU_DEP_1) | instskip(NEXT) | instid1(VALU_DEP_1)
	v_lshlrev_b64 v[4:5], 3, v[3:4]
	v_add_co_u32 v4, s2, s8, v4
	s_delay_alu instid0(VALU_DEP_1) | instskip(SKIP_3) | instid1(VALU_DEP_1)
	v_add_co_ci_u32_e64 v5, s2, s9, v5, s2
	global_load_b64 v[4:5], v[4:5], off
	s_waitcnt vmcnt(0)
	v_sub_co_u32 v7, s2, v4, s7
	v_subrev_co_ci_u32_e64 v8, s2, 0, v5, s2
.LBB82_2:
	s_or_b32 exec_lo, exec_lo, s11
	s_and_saveexec_b32 s11, s3
	s_cbranch_execz .LBB82_4
; %bb.3:
	v_ashrrev_i32_e32 v4, 31, v3
	s_delay_alu instid0(VALU_DEP_1) | instskip(NEXT) | instid1(VALU_DEP_1)
	v_lshlrev_b64 v[1:2], 3, v[3:4]
	v_add_co_u32 v1, s2, s8, v1
	s_delay_alu instid0(VALU_DEP_1) | instskip(SKIP_3) | instid1(VALU_DEP_1)
	v_add_co_ci_u32_e64 v2, s2, s9, v2, s2
	global_load_b64 v[1:2], v[1:2], off offset:8
	s_waitcnt vmcnt(0)
	v_sub_co_u32 v1, s2, v1, s7
	v_subrev_co_ci_u32_e64 v2, s2, 0, v2, s2
.LBB82_4:
	s_or_b32 exec_lo, exec_lo, s11
	s_load_b32 s12, s[0:1], 0x38
	v_mov_b32_e32 v3, 0
	v_mov_b32_e32 v4, 0
	s_mov_b32 s3, exec_lo
	v_cmpx_gt_i32_e64 s4, v9
	s_cbranch_execz .LBB82_6
; %bb.5:
	s_load_b64 s[8:9], s[0:1], 0x48
	v_ashrrev_i32_e32 v10, 31, v9
	s_delay_alu instid0(VALU_DEP_1) | instskip(SKIP_1) | instid1(VALU_DEP_1)
	v_lshlrev_b64 v[3:4], 3, v[9:10]
	s_waitcnt lgkmcnt(0)
	v_add_co_u32 v3, s2, s8, v3
	s_delay_alu instid0(VALU_DEP_1) | instskip(SKIP_3) | instid1(VALU_DEP_1)
	v_add_co_ci_u32_e64 v4, s2, s9, v4, s2
	global_load_b64 v[3:4], v[3:4], off
	s_waitcnt vmcnt(0)
	v_sub_co_u32 v3, s2, v3, s12
	v_subrev_co_ci_u32_e64 v4, s2, 0, v4, s2
.LBB82_6:
	s_or_b32 exec_lo, exec_lo, s3
	s_cmp_lt_i32 s5, 1
	s_cbranch_scc1 .LBB82_21
; %bb.7:
	s_load_b64 s[14:15], s[0:1], 0x40
	v_mov_b32_e32 v5, 0
	v_and_b32_e32 v21, 3, v0
	v_mul_lo_u32 v11, v6, s6
	v_and_b32_e32 v0, 0xf0, v0
	s_delay_alu instid0(VALU_DEP_4) | instskip(NEXT) | instid1(VALU_DEP_4)
	v_dual_mov_b32 v10, v5 :: v_dual_lshlrev_b32 v13, 3, v6
	v_mul_lo_u32 v9, v21, s6
	v_lshlrev_b32_e32 v14, 3, v21
	v_mov_b32_e32 v12, v5
	v_cmp_gt_u32_e64 s2, s6, v21
	v_mov_b32_e32 v32, 1
	s_delay_alu instid0(VALU_DEP_3) | instskip(SKIP_1) | instid1(VALU_DEP_4)
	v_lshlrev_b64 v[11:12], 3, v[11:12]
	v_lshlrev_b64 v[9:10], 3, v[9:10]
	s_and_b32 s4, vcc_lo, s2
	s_cmp_eq_u32 s10, 0
	s_clause 0x1
	s_load_b64 s[10:11], s[0:1], 0x50
	s_load_b64 s[8:9], s[0:1], 0x30
	s_waitcnt lgkmcnt(0)
	v_add_co_u32 v9, vcc_lo, s14, v9
	v_add_co_ci_u32_e32 v10, vcc_lo, s15, v10, vcc_lo
	v_add_co_u32 v11, vcc_lo, s14, v11
	v_add_co_ci_u32_e32 v12, vcc_lo, s15, v12, vcc_lo
	s_delay_alu instid0(VALU_DEP_4) | instskip(NEXT) | instid1(VALU_DEP_4)
	v_add_co_u32 v9, vcc_lo, v9, v13
	v_add_co_ci_u32_e32 v10, vcc_lo, 0, v10, vcc_lo
	s_delay_alu instid0(VALU_DEP_4) | instskip(NEXT) | instid1(VALU_DEP_4)
	v_add_co_u32 v11, vcc_lo, v11, v14
	v_add_co_ci_u32_e32 v12, vcc_lo, 0, v12, vcc_lo
	s_cselect_b32 vcc_lo, -1, 0
	s_abs_i32 s13, s6
	v_mbcnt_lo_u32_b32 v14, -1, 0
	v_cvt_f32_u32_e32 v13, s13
	v_dual_cndmask_b32 v29, v10, v12 :: v_dual_cndmask_b32 v30, v9, v11
	v_mov_b32_e32 v9, 0
	v_lshl_or_b32 v0, v6, 2, v0
	s_delay_alu instid0(VALU_DEP_4)
	v_rcp_iflag_f32_e32 v13, v13
	v_xor_b32_e32 v6, 2, v14
	v_lshlrev_b32_e32 v18, 2, v14
	v_xor_b32_e32 v16, 4, v14
	v_or_b32_e32 v15, v0, v21
	s_mul_hi_u32 s14, s6, s6
	v_cmp_gt_i32_e64 s2, 32, v6
	v_or_b32_e32 v25, 12, v18
	v_or_b32_e32 v28, 60, v18
	s_delay_alu instid0(TRANS32_DEP_1) | instskip(NEXT) | instid1(VALU_DEP_4)
	v_dual_mul_f32 v13, 0x4f7ffffe, v13 :: v_dual_lshlrev_b32 v22, 3, v15
	v_cndmask_b32_e64 v6, v14, v6, s2
	s_load_b64 s[2:3], s[0:1], 0x20
	s_sub_i32 s0, 0, s13
	v_xor_b32_e32 v15, 8, v14
	s_delay_alu instid0(VALU_DEP_2)
	v_dual_mov_b32 v10, 0 :: v_dual_lshlrev_b32 v23, 2, v6
	v_cvt_u32_f32_e32 v6, v13
	v_xor_b32_e32 v13, 1, v14
	s_mov_b32 s1, 0
	s_mul_i32 s15, s6, s6
	s_ashr_i32 s16, s6, 31
	v_mul_lo_u32 v17, s0, v6
	v_cmp_gt_i32_e64 s0, 32, v13
	s_delay_alu instid0(VALU_DEP_1) | instskip(SKIP_1) | instid1(VALU_DEP_2)
	v_cndmask_b32_e64 v13, v14, v13, s0
	v_cmp_gt_i32_e64 s0, 32, v15
	v_lshlrev_b32_e32 v24, 2, v13
	s_delay_alu instid0(VALU_DEP_2) | instskip(SKIP_1) | instid1(VALU_DEP_2)
	v_cndmask_b32_e64 v15, v14, v15, s0
	v_cmp_gt_i32_e64 s0, 32, v16
	v_lshlrev_b32_e32 v26, 2, v15
	s_delay_alu instid0(VALU_DEP_2) | instskip(SKIP_1) | instid1(VALU_DEP_2)
	v_cndmask_b32_e64 v14, v14, v16, s0
	v_mul_hi_u32 v16, v6, v17
	v_lshlrev_b32_e32 v27, 2, v14
	s_delay_alu instid0(VALU_DEP_2)
	v_dual_mov_b32 v6, v5 :: v_dual_add_nc_u32 v31, v6, v16
	s_branch .LBB82_10
.LBB82_8:                               ;   in Loop: Header=BB82_10 Depth=1
	s_or_b32 exec_lo, exec_lo, s17
	v_mov_b32_e32 v10, 1
	v_mov_b32_e32 v11, 0
.LBB82_9:                               ;   in Loop: Header=BB82_10 Depth=1
	s_or_b32 exec_lo, exec_lo, s0
	ds_bpermute_b32 v9, v26, v33
	v_add_co_u32 v3, s0, v10, v3
	s_delay_alu instid0(VALU_DEP_1)
	v_add_co_ci_u32_e64 v4, s0, v11, v4, s0
	s_waitcnt lgkmcnt(0)
	s_waitcnt_vscnt null, 0x0
	buffer_gl0_inv
	buffer_gl0_inv
	v_min_i32_e32 v9, v9, v33
	ds_bpermute_b32 v12, v27, v9
	s_waitcnt lgkmcnt(0)
	v_min_i32_e32 v9, v12, v9
	ds_bpermute_b32 v12, v23, v9
	s_waitcnt lgkmcnt(0)
	;; [unrolled: 3-line block ×4, first 2 shown]
	v_cmp_le_i32_e32 vcc_lo, s5, v9
	v_ashrrev_i32_e32 v10, 31, v9
	s_or_b32 s1, vcc_lo, s1
	s_delay_alu instid0(SALU_CYCLE_1)
	s_and_not1_b32 exec_lo, exec_lo, s1
	s_cbranch_execz .LBB82_21
.LBB82_10:                              ; =>This Loop Header: Depth=1
                                        ;     Child Loop BB82_13 Depth 2
	v_add_co_u32 v7, vcc_lo, v7, v21
	v_dual_mov_b32 v33, s5 :: v_dual_mov_b32 v16, v2
	v_add_co_ci_u32_e32 v8, vcc_lo, 0, v8, vcc_lo
	v_mov_b32_e32 v15, v1
	s_mov_b32 s17, exec_lo
	ds_store_b8 v20, v5 offset:2048
	ds_store_b64 v22, v[5:6]
	s_waitcnt lgkmcnt(0)
	buffer_gl0_inv
	v_cmpx_lt_i64_e64 v[7:8], v[1:2]
	s_cbranch_execz .LBB82_18
; %bb.11:                               ;   in Loop: Header=BB82_10 Depth=1
	v_lshlrev_b64 v[11:12], 3, v[7:8]
	v_lshlrev_b64 v[13:14], 2, v[7:8]
	v_dual_mov_b32 v33, s5 :: v_dual_mov_b32 v16, v2
	v_mov_b32_e32 v15, v1
	s_mov_b32 s18, 0
	s_delay_alu instid0(VALU_DEP_4)
	v_add_co_u32 v11, vcc_lo, s2, v11
	v_add_co_ci_u32_e32 v12, vcc_lo, s3, v12, vcc_lo
	v_add_co_u32 v13, vcc_lo, s8, v13
	v_add_co_ci_u32_e32 v14, vcc_lo, s9, v14, vcc_lo
	s_branch .LBB82_13
.LBB82_12:                              ;   in Loop: Header=BB82_13 Depth=2
	s_or_b32 exec_lo, exec_lo, s0
	v_add_co_u32 v7, s0, v7, 4
	s_delay_alu instid0(VALU_DEP_1) | instskip(SKIP_2) | instid1(VALU_DEP_2)
	v_add_co_ci_u32_e64 v8, s0, 0, v8, s0
	s_xor_b32 s19, vcc_lo, -1
	v_add_co_u32 v11, vcc_lo, v11, 32
	v_cmp_ge_i64_e64 s0, v[7:8], v[1:2]
	v_add_co_ci_u32_e32 v12, vcc_lo, 0, v12, vcc_lo
	v_add_co_u32 v13, vcc_lo, v13, 16
	v_add_co_ci_u32_e32 v14, vcc_lo, 0, v14, vcc_lo
	s_delay_alu instid0(VALU_DEP_4) | instskip(NEXT) | instid1(SALU_CYCLE_1)
	s_or_b32 s0, s19, s0
	s_and_b32 s0, exec_lo, s0
	s_delay_alu instid0(SALU_CYCLE_1) | instskip(NEXT) | instid1(SALU_CYCLE_1)
	s_or_b32 s18, s0, s18
	s_and_not1_b32 exec_lo, exec_lo, s18
	s_cbranch_execz .LBB82_17
.LBB82_13:                              ;   Parent Loop BB82_10 Depth=1
                                        ; =>  This Inner Loop Header: Depth=2
	global_load_b32 v17, v[13:14], off
	s_waitcnt vmcnt(0)
	v_subrev_nc_u32_e32 v34, s7, v17
	s_delay_alu instid0(VALU_DEP_1) | instskip(NEXT) | instid1(VALU_DEP_1)
	v_sub_nc_u32_e32 v17, 0, v34
	v_max_i32_e32 v17, v34, v17
	s_delay_alu instid0(VALU_DEP_1) | instskip(NEXT) | instid1(VALU_DEP_1)
	v_mul_hi_u32 v18, v17, v31
	v_mul_lo_u32 v19, v18, s13
	s_delay_alu instid0(VALU_DEP_1) | instskip(SKIP_1) | instid1(VALU_DEP_2)
	v_sub_nc_u32_e32 v17, v17, v19
	v_add_nc_u32_e32 v19, 1, v18
	v_subrev_nc_u32_e32 v35, s13, v17
	v_cmp_le_u32_e32 vcc_lo, s13, v17
	s_delay_alu instid0(VALU_DEP_3) | instskip(NEXT) | instid1(VALU_DEP_3)
	v_cndmask_b32_e32 v18, v18, v19, vcc_lo
	v_cndmask_b32_e32 v17, v17, v35, vcc_lo
	v_ashrrev_i32_e32 v19, 31, v34
	s_delay_alu instid0(VALU_DEP_3) | instskip(NEXT) | instid1(VALU_DEP_3)
	v_add_nc_u32_e32 v35, 1, v18
	v_cmp_le_u32_e32 vcc_lo, s13, v17
	s_delay_alu instid0(VALU_DEP_3) | instskip(NEXT) | instid1(VALU_DEP_3)
	v_xor_b32_e32 v19, s16, v19
	v_cndmask_b32_e32 v17, v18, v35, vcc_lo
	s_delay_alu instid0(VALU_DEP_1) | instskip(NEXT) | instid1(VALU_DEP_1)
	v_xor_b32_e32 v17, v17, v19
	v_sub_nc_u32_e32 v17, v17, v19
	s_delay_alu instid0(VALU_DEP_1) | instskip(NEXT) | instid1(VALU_DEP_1)
	v_ashrrev_i32_e32 v18, 31, v17
	v_cmp_eq_u64_e32 vcc_lo, v[9:10], v[17:18]
	v_cmp_ne_u64_e64 s0, v[9:10], v[17:18]
	v_dual_mov_b32 v19, v16 :: v_dual_mov_b32 v18, v15
	s_delay_alu instid0(VALU_DEP_2) | instskip(NEXT) | instid1(SALU_CYCLE_1)
	s_and_saveexec_b32 s19, s0
	s_xor_b32 s0, exec_lo, s19
; %bb.14:                               ;   in Loop: Header=BB82_13 Depth=2
	v_min_i32_e32 v33, v17, v33
                                        ; implicit-def: $vgpr17
                                        ; implicit-def: $vgpr34
                                        ; implicit-def: $vgpr18_vgpr19
; %bb.15:                               ;   in Loop: Header=BB82_13 Depth=2
	s_or_saveexec_b32 s0, s0
	v_dual_mov_b32 v16, v8 :: v_dual_mov_b32 v15, v7
	s_xor_b32 exec_lo, exec_lo, s0
	s_cbranch_execz .LBB82_12
; %bb.16:                               ;   in Loop: Header=BB82_13 Depth=2
	global_load_b64 v[35:36], v[11:12], off
	v_mul_lo_u32 v15, v17, s6
	s_delay_alu instid0(VALU_DEP_1) | instskip(NEXT) | instid1(VALU_DEP_1)
	v_sub_nc_u32_e32 v15, v34, v15
	v_add_lshl_u32 v17, v15, v0, 3
	v_dual_mov_b32 v15, v18 :: v_dual_mov_b32 v16, v19
	ds_store_b8 v20, v32 offset:2048
	s_waitcnt vmcnt(0)
	ds_store_b64 v17, v[35:36]
	s_branch .LBB82_12
.LBB82_17:                              ;   in Loop: Header=BB82_10 Depth=1
	s_or_b32 exec_lo, exec_lo, s18
.LBB82_18:                              ;   in Loop: Header=BB82_10 Depth=1
	s_delay_alu instid0(SALU_CYCLE_1)
	s_or_b32 exec_lo, exec_lo, s17
	ds_bpermute_b32 v7, v23, v15
	ds_bpermute_b32 v8, v23, v16
	s_waitcnt lgkmcnt(0)
	buffer_gl0_inv
	ds_load_u8 v12, v20 offset:2048
	s_mov_b32 s0, exec_lo
	v_cmp_lt_i64_e32 vcc_lo, v[7:8], v[15:16]
	s_waitcnt lgkmcnt(0)
	v_and_b32_e32 v12, 1, v12
	v_dual_cndmask_b32 v8, v16, v8 :: v_dual_cndmask_b32 v7, v15, v7
	ds_bpermute_b32 v11, v24, v8
	ds_bpermute_b32 v10, v24, v7
	s_waitcnt lgkmcnt(0)
	v_cmp_lt_i64_e32 vcc_lo, v[10:11], v[7:8]
	v_dual_cndmask_b32 v8, v8, v11 :: v_dual_cndmask_b32 v7, v7, v10
	v_mov_b32_e32 v10, 0
	v_mov_b32_e32 v11, 0
	ds_bpermute_b32 v8, v25, v8
	ds_bpermute_b32 v7, v25, v7
	v_cmpx_eq_u32_e32 1, v12
	s_cbranch_execz .LBB82_9
; %bb.19:                               ;   in Loop: Header=BB82_10 Depth=1
	v_lshlrev_b64 v[10:11], 2, v[3:4]
	v_add_nc_u32_e32 v12, s12, v9
	s_delay_alu instid0(VALU_DEP_2) | instskip(NEXT) | instid1(VALU_DEP_3)
	v_add_co_u32 v9, vcc_lo, s10, v10
	v_add_co_ci_u32_e32 v10, vcc_lo, s11, v11, vcc_lo
	global_store_b32 v[9:10], v12, off
	s_and_saveexec_b32 s17, s4
	s_cbranch_execz .LBB82_8
; %bb.20:                               ;   in Loop: Header=BB82_10 Depth=1
	v_mul_lo_u32 v13, s14, v3
	v_mul_lo_u32 v14, s15, v4
	v_mad_u64_u32 v[9:10], null, s15, v3, 0
	ds_load_b64 v[11:12], v22
	v_add3_u32 v10, v10, v14, v13
	s_delay_alu instid0(VALU_DEP_1) | instskip(NEXT) | instid1(VALU_DEP_1)
	v_lshlrev_b64 v[9:10], 3, v[9:10]
	v_add_co_u32 v9, vcc_lo, v30, v9
	s_delay_alu instid0(VALU_DEP_2)
	v_add_co_ci_u32_e32 v10, vcc_lo, v29, v10, vcc_lo
	s_waitcnt lgkmcnt(0)
	global_store_b64 v[9:10], v[11:12], off
	s_branch .LBB82_8
.LBB82_21:
	s_endpgm
	.section	.rodata,"a",@progbits
	.p2align	6, 0x0
	.amdhsa_kernel _ZN9rocsparseL42csr2bsr_wavefront_per_row_multipass_kernelILj256ELj16ELj4E21rocsparse_complex_numIfEliEEv20rocsparse_direction_T4_S4_S4_S4_S4_21rocsparse_index_base_PKT2_PKT3_PKS4_S5_PS6_PS9_PS4_
		.amdhsa_group_segment_fixed_size 2064
		.amdhsa_private_segment_fixed_size 0
		.amdhsa_kernarg_size 88
		.amdhsa_user_sgpr_count 15
		.amdhsa_user_sgpr_dispatch_ptr 0
		.amdhsa_user_sgpr_queue_ptr 0
		.amdhsa_user_sgpr_kernarg_segment_ptr 1
		.amdhsa_user_sgpr_dispatch_id 0
		.amdhsa_user_sgpr_private_segment_size 0
		.amdhsa_wavefront_size32 1
		.amdhsa_uses_dynamic_stack 0
		.amdhsa_enable_private_segment 0
		.amdhsa_system_sgpr_workgroup_id_x 1
		.amdhsa_system_sgpr_workgroup_id_y 0
		.amdhsa_system_sgpr_workgroup_id_z 0
		.amdhsa_system_sgpr_workgroup_info 0
		.amdhsa_system_vgpr_workitem_id 0
		.amdhsa_next_free_vgpr 37
		.amdhsa_next_free_sgpr 20
		.amdhsa_reserve_vcc 1
		.amdhsa_float_round_mode_32 0
		.amdhsa_float_round_mode_16_64 0
		.amdhsa_float_denorm_mode_32 3
		.amdhsa_float_denorm_mode_16_64 3
		.amdhsa_dx10_clamp 1
		.amdhsa_ieee_mode 1
		.amdhsa_fp16_overflow 0
		.amdhsa_workgroup_processor_mode 1
		.amdhsa_memory_ordered 1
		.amdhsa_forward_progress 0
		.amdhsa_shared_vgpr_count 0
		.amdhsa_exception_fp_ieee_invalid_op 0
		.amdhsa_exception_fp_denorm_src 0
		.amdhsa_exception_fp_ieee_div_zero 0
		.amdhsa_exception_fp_ieee_overflow 0
		.amdhsa_exception_fp_ieee_underflow 0
		.amdhsa_exception_fp_ieee_inexact 0
		.amdhsa_exception_int_div_zero 0
	.end_amdhsa_kernel
	.section	.text._ZN9rocsparseL42csr2bsr_wavefront_per_row_multipass_kernelILj256ELj16ELj4E21rocsparse_complex_numIfEliEEv20rocsparse_direction_T4_S4_S4_S4_S4_21rocsparse_index_base_PKT2_PKT3_PKS4_S5_PS6_PS9_PS4_,"axG",@progbits,_ZN9rocsparseL42csr2bsr_wavefront_per_row_multipass_kernelILj256ELj16ELj4E21rocsparse_complex_numIfEliEEv20rocsparse_direction_T4_S4_S4_S4_S4_21rocsparse_index_base_PKT2_PKT3_PKS4_S5_PS6_PS9_PS4_,comdat
.Lfunc_end82:
	.size	_ZN9rocsparseL42csr2bsr_wavefront_per_row_multipass_kernelILj256ELj16ELj4E21rocsparse_complex_numIfEliEEv20rocsparse_direction_T4_S4_S4_S4_S4_21rocsparse_index_base_PKT2_PKT3_PKS4_S5_PS6_PS9_PS4_, .Lfunc_end82-_ZN9rocsparseL42csr2bsr_wavefront_per_row_multipass_kernelILj256ELj16ELj4E21rocsparse_complex_numIfEliEEv20rocsparse_direction_T4_S4_S4_S4_S4_21rocsparse_index_base_PKT2_PKT3_PKS4_S5_PS6_PS9_PS4_
                                        ; -- End function
	.section	.AMDGPU.csdata,"",@progbits
; Kernel info:
; codeLenInByte = 1704
; NumSgprs: 22
; NumVgprs: 37
; ScratchSize: 0
; MemoryBound: 0
; FloatMode: 240
; IeeeMode: 1
; LDSByteSize: 2064 bytes/workgroup (compile time only)
; SGPRBlocks: 2
; VGPRBlocks: 4
; NumSGPRsForWavesPerEU: 22
; NumVGPRsForWavesPerEU: 37
; Occupancy: 16
; WaveLimiterHint : 0
; COMPUTE_PGM_RSRC2:SCRATCH_EN: 0
; COMPUTE_PGM_RSRC2:USER_SGPR: 15
; COMPUTE_PGM_RSRC2:TRAP_HANDLER: 0
; COMPUTE_PGM_RSRC2:TGID_X_EN: 1
; COMPUTE_PGM_RSRC2:TGID_Y_EN: 0
; COMPUTE_PGM_RSRC2:TGID_Z_EN: 0
; COMPUTE_PGM_RSRC2:TIDIG_COMP_CNT: 0
	.section	.text._ZN9rocsparseL42csr2bsr_wavefront_per_row_multipass_kernelILj256ELj64ELj8E21rocsparse_complex_numIfEliEEv20rocsparse_direction_T4_S4_S4_S4_S4_21rocsparse_index_base_PKT2_PKT3_PKS4_S5_PS6_PS9_PS4_,"axG",@progbits,_ZN9rocsparseL42csr2bsr_wavefront_per_row_multipass_kernelILj256ELj64ELj8E21rocsparse_complex_numIfEliEEv20rocsparse_direction_T4_S4_S4_S4_S4_21rocsparse_index_base_PKT2_PKT3_PKS4_S5_PS6_PS9_PS4_,comdat
	.globl	_ZN9rocsparseL42csr2bsr_wavefront_per_row_multipass_kernelILj256ELj64ELj8E21rocsparse_complex_numIfEliEEv20rocsparse_direction_T4_S4_S4_S4_S4_21rocsparse_index_base_PKT2_PKT3_PKS4_S5_PS6_PS9_PS4_ ; -- Begin function _ZN9rocsparseL42csr2bsr_wavefront_per_row_multipass_kernelILj256ELj64ELj8E21rocsparse_complex_numIfEliEEv20rocsparse_direction_T4_S4_S4_S4_S4_21rocsparse_index_base_PKT2_PKT3_PKS4_S5_PS6_PS9_PS4_
	.p2align	8
	.type	_ZN9rocsparseL42csr2bsr_wavefront_per_row_multipass_kernelILj256ELj64ELj8E21rocsparse_complex_numIfEliEEv20rocsparse_direction_T4_S4_S4_S4_S4_21rocsparse_index_base_PKT2_PKT3_PKS4_S5_PS6_PS9_PS4_,@function
_ZN9rocsparseL42csr2bsr_wavefront_per_row_multipass_kernelILj256ELj64ELj8E21rocsparse_complex_numIfEliEEv20rocsparse_direction_T4_S4_S4_S4_S4_21rocsparse_index_base_PKT2_PKT3_PKS4_S5_PS6_PS9_PS4_: ; @_ZN9rocsparseL42csr2bsr_wavefront_per_row_multipass_kernelILj256ELj64ELj8E21rocsparse_complex_numIfEliEEv20rocsparse_direction_T4_S4_S4_S4_S4_21rocsparse_index_base_PKT2_PKT3_PKS4_S5_PS6_PS9_PS4_
; %bb.0:
	s_clause 0x1
	s_load_b128 s[4:7], s[0:1], 0xc
	s_load_b64 s[10:11], s[0:1], 0x0
	v_lshrrev_b32_e32 v20, 6, v0
	v_bfe_u32 v6, v0, 3, 3
	s_load_b64 s[8:9], s[0:1], 0x28
	v_mov_b32_e32 v1, 0
	v_mov_b32_e32 v2, 0
	v_lshl_or_b32 v9, s15, 2, v20
	s_waitcnt lgkmcnt(0)
	s_delay_alu instid0(VALU_DEP_1) | instskip(SKIP_2) | instid1(VALU_DEP_3)
	v_mad_u64_u32 v[3:4], null, v9, s6, v[6:7]
	v_cmp_gt_i32_e32 vcc_lo, s6, v6
	v_dual_mov_b32 v8, v2 :: v_dual_mov_b32 v7, v1
	v_cmp_gt_i32_e64 s2, s11, v3
	s_delay_alu instid0(VALU_DEP_1) | instskip(NEXT) | instid1(SALU_CYCLE_1)
	s_and_b32 s3, vcc_lo, s2
	s_and_saveexec_b32 s11, s3
	s_cbranch_execz .LBB83_2
; %bb.1:
	v_ashrrev_i32_e32 v4, 31, v3
	s_delay_alu instid0(VALU_DEP_1) | instskip(NEXT) | instid1(VALU_DEP_1)
	v_lshlrev_b64 v[4:5], 3, v[3:4]
	v_add_co_u32 v4, s2, s8, v4
	s_delay_alu instid0(VALU_DEP_1) | instskip(SKIP_3) | instid1(VALU_DEP_1)
	v_add_co_ci_u32_e64 v5, s2, s9, v5, s2
	global_load_b64 v[4:5], v[4:5], off
	s_waitcnt vmcnt(0)
	v_sub_co_u32 v7, s2, v4, s7
	v_subrev_co_ci_u32_e64 v8, s2, 0, v5, s2
.LBB83_2:
	s_or_b32 exec_lo, exec_lo, s11
	s_and_saveexec_b32 s11, s3
	s_cbranch_execz .LBB83_4
; %bb.3:
	v_ashrrev_i32_e32 v4, 31, v3
	s_delay_alu instid0(VALU_DEP_1) | instskip(NEXT) | instid1(VALU_DEP_1)
	v_lshlrev_b64 v[1:2], 3, v[3:4]
	v_add_co_u32 v1, s2, s8, v1
	s_delay_alu instid0(VALU_DEP_1) | instskip(SKIP_3) | instid1(VALU_DEP_1)
	v_add_co_ci_u32_e64 v2, s2, s9, v2, s2
	global_load_b64 v[1:2], v[1:2], off offset:8
	s_waitcnt vmcnt(0)
	v_sub_co_u32 v1, s2, v1, s7
	v_subrev_co_ci_u32_e64 v2, s2, 0, v2, s2
.LBB83_4:
	s_or_b32 exec_lo, exec_lo, s11
	s_load_b32 s12, s[0:1], 0x38
	v_mov_b32_e32 v3, 0
	v_mov_b32_e32 v4, 0
	s_mov_b32 s3, exec_lo
	v_cmpx_gt_i32_e64 s4, v9
	s_cbranch_execz .LBB83_6
; %bb.5:
	s_load_b64 s[8:9], s[0:1], 0x48
	v_ashrrev_i32_e32 v10, 31, v9
	s_delay_alu instid0(VALU_DEP_1) | instskip(SKIP_1) | instid1(VALU_DEP_1)
	v_lshlrev_b64 v[3:4], 3, v[9:10]
	s_waitcnt lgkmcnt(0)
	v_add_co_u32 v3, s2, s8, v3
	s_delay_alu instid0(VALU_DEP_1) | instskip(SKIP_3) | instid1(VALU_DEP_1)
	v_add_co_ci_u32_e64 v4, s2, s9, v4, s2
	global_load_b64 v[3:4], v[3:4], off
	s_waitcnt vmcnt(0)
	v_sub_co_u32 v3, s2, v3, s12
	v_subrev_co_ci_u32_e64 v4, s2, 0, v4, s2
.LBB83_6:
	s_or_b32 exec_lo, exec_lo, s3
	s_cmp_lt_i32 s5, 1
	s_cbranch_scc1 .LBB83_21
; %bb.7:
	s_load_b64 s[14:15], s[0:1], 0x40
	v_mov_b32_e32 v5, 0
	v_mul_lo_u32 v11, v6, s6
	v_lshlrev_b32_e32 v6, 3, v6
	v_and_b32_e32 v21, 7, v0
	v_bfrev_b32_e32 v30, 0.5
	v_mov_b32_e32 v10, v5
	v_mov_b32_e32 v12, v5
	v_and_or_b32 v0, 0xc0, v0, v6
	v_lshlrev_b32_e32 v13, 3, v21
	v_mul_lo_u32 v9, v21, s6
	v_cmp_gt_u32_e64 s2, s6, v21
	v_lshlrev_b64 v[11:12], 3, v[11:12]
	v_or_b32_e32 v14, v0, v21
	v_mov_b32_e32 v34, 1
	s_delay_alu instid0(VALU_DEP_4)
	s_and_b32 s4, vcc_lo, s2
	s_load_b64 s[2:3], s[0:1], 0x50
	v_lshlrev_b64 v[9:10], 3, v[9:10]
	s_load_b64 s[8:9], s[0:1], 0x30
	s_cmp_eq_u32 s10, 0
	s_load_b64 s[10:11], s[0:1], 0x20
	s_mov_b32 s1, 0
	s_waitcnt lgkmcnt(0)
	v_add_co_u32 v9, vcc_lo, s14, v9
	v_add_co_ci_u32_e32 v10, vcc_lo, s15, v10, vcc_lo
	v_add_co_u32 v11, vcc_lo, s14, v11
	v_add_co_ci_u32_e32 v12, vcc_lo, s15, v12, vcc_lo
	s_delay_alu instid0(VALU_DEP_4) | instskip(NEXT) | instid1(VALU_DEP_4)
	v_add_co_u32 v9, vcc_lo, v9, v6
	v_add_co_ci_u32_e32 v10, vcc_lo, 0, v10, vcc_lo
	s_delay_alu instid0(VALU_DEP_4) | instskip(SKIP_4) | instid1(VALU_DEP_2)
	v_add_co_u32 v11, vcc_lo, v11, v13
	v_mbcnt_lo_u32_b32 v13, -1, 0
	v_add_co_ci_u32_e32 v12, vcc_lo, 0, v12, vcc_lo
	s_cselect_b32 vcc_lo, -1, 0
	s_abs_i32 s13, s6
	v_xor_b32_e32 v15, 4, v13
	v_cvt_f32_u32_e32 v6, s13
	v_xor_b32_e32 v16, 2, v13
	v_dual_cndmask_b32 v31, v10, v12 :: v_dual_lshlrev_b32 v22, 3, v14
	s_delay_alu instid0(VALU_DEP_4) | instskip(NEXT) | instid1(VALU_DEP_4)
	v_cmp_gt_i32_e64 s0, 32, v15
	v_rcp_iflag_f32_e32 v6, v6
	v_xor_b32_e32 v14, 1, v13
	v_xor_b32_e32 v17, 8, v13
	v_cndmask_b32_e32 v32, v9, v11, vcc_lo
	v_cndmask_b32_e64 v15, v13, v15, s0
	v_cmp_gt_i32_e64 s0, 32, v16
	v_mov_b32_e32 v9, 0
	v_lshl_or_b32 v26, v13, 2, 28
	s_delay_alu instid0(VALU_DEP_4) | instskip(NEXT) | instid1(VALU_DEP_4)
	v_dual_mov_b32 v10, 0 :: v_dual_lshlrev_b32 v23, 2, v15
	v_cndmask_b32_e64 v16, v13, v16, s0
	v_cmp_gt_i32_e64 s0, 32, v14
	v_mul_f32_e32 v6, 0x4f7ffffe, v6
	v_xor_b32_e32 v15, 16, v13
	s_mul_hi_u32 s14, s6, s6
	v_lshlrev_b32_e32 v24, 2, v16
	v_cndmask_b32_e64 v14, v13, v14, s0
	v_cvt_u32_f32_e32 v6, v6
	s_sub_i32 s0, 0, s13
	s_mul_i32 s15, s6, s6
	s_ashr_i32 s16, s6, 31
	v_lshlrev_b32_e32 v25, 2, v14
	v_or_b32_e32 v14, 32, v13
	v_mul_lo_u32 v16, s0, v6
	s_delay_alu instid0(VALU_DEP_2) | instskip(NEXT) | instid1(VALU_DEP_2)
	v_cmp_gt_i32_e64 s0, 32, v14
	v_mul_hi_u32 v16, v6, v16
	s_delay_alu instid0(VALU_DEP_2) | instskip(SKIP_1) | instid1(VALU_DEP_2)
	v_cndmask_b32_e64 v14, v13, v14, s0
	v_cmp_gt_i32_e64 s0, 32, v15
	v_lshlrev_b32_e32 v27, 2, v14
	s_delay_alu instid0(VALU_DEP_2) | instskip(SKIP_2) | instid1(VALU_DEP_3)
	v_cndmask_b32_e64 v15, v13, v15, s0
	v_cmp_gt_i32_e64 s0, 32, v17
	v_dual_mov_b32 v6, v5 :: v_dual_add_nc_u32 v33, v6, v16
	v_lshlrev_b32_e32 v28, 2, v15
	s_delay_alu instid0(VALU_DEP_3) | instskip(NEXT) | instid1(VALU_DEP_1)
	v_cndmask_b32_e64 v17, v13, v17, s0
	v_lshlrev_b32_e32 v29, 2, v17
	s_branch .LBB83_10
.LBB83_8:                               ;   in Loop: Header=BB83_10 Depth=1
	s_or_b32 exec_lo, exec_lo, s17
	v_mov_b32_e32 v10, 1
	v_mov_b32_e32 v11, 0
.LBB83_9:                               ;   in Loop: Header=BB83_10 Depth=1
	s_or_b32 exec_lo, exec_lo, s0
	ds_bpermute_b32 v9, v27, v35
	v_add_co_u32 v3, s0, v10, v3
	s_delay_alu instid0(VALU_DEP_1)
	v_add_co_ci_u32_e64 v4, s0, v11, v4, s0
	s_waitcnt lgkmcnt(0)
	s_waitcnt_vscnt null, 0x0
	buffer_gl0_inv
	buffer_gl0_inv
	v_min_i32_e32 v9, v9, v35
	ds_bpermute_b32 v12, v28, v9
	s_waitcnt lgkmcnt(0)
	v_min_i32_e32 v9, v12, v9
	ds_bpermute_b32 v12, v29, v9
	s_waitcnt lgkmcnt(0)
	;; [unrolled: 3-line block ×6, first 2 shown]
	v_cmp_le_i32_e32 vcc_lo, s5, v9
	v_ashrrev_i32_e32 v10, 31, v9
	s_or_b32 s1, vcc_lo, s1
	s_delay_alu instid0(SALU_CYCLE_1)
	s_and_not1_b32 exec_lo, exec_lo, s1
	s_cbranch_execz .LBB83_21
.LBB83_10:                              ; =>This Loop Header: Depth=1
                                        ;     Child Loop BB83_13 Depth 2
	v_add_co_u32 v7, vcc_lo, v7, v21
	v_dual_mov_b32 v35, s5 :: v_dual_mov_b32 v16, v2
	v_add_co_ci_u32_e32 v8, vcc_lo, 0, v8, vcc_lo
	v_mov_b32_e32 v15, v1
	s_mov_b32 s17, exec_lo
	ds_store_b8 v20, v5 offset:2048
	ds_store_b64 v22, v[5:6]
	s_waitcnt lgkmcnt(0)
	buffer_gl0_inv
	v_cmpx_lt_i64_e64 v[7:8], v[1:2]
	s_cbranch_execz .LBB83_18
; %bb.11:                               ;   in Loop: Header=BB83_10 Depth=1
	v_lshlrev_b64 v[11:12], 3, v[7:8]
	v_lshlrev_b64 v[13:14], 2, v[7:8]
	v_dual_mov_b32 v35, s5 :: v_dual_mov_b32 v16, v2
	v_mov_b32_e32 v15, v1
	s_mov_b32 s18, 0
	s_delay_alu instid0(VALU_DEP_4)
	v_add_co_u32 v11, vcc_lo, s10, v11
	v_add_co_ci_u32_e32 v12, vcc_lo, s11, v12, vcc_lo
	v_add_co_u32 v13, vcc_lo, s8, v13
	v_add_co_ci_u32_e32 v14, vcc_lo, s9, v14, vcc_lo
	s_branch .LBB83_13
.LBB83_12:                              ;   in Loop: Header=BB83_13 Depth=2
	s_or_b32 exec_lo, exec_lo, s0
	v_add_co_u32 v7, s0, v7, 8
	s_delay_alu instid0(VALU_DEP_1) | instskip(SKIP_2) | instid1(VALU_DEP_2)
	v_add_co_ci_u32_e64 v8, s0, 0, v8, s0
	s_xor_b32 s19, vcc_lo, -1
	v_add_co_u32 v11, vcc_lo, v11, 64
	v_cmp_ge_i64_e64 s0, v[7:8], v[1:2]
	v_add_co_ci_u32_e32 v12, vcc_lo, 0, v12, vcc_lo
	v_add_co_u32 v13, vcc_lo, v13, 32
	v_add_co_ci_u32_e32 v14, vcc_lo, 0, v14, vcc_lo
	s_delay_alu instid0(VALU_DEP_4) | instskip(NEXT) | instid1(SALU_CYCLE_1)
	s_or_b32 s0, s19, s0
	s_and_b32 s0, exec_lo, s0
	s_delay_alu instid0(SALU_CYCLE_1) | instskip(NEXT) | instid1(SALU_CYCLE_1)
	s_or_b32 s18, s0, s18
	s_and_not1_b32 exec_lo, exec_lo, s18
	s_cbranch_execz .LBB83_17
.LBB83_13:                              ;   Parent Loop BB83_10 Depth=1
                                        ; =>  This Inner Loop Header: Depth=2
	global_load_b32 v17, v[13:14], off
	s_waitcnt vmcnt(0)
	v_subrev_nc_u32_e32 v36, s7, v17
	s_delay_alu instid0(VALU_DEP_1) | instskip(NEXT) | instid1(VALU_DEP_1)
	v_sub_nc_u32_e32 v17, 0, v36
	v_max_i32_e32 v17, v36, v17
	s_delay_alu instid0(VALU_DEP_1) | instskip(NEXT) | instid1(VALU_DEP_1)
	v_mul_hi_u32 v18, v17, v33
	v_mul_lo_u32 v19, v18, s13
	s_delay_alu instid0(VALU_DEP_1) | instskip(SKIP_1) | instid1(VALU_DEP_2)
	v_sub_nc_u32_e32 v17, v17, v19
	v_add_nc_u32_e32 v19, 1, v18
	v_subrev_nc_u32_e32 v37, s13, v17
	v_cmp_le_u32_e32 vcc_lo, s13, v17
	s_delay_alu instid0(VALU_DEP_2) | instskip(SKIP_1) | instid1(VALU_DEP_2)
	v_dual_cndmask_b32 v18, v18, v19 :: v_dual_cndmask_b32 v17, v17, v37
	v_ashrrev_i32_e32 v19, 31, v36
	v_add_nc_u32_e32 v37, 1, v18
	s_delay_alu instid0(VALU_DEP_3) | instskip(NEXT) | instid1(VALU_DEP_3)
	v_cmp_le_u32_e32 vcc_lo, s13, v17
	v_xor_b32_e32 v19, s16, v19
	s_delay_alu instid0(VALU_DEP_3) | instskip(NEXT) | instid1(VALU_DEP_1)
	v_cndmask_b32_e32 v17, v18, v37, vcc_lo
	v_xor_b32_e32 v17, v17, v19
	s_delay_alu instid0(VALU_DEP_1) | instskip(NEXT) | instid1(VALU_DEP_1)
	v_sub_nc_u32_e32 v17, v17, v19
	v_ashrrev_i32_e32 v18, 31, v17
	s_delay_alu instid0(VALU_DEP_1) | instskip(SKIP_2) | instid1(VALU_DEP_2)
	v_cmp_eq_u64_e32 vcc_lo, v[9:10], v[17:18]
	v_cmp_ne_u64_e64 s0, v[9:10], v[17:18]
	v_dual_mov_b32 v19, v16 :: v_dual_mov_b32 v18, v15
	s_and_saveexec_b32 s19, s0
	s_delay_alu instid0(SALU_CYCLE_1)
	s_xor_b32 s0, exec_lo, s19
; %bb.14:                               ;   in Loop: Header=BB83_13 Depth=2
	v_min_i32_e32 v35, v17, v35
                                        ; implicit-def: $vgpr17
                                        ; implicit-def: $vgpr36
                                        ; implicit-def: $vgpr18_vgpr19
; %bb.15:                               ;   in Loop: Header=BB83_13 Depth=2
	s_or_saveexec_b32 s0, s0
	v_dual_mov_b32 v16, v8 :: v_dual_mov_b32 v15, v7
	s_xor_b32 exec_lo, exec_lo, s0
	s_cbranch_execz .LBB83_12
; %bb.16:                               ;   in Loop: Header=BB83_13 Depth=2
	global_load_b64 v[37:38], v[11:12], off
	v_mul_lo_u32 v15, v17, s6
	s_delay_alu instid0(VALU_DEP_1) | instskip(NEXT) | instid1(VALU_DEP_1)
	v_sub_nc_u32_e32 v15, v36, v15
	v_add_lshl_u32 v17, v15, v0, 3
	v_dual_mov_b32 v15, v18 :: v_dual_mov_b32 v16, v19
	ds_store_b8 v20, v34 offset:2048
	s_waitcnt vmcnt(0)
	ds_store_b64 v17, v[37:38]
	s_branch .LBB83_12
.LBB83_17:                              ;   in Loop: Header=BB83_10 Depth=1
	s_or_b32 exec_lo, exec_lo, s18
.LBB83_18:                              ;   in Loop: Header=BB83_10 Depth=1
	s_delay_alu instid0(SALU_CYCLE_1)
	s_or_b32 exec_lo, exec_lo, s17
	ds_bpermute_b32 v7, v23, v15
	ds_bpermute_b32 v8, v23, v16
	s_waitcnt lgkmcnt(0)
	buffer_gl0_inv
	ds_load_u8 v12, v20 offset:2048
	s_mov_b32 s0, exec_lo
	v_cmp_lt_i64_e32 vcc_lo, v[7:8], v[15:16]
	s_waitcnt lgkmcnt(0)
	v_and_b32_e32 v12, 1, v12
	v_dual_cndmask_b32 v8, v16, v8 :: v_dual_cndmask_b32 v7, v15, v7
	ds_bpermute_b32 v11, v24, v8
	ds_bpermute_b32 v10, v24, v7
	s_waitcnt lgkmcnt(0)
	v_cmp_lt_i64_e32 vcc_lo, v[10:11], v[7:8]
	v_dual_cndmask_b32 v8, v8, v11 :: v_dual_cndmask_b32 v7, v7, v10
	ds_bpermute_b32 v11, v25, v8
	ds_bpermute_b32 v10, v25, v7
	s_waitcnt lgkmcnt(0)
	v_cmp_lt_i64_e32 vcc_lo, v[10:11], v[7:8]
	v_dual_cndmask_b32 v8, v8, v11 :: v_dual_cndmask_b32 v7, v7, v10
	v_mov_b32_e32 v10, 0
	v_mov_b32_e32 v11, 0
	ds_bpermute_b32 v8, v26, v8
	ds_bpermute_b32 v7, v26, v7
	v_cmpx_eq_u32_e32 1, v12
	s_cbranch_execz .LBB83_9
; %bb.19:                               ;   in Loop: Header=BB83_10 Depth=1
	v_lshlrev_b64 v[10:11], 2, v[3:4]
	v_add_nc_u32_e32 v12, s12, v9
	s_delay_alu instid0(VALU_DEP_2) | instskip(NEXT) | instid1(VALU_DEP_3)
	v_add_co_u32 v9, vcc_lo, s2, v10
	v_add_co_ci_u32_e32 v10, vcc_lo, s3, v11, vcc_lo
	global_store_b32 v[9:10], v12, off
	s_and_saveexec_b32 s17, s4
	s_cbranch_execz .LBB83_8
; %bb.20:                               ;   in Loop: Header=BB83_10 Depth=1
	v_mul_lo_u32 v13, s14, v3
	v_mul_lo_u32 v14, s15, v4
	v_mad_u64_u32 v[9:10], null, s15, v3, 0
	ds_load_b64 v[11:12], v22
	v_add3_u32 v10, v10, v14, v13
	s_delay_alu instid0(VALU_DEP_1) | instskip(NEXT) | instid1(VALU_DEP_1)
	v_lshlrev_b64 v[9:10], 3, v[9:10]
	v_add_co_u32 v9, vcc_lo, v32, v9
	s_delay_alu instid0(VALU_DEP_2)
	v_add_co_ci_u32_e32 v10, vcc_lo, v31, v10, vcc_lo
	s_waitcnt lgkmcnt(0)
	global_store_b64 v[9:10], v[11:12], off
	s_branch .LBB83_8
.LBB83_21:
	s_endpgm
	.section	.rodata,"a",@progbits
	.p2align	6, 0x0
	.amdhsa_kernel _ZN9rocsparseL42csr2bsr_wavefront_per_row_multipass_kernelILj256ELj64ELj8E21rocsparse_complex_numIfEliEEv20rocsparse_direction_T4_S4_S4_S4_S4_21rocsparse_index_base_PKT2_PKT3_PKS4_S5_PS6_PS9_PS4_
		.amdhsa_group_segment_fixed_size 2052
		.amdhsa_private_segment_fixed_size 0
		.amdhsa_kernarg_size 88
		.amdhsa_user_sgpr_count 15
		.amdhsa_user_sgpr_dispatch_ptr 0
		.amdhsa_user_sgpr_queue_ptr 0
		.amdhsa_user_sgpr_kernarg_segment_ptr 1
		.amdhsa_user_sgpr_dispatch_id 0
		.amdhsa_user_sgpr_private_segment_size 0
		.amdhsa_wavefront_size32 1
		.amdhsa_uses_dynamic_stack 0
		.amdhsa_enable_private_segment 0
		.amdhsa_system_sgpr_workgroup_id_x 1
		.amdhsa_system_sgpr_workgroup_id_y 0
		.amdhsa_system_sgpr_workgroup_id_z 0
		.amdhsa_system_sgpr_workgroup_info 0
		.amdhsa_system_vgpr_workitem_id 0
		.amdhsa_next_free_vgpr 39
		.amdhsa_next_free_sgpr 20
		.amdhsa_reserve_vcc 1
		.amdhsa_float_round_mode_32 0
		.amdhsa_float_round_mode_16_64 0
		.amdhsa_float_denorm_mode_32 3
		.amdhsa_float_denorm_mode_16_64 3
		.amdhsa_dx10_clamp 1
		.amdhsa_ieee_mode 1
		.amdhsa_fp16_overflow 0
		.amdhsa_workgroup_processor_mode 1
		.amdhsa_memory_ordered 1
		.amdhsa_forward_progress 0
		.amdhsa_shared_vgpr_count 0
		.amdhsa_exception_fp_ieee_invalid_op 0
		.amdhsa_exception_fp_denorm_src 0
		.amdhsa_exception_fp_ieee_div_zero 0
		.amdhsa_exception_fp_ieee_overflow 0
		.amdhsa_exception_fp_ieee_underflow 0
		.amdhsa_exception_fp_ieee_inexact 0
		.amdhsa_exception_int_div_zero 0
	.end_amdhsa_kernel
	.section	.text._ZN9rocsparseL42csr2bsr_wavefront_per_row_multipass_kernelILj256ELj64ELj8E21rocsparse_complex_numIfEliEEv20rocsparse_direction_T4_S4_S4_S4_S4_21rocsparse_index_base_PKT2_PKT3_PKS4_S5_PS6_PS9_PS4_,"axG",@progbits,_ZN9rocsparseL42csr2bsr_wavefront_per_row_multipass_kernelILj256ELj64ELj8E21rocsparse_complex_numIfEliEEv20rocsparse_direction_T4_S4_S4_S4_S4_21rocsparse_index_base_PKT2_PKT3_PKS4_S5_PS6_PS9_PS4_,comdat
.Lfunc_end83:
	.size	_ZN9rocsparseL42csr2bsr_wavefront_per_row_multipass_kernelILj256ELj64ELj8E21rocsparse_complex_numIfEliEEv20rocsparse_direction_T4_S4_S4_S4_S4_21rocsparse_index_base_PKT2_PKT3_PKS4_S5_PS6_PS9_PS4_, .Lfunc_end83-_ZN9rocsparseL42csr2bsr_wavefront_per_row_multipass_kernelILj256ELj64ELj8E21rocsparse_complex_numIfEliEEv20rocsparse_direction_T4_S4_S4_S4_S4_21rocsparse_index_base_PKT2_PKT3_PKS4_S5_PS6_PS9_PS4_
                                        ; -- End function
	.section	.AMDGPU.csdata,"",@progbits
; Kernel info:
; codeLenInByte = 1800
; NumSgprs: 22
; NumVgprs: 39
; ScratchSize: 0
; MemoryBound: 0
; FloatMode: 240
; IeeeMode: 1
; LDSByteSize: 2052 bytes/workgroup (compile time only)
; SGPRBlocks: 2
; VGPRBlocks: 4
; NumSGPRsForWavesPerEU: 22
; NumVGPRsForWavesPerEU: 39
; Occupancy: 16
; WaveLimiterHint : 0
; COMPUTE_PGM_RSRC2:SCRATCH_EN: 0
; COMPUTE_PGM_RSRC2:USER_SGPR: 15
; COMPUTE_PGM_RSRC2:TRAP_HANDLER: 0
; COMPUTE_PGM_RSRC2:TGID_X_EN: 1
; COMPUTE_PGM_RSRC2:TGID_Y_EN: 0
; COMPUTE_PGM_RSRC2:TGID_Z_EN: 0
; COMPUTE_PGM_RSRC2:TIDIG_COMP_CNT: 0
	.section	.text._ZN9rocsparseL42csr2bsr_wavefront_per_row_multipass_kernelILj256ELj32ELj8E21rocsparse_complex_numIfEliEEv20rocsparse_direction_T4_S4_S4_S4_S4_21rocsparse_index_base_PKT2_PKT3_PKS4_S5_PS6_PS9_PS4_,"axG",@progbits,_ZN9rocsparseL42csr2bsr_wavefront_per_row_multipass_kernelILj256ELj32ELj8E21rocsparse_complex_numIfEliEEv20rocsparse_direction_T4_S4_S4_S4_S4_21rocsparse_index_base_PKT2_PKT3_PKS4_S5_PS6_PS9_PS4_,comdat
	.globl	_ZN9rocsparseL42csr2bsr_wavefront_per_row_multipass_kernelILj256ELj32ELj8E21rocsparse_complex_numIfEliEEv20rocsparse_direction_T4_S4_S4_S4_S4_21rocsparse_index_base_PKT2_PKT3_PKS4_S5_PS6_PS9_PS4_ ; -- Begin function _ZN9rocsparseL42csr2bsr_wavefront_per_row_multipass_kernelILj256ELj32ELj8E21rocsparse_complex_numIfEliEEv20rocsparse_direction_T4_S4_S4_S4_S4_21rocsparse_index_base_PKT2_PKT3_PKS4_S5_PS6_PS9_PS4_
	.p2align	8
	.type	_ZN9rocsparseL42csr2bsr_wavefront_per_row_multipass_kernelILj256ELj32ELj8E21rocsparse_complex_numIfEliEEv20rocsparse_direction_T4_S4_S4_S4_S4_21rocsparse_index_base_PKT2_PKT3_PKS4_S5_PS6_PS9_PS4_,@function
_ZN9rocsparseL42csr2bsr_wavefront_per_row_multipass_kernelILj256ELj32ELj8E21rocsparse_complex_numIfEliEEv20rocsparse_direction_T4_S4_S4_S4_S4_21rocsparse_index_base_PKT2_PKT3_PKS4_S5_PS6_PS9_PS4_: ; @_ZN9rocsparseL42csr2bsr_wavefront_per_row_multipass_kernelILj256ELj32ELj8E21rocsparse_complex_numIfEliEEv20rocsparse_direction_T4_S4_S4_S4_S4_21rocsparse_index_base_PKT2_PKT3_PKS4_S5_PS6_PS9_PS4_
; %bb.0:
	s_clause 0x1
	s_load_b128 s[4:7], s[0:1], 0xc
	s_load_b64 s[16:17], s[0:1], 0x0
	v_lshrrev_b32_e32 v26, 5, v0
	v_bfe_u32 v5, v0, 2, 3
	s_load_b64 s[8:9], s[0:1], 0x28
	v_mov_b32_e32 v1, 0
	v_mov_b32_e32 v2, 0
	v_lshl_or_b32 v6, s15, 3, v26
	s_delay_alu instid0(VALU_DEP_2) | instskip(SKIP_1) | instid1(VALU_DEP_2)
	v_dual_mov_b32 v12, v2 :: v_dual_mov_b32 v11, v1
	s_waitcnt lgkmcnt(0)
	v_mad_u64_u32 v[3:4], null, v6, s6, v[5:6]
	v_cmp_gt_i32_e64 s2, s6, v5
	s_delay_alu instid0(VALU_DEP_2) | instskip(NEXT) | instid1(VALU_DEP_2)
	v_cmp_gt_i32_e32 vcc_lo, s17, v3
	s_and_b32 s3, s2, vcc_lo
	s_delay_alu instid0(SALU_CYCLE_1)
	s_and_saveexec_b32 s10, s3
	s_cbranch_execz .LBB84_2
; %bb.1:
	v_ashrrev_i32_e32 v4, 31, v3
	s_delay_alu instid0(VALU_DEP_1) | instskip(NEXT) | instid1(VALU_DEP_1)
	v_lshlrev_b64 v[7:8], 3, v[3:4]
	v_add_co_u32 v7, vcc_lo, s8, v7
	s_delay_alu instid0(VALU_DEP_2)
	v_add_co_ci_u32_e32 v8, vcc_lo, s9, v8, vcc_lo
	global_load_b64 v[7:8], v[7:8], off
	s_waitcnt vmcnt(0)
	v_sub_co_u32 v11, vcc_lo, v7, s7
	v_subrev_co_ci_u32_e32 v12, vcc_lo, 0, v8, vcc_lo
.LBB84_2:
	s_or_b32 exec_lo, exec_lo, s10
	s_and_saveexec_b32 s10, s3
	s_cbranch_execz .LBB84_4
; %bb.3:
	v_ashrrev_i32_e32 v4, 31, v3
	s_delay_alu instid0(VALU_DEP_1) | instskip(NEXT) | instid1(VALU_DEP_1)
	v_lshlrev_b64 v[1:2], 3, v[3:4]
	v_add_co_u32 v1, vcc_lo, s8, v1
	s_delay_alu instid0(VALU_DEP_2)
	v_add_co_ci_u32_e32 v2, vcc_lo, s9, v2, vcc_lo
	global_load_b64 v[1:2], v[1:2], off offset:8
	s_waitcnt vmcnt(0)
	v_sub_co_u32 v1, vcc_lo, v1, s7
	v_subrev_co_ci_u32_e32 v2, vcc_lo, 0, v2, vcc_lo
.LBB84_4:
	s_or_b32 exec_lo, exec_lo, s10
	s_load_b32 s3, s[0:1], 0x38
	v_mov_b32_e32 v3, 0
	v_mov_b32_e32 v4, 0
	v_cmp_gt_i32_e32 vcc_lo, s4, v6
	s_and_saveexec_b32 s4, vcc_lo
	s_cbranch_execz .LBB84_6
; %bb.5:
	s_load_b64 s[8:9], s[0:1], 0x48
	v_ashrrev_i32_e32 v7, 31, v6
	s_delay_alu instid0(VALU_DEP_1) | instskip(SKIP_1) | instid1(VALU_DEP_1)
	v_lshlrev_b64 v[3:4], 3, v[6:7]
	s_waitcnt lgkmcnt(0)
	v_add_co_u32 v3, vcc_lo, s8, v3
	s_delay_alu instid0(VALU_DEP_2)
	v_add_co_ci_u32_e32 v4, vcc_lo, s9, v4, vcc_lo
	global_load_b64 v[3:4], v[3:4], off
	s_waitcnt vmcnt(0)
	v_sub_co_u32 v3, vcc_lo, v3, s3
	v_subrev_co_ci_u32_e32 v4, vcc_lo, 0, v4, vcc_lo
.LBB84_6:
	s_or_b32 exec_lo, exec_lo, s4
	s_cmp_lt_i32 s5, 1
	s_cbranch_scc1 .LBB84_23
; %bb.7:
	v_mbcnt_lo_u32_b32 v9, -1, 0
	s_clause 0x2
	s_load_b64 s[10:11], s[0:1], 0x50
	s_load_b64 s[18:19], s[0:1], 0x40
	;; [unrolled: 1-line block ×3, first 2 shown]
	s_cmp_eq_u32 s16, 0
	s_load_b64 s[8:9], s[0:1], 0x20
	s_mov_b32 s14, 0
	v_xor_b32_e32 v6, 2, v9
	v_xor_b32_e32 v8, 1, v9
	;; [unrolled: 1-line block ×3, first 2 shown]
	v_lshl_or_b32 v30, v9, 2, 12
	s_mov_b32 s15, s14
	v_cmp_gt_i32_e32 vcc_lo, 32, v6
	v_lshlrev_b32_e32 v7, 3, v5
	v_mul_lo_u32 v5, v5, s6
	s_mul_hi_u32 s16, s6, s6
	s_mul_i32 s17, s6, s6
	v_cndmask_b32_e32 v10, v9, v6, vcc_lo
	v_cmp_gt_i32_e32 vcc_lo, 32, v8
	v_lshl_or_b32 v27, v26, 6, v7
	v_mov_b32_e32 v38, 0x7c
	s_delay_alu instid0(VALU_DEP_4)
	v_lshlrev_b32_e32 v28, 2, v10
	v_cndmask_b32_e32 v8, v9, v8, vcc_lo
	s_cselect_b32 vcc_lo, -1, 0
	s_abs_i32 s4, s6
	s_waitcnt lgkmcnt(0)
	v_add_co_u32 v31, s0, s18, v7
	v_cvt_f32_u32_e32 v13, s4
	v_dual_mov_b32 v6, 0 :: v_dual_lshlrev_b32 v29, 2, v8
	v_add_co_ci_u32_e64 v32, null, s19, 0, s0
	s_delay_alu instid0(VALU_DEP_3) | instskip(SKIP_4) | instid1(VALU_DEP_3)
	v_rcp_iflag_f32_e32 v10, v13
	v_xor_b32_e32 v13, 16, v9
	v_and_b32_e32 v0, 3, v0
	v_lshlrev_b64 v[7:8], 3, v[5:6]
	s_sub_i32 s1, 0, s4
	v_cmp_gt_i32_e64 s0, 32, v13
	s_waitcnt_depctr 0xfff
	v_mul_f32_e32 v5, 0x4f7ffffe, v10
	v_cndmask_b32_e64 v10, v9, v13, s0
	v_cmp_gt_i32_e64 s0, 32, v14
	s_delay_alu instid0(VALU_DEP_3) | instskip(SKIP_1) | instid1(VALU_DEP_3)
	v_cvt_u32_f32_e32 v15, v5
	v_mul_lo_u32 v5, v0, s6
	v_cndmask_b32_e64 v13, v9, v14, s0
	v_xor_b32_e32 v14, 4, v9
	v_add_co_u32 v33, s0, s18, v7
	s_delay_alu instid0(VALU_DEP_1) | instskip(SKIP_1) | instid1(VALU_DEP_4)
	v_add_co_ci_u32_e64 v34, s0, s19, v8, s0
	v_mul_lo_u32 v7, s1, v15
	v_cmp_gt_i32_e64 s0, 32, v14
	v_lshlrev_b32_e32 v35, 2, v10
	v_or_b32_e32 v10, 4, v0
	v_lshlrev_b32_e32 v36, 2, v13
	v_lshl_add_u32 v13, s6, 2, v5
	v_cndmask_b32_e64 v8, v9, v14, s0
	v_or_b32_e32 v9, v27, v0
	v_mul_hi_u32 v7, v15, v7
	v_mov_b32_e32 v14, v6
	v_cmp_gt_u32_e64 s0, s6, v0
	v_cmp_gt_u32_e64 s1, s6, v10
	v_lshlrev_b32_e32 v39, 3, v9
	v_lshlrev_b32_e32 v37, 2, v8
	v_lshlrev_b64 v[9:10], 3, v[5:6]
	v_lshlrev_b64 v[13:14], 3, v[13:14]
	v_dual_mov_b32 v5, 1 :: v_dual_add_nc_u32 v40, v15, v7
	v_mov_b32_e32 v15, 0
	v_dual_mov_b32 v7, s14 :: v_dual_mov_b32 v16, 0
	v_mov_b32_e32 v8, s15
	s_and_b32 s15, s0, s2
	s_and_b32 s2, s2, s1
	s_ashr_i32 s18, s6, 31
	s_branch .LBB84_10
.LBB84_8:                               ;   in Loop: Header=BB84_10 Depth=1
	s_or_b32 exec_lo, exec_lo, s19
	v_mov_b32_e32 v16, 1
	v_mov_b32_e32 v17, 0
.LBB84_9:                               ;   in Loop: Header=BB84_10 Depth=1
	s_or_b32 exec_lo, exec_lo, s1
	ds_bpermute_b32 v15, v35, v41
	v_add_co_u32 v3, s1, v16, v3
	s_delay_alu instid0(VALU_DEP_1)
	v_add_co_ci_u32_e64 v4, s1, v17, v4, s1
	s_waitcnt lgkmcnt(0)
	s_waitcnt_vscnt null, 0x0
	buffer_gl0_inv
	buffer_gl0_inv
	v_min_i32_e32 v15, v15, v41
	ds_bpermute_b32 v18, v36, v15
	s_waitcnt lgkmcnt(0)
	v_min_i32_e32 v15, v18, v15
	ds_bpermute_b32 v18, v37, v15
	s_waitcnt lgkmcnt(0)
	;; [unrolled: 3-line block ×5, first 2 shown]
	v_cmp_le_i32_e64 s0, s5, v15
	v_ashrrev_i32_e32 v16, 31, v15
	s_delay_alu instid0(VALU_DEP_2) | instskip(NEXT) | instid1(SALU_CYCLE_1)
	s_or_b32 s14, s0, s14
	s_and_not1_b32 exec_lo, exec_lo, s14
	s_cbranch_execz .LBB84_23
.LBB84_10:                              ; =>This Loop Header: Depth=1
                                        ;     Child Loop BB84_13 Depth 2
	v_add_co_u32 v11, s0, v11, v0
	v_dual_mov_b32 v41, s5 :: v_dual_mov_b32 v22, v2
	v_add_co_ci_u32_e64 v12, s0, 0, v12, s0
	v_mov_b32_e32 v21, v1
	s_mov_b32 s19, exec_lo
	ds_store_b8 v26, v6 offset:4096
	ds_store_2addr_b64 v39, v[7:8], v[7:8] offset1:4
	s_waitcnt lgkmcnt(0)
	buffer_gl0_inv
	v_cmpx_lt_i64_e64 v[11:12], v[1:2]
	s_cbranch_execz .LBB84_18
; %bb.11:                               ;   in Loop: Header=BB84_10 Depth=1
	v_lshlrev_b64 v[17:18], 3, v[11:12]
	v_lshlrev_b64 v[19:20], 2, v[11:12]
	v_dual_mov_b32 v41, s5 :: v_dual_mov_b32 v22, v2
	v_mov_b32_e32 v21, v1
	s_mov_b32 s20, 0
	s_delay_alu instid0(VALU_DEP_4) | instskip(NEXT) | instid1(VALU_DEP_1)
	v_add_co_u32 v17, s0, s8, v17
	v_add_co_ci_u32_e64 v18, s0, s9, v18, s0
	v_add_co_u32 v19, s0, s12, v19
	s_delay_alu instid0(VALU_DEP_1)
	v_add_co_ci_u32_e64 v20, s0, s13, v20, s0
	s_branch .LBB84_13
.LBB84_12:                              ;   in Loop: Header=BB84_13 Depth=2
	s_or_b32 exec_lo, exec_lo, s1
	v_add_co_u32 v11, s1, v11, 4
	s_delay_alu instid0(VALU_DEP_1) | instskip(SKIP_2) | instid1(VALU_DEP_2)
	v_add_co_ci_u32_e64 v12, s1, 0, v12, s1
	s_xor_b32 s21, s0, -1
	v_add_co_u32 v17, s0, v17, 32
	v_cmp_ge_i64_e64 s1, v[11:12], v[1:2]
	v_add_co_ci_u32_e64 v18, s0, 0, v18, s0
	v_add_co_u32 v19, s0, v19, 16
	s_delay_alu instid0(VALU_DEP_1) | instskip(NEXT) | instid1(VALU_DEP_4)
	v_add_co_ci_u32_e64 v20, s0, 0, v20, s0
	s_or_b32 s1, s21, s1
	s_delay_alu instid0(SALU_CYCLE_1) | instskip(NEXT) | instid1(SALU_CYCLE_1)
	s_and_b32 s0, exec_lo, s1
	s_or_b32 s20, s0, s20
	s_delay_alu instid0(SALU_CYCLE_1)
	s_and_not1_b32 exec_lo, exec_lo, s20
	s_cbranch_execz .LBB84_17
.LBB84_13:                              ;   Parent Loop BB84_10 Depth=1
                                        ; =>  This Inner Loop Header: Depth=2
	global_load_b32 v23, v[19:20], off
	s_waitcnt vmcnt(0)
	v_subrev_nc_u32_e32 v42, s7, v23
	s_delay_alu instid0(VALU_DEP_1) | instskip(NEXT) | instid1(VALU_DEP_1)
	v_sub_nc_u32_e32 v23, 0, v42
	v_max_i32_e32 v23, v42, v23
	s_delay_alu instid0(VALU_DEP_1) | instskip(NEXT) | instid1(VALU_DEP_1)
	v_mul_hi_u32 v24, v23, v40
	v_mul_lo_u32 v25, v24, s4
	s_delay_alu instid0(VALU_DEP_1) | instskip(SKIP_1) | instid1(VALU_DEP_2)
	v_sub_nc_u32_e32 v23, v23, v25
	v_add_nc_u32_e32 v25, 1, v24
	v_subrev_nc_u32_e32 v43, s4, v23
	v_cmp_le_u32_e64 s0, s4, v23
	s_delay_alu instid0(VALU_DEP_1) | instskip(NEXT) | instid1(VALU_DEP_3)
	v_cndmask_b32_e64 v24, v24, v25, s0
	v_cndmask_b32_e64 v23, v23, v43, s0
	v_ashrrev_i32_e32 v25, 31, v42
	s_delay_alu instid0(VALU_DEP_3) | instskip(NEXT) | instid1(VALU_DEP_3)
	v_add_nc_u32_e32 v43, 1, v24
	v_cmp_le_u32_e64 s0, s4, v23
	s_delay_alu instid0(VALU_DEP_3) | instskip(NEXT) | instid1(VALU_DEP_2)
	v_xor_b32_e32 v25, s18, v25
	v_cndmask_b32_e64 v23, v24, v43, s0
	s_delay_alu instid0(VALU_DEP_1) | instskip(NEXT) | instid1(VALU_DEP_1)
	v_xor_b32_e32 v23, v23, v25
	v_sub_nc_u32_e32 v23, v23, v25
	s_delay_alu instid0(VALU_DEP_1) | instskip(NEXT) | instid1(VALU_DEP_1)
	v_ashrrev_i32_e32 v24, 31, v23
	v_cmp_eq_u64_e64 s0, v[15:16], v[23:24]
	v_cmp_ne_u64_e64 s1, v[15:16], v[23:24]
	v_dual_mov_b32 v25, v22 :: v_dual_mov_b32 v24, v21
	s_delay_alu instid0(VALU_DEP_2) | instskip(NEXT) | instid1(SALU_CYCLE_1)
	s_and_saveexec_b32 s21, s1
	s_xor_b32 s1, exec_lo, s21
; %bb.14:                               ;   in Loop: Header=BB84_13 Depth=2
	v_min_i32_e32 v41, v23, v41
                                        ; implicit-def: $vgpr23
                                        ; implicit-def: $vgpr42
                                        ; implicit-def: $vgpr24_vgpr25
; %bb.15:                               ;   in Loop: Header=BB84_13 Depth=2
	s_or_saveexec_b32 s1, s1
	v_dual_mov_b32 v22, v12 :: v_dual_mov_b32 v21, v11
	s_xor_b32 exec_lo, exec_lo, s1
	s_cbranch_execz .LBB84_12
; %bb.16:                               ;   in Loop: Header=BB84_13 Depth=2
	global_load_b64 v[43:44], v[17:18], off
	v_mul_lo_u32 v21, v23, s6
	s_delay_alu instid0(VALU_DEP_1) | instskip(NEXT) | instid1(VALU_DEP_1)
	v_sub_nc_u32_e32 v21, v42, v21
	v_add_lshl_u32 v23, v27, v21, 3
	v_dual_mov_b32 v21, v24 :: v_dual_mov_b32 v22, v25
	ds_store_b8 v26, v5 offset:4096
	s_waitcnt vmcnt(0)
	ds_store_b64 v23, v[43:44]
	s_branch .LBB84_12
.LBB84_17:                              ;   in Loop: Header=BB84_10 Depth=1
	s_or_b32 exec_lo, exec_lo, s20
.LBB84_18:                              ;   in Loop: Header=BB84_10 Depth=1
	s_delay_alu instid0(SALU_CYCLE_1)
	s_or_b32 exec_lo, exec_lo, s19
	ds_bpermute_b32 v11, v28, v21
	ds_bpermute_b32 v12, v28, v22
	s_waitcnt lgkmcnt(0)
	buffer_gl0_inv
	ds_load_u8 v18, v26 offset:4096
	s_mov_b32 s1, exec_lo
	v_cmp_lt_i64_e64 s0, v[11:12], v[21:22]
	s_waitcnt lgkmcnt(0)
	v_and_b32_e32 v18, 1, v18
	s_delay_alu instid0(VALU_DEP_2)
	v_cndmask_b32_e64 v12, v22, v12, s0
	v_cndmask_b32_e64 v11, v21, v11, s0
	ds_bpermute_b32 v17, v29, v12
	ds_bpermute_b32 v16, v29, v11
	s_waitcnt lgkmcnt(0)
	v_cmp_lt_i64_e64 s0, v[16:17], v[11:12]
	s_delay_alu instid0(VALU_DEP_1)
	v_cndmask_b32_e64 v12, v12, v17, s0
	v_cndmask_b32_e64 v11, v11, v16, s0
	v_mov_b32_e32 v16, 0
	v_mov_b32_e32 v17, 0
	ds_bpermute_b32 v12, v30, v12
	ds_bpermute_b32 v11, v30, v11
	v_cmpx_eq_u32_e32 1, v18
	s_cbranch_execz .LBB84_9
; %bb.19:                               ;   in Loop: Header=BB84_10 Depth=1
	v_mul_lo_u32 v18, s16, v3
	v_mul_lo_u32 v19, s17, v4
	v_mad_u64_u32 v[16:17], null, s17, v3, 0
	v_add_nc_u32_e32 v24, s3, v15
	s_delay_alu instid0(VALU_DEP_2) | instskip(SKIP_1) | instid1(VALU_DEP_2)
	v_add3_u32 v17, v17, v19, v18
	v_lshlrev_b64 v[18:19], 2, v[3:4]
	v_lshlrev_b64 v[20:21], 3, v[16:17]
	s_delay_alu instid0(VALU_DEP_2) | instskip(NEXT) | instid1(VALU_DEP_1)
	v_add_co_u32 v22, s0, s10, v18
	v_add_co_ci_u32_e64 v23, s0, s11, v19, s0
	s_delay_alu instid0(VALU_DEP_3) | instskip(NEXT) | instid1(VALU_DEP_1)
	v_add_co_u32 v15, s0, v31, v20
	v_add_co_ci_u32_e64 v16, s0, v32, v21, s0
	v_add_co_u32 v17, s0, v33, v20
	s_delay_alu instid0(VALU_DEP_1)
	v_add_co_ci_u32_e64 v18, s0, v34, v21, s0
	v_lshlrev_b32_e32 v19, 3, v0
	global_store_b32 v[22:23], v24, off
	s_and_saveexec_b32 s19, s15
	s_cbranch_execz .LBB84_21
; %bb.20:                               ;   in Loop: Header=BB84_10 Depth=1
	ds_load_b64 v[20:21], v39
	v_add_co_u32 v22, s0, v15, v9
	s_delay_alu instid0(VALU_DEP_1) | instskip(SKIP_1) | instid1(VALU_DEP_1)
	v_add_co_ci_u32_e64 v23, s0, v16, v10, s0
	v_add_co_u32 v24, s0, v17, v19
	v_add_co_ci_u32_e64 v25, s0, 0, v18, s0
	s_delay_alu instid0(VALU_DEP_1)
	v_dual_cndmask_b32 v22, v22, v24 :: v_dual_cndmask_b32 v23, v23, v25
	s_waitcnt lgkmcnt(0)
	global_store_b64 v[22:23], v[20:21], off
.LBB84_21:                              ;   in Loop: Header=BB84_10 Depth=1
	s_or_b32 exec_lo, exec_lo, s19
	s_and_saveexec_b32 s19, s2
	s_cbranch_execz .LBB84_8
; %bb.22:                               ;   in Loop: Header=BB84_10 Depth=1
	v_add_co_u32 v19, s0, v17, v19
	s_delay_alu instid0(VALU_DEP_1) | instskip(SKIP_2) | instid1(VALU_DEP_1)
	v_add_co_ci_u32_e64 v20, s0, 0, v18, s0
	ds_load_b64 v[17:18], v39 offset:32
	v_add_co_u32 v19, s0, v19, 32
	v_add_co_ci_u32_e64 v20, s0, 0, v20, s0
	v_add_co_u32 v15, s0, v15, v13
	s_delay_alu instid0(VALU_DEP_1) | instskip(NEXT) | instid1(VALU_DEP_1)
	v_add_co_ci_u32_e64 v16, s0, v16, v14, s0
	v_dual_cndmask_b32 v15, v15, v19 :: v_dual_cndmask_b32 v16, v16, v20
	s_waitcnt lgkmcnt(0)
	global_store_b64 v[15:16], v[17:18], off
	s_branch .LBB84_8
.LBB84_23:
	s_endpgm
	.section	.rodata,"a",@progbits
	.p2align	6, 0x0
	.amdhsa_kernel _ZN9rocsparseL42csr2bsr_wavefront_per_row_multipass_kernelILj256ELj32ELj8E21rocsparse_complex_numIfEliEEv20rocsparse_direction_T4_S4_S4_S4_S4_21rocsparse_index_base_PKT2_PKT3_PKS4_S5_PS6_PS9_PS4_
		.amdhsa_group_segment_fixed_size 4104
		.amdhsa_private_segment_fixed_size 0
		.amdhsa_kernarg_size 88
		.amdhsa_user_sgpr_count 15
		.amdhsa_user_sgpr_dispatch_ptr 0
		.amdhsa_user_sgpr_queue_ptr 0
		.amdhsa_user_sgpr_kernarg_segment_ptr 1
		.amdhsa_user_sgpr_dispatch_id 0
		.amdhsa_user_sgpr_private_segment_size 0
		.amdhsa_wavefront_size32 1
		.amdhsa_uses_dynamic_stack 0
		.amdhsa_enable_private_segment 0
		.amdhsa_system_sgpr_workgroup_id_x 1
		.amdhsa_system_sgpr_workgroup_id_y 0
		.amdhsa_system_sgpr_workgroup_id_z 0
		.amdhsa_system_sgpr_workgroup_info 0
		.amdhsa_system_vgpr_workitem_id 0
		.amdhsa_next_free_vgpr 45
		.amdhsa_next_free_sgpr 22
		.amdhsa_reserve_vcc 1
		.amdhsa_float_round_mode_32 0
		.amdhsa_float_round_mode_16_64 0
		.amdhsa_float_denorm_mode_32 3
		.amdhsa_float_denorm_mode_16_64 3
		.amdhsa_dx10_clamp 1
		.amdhsa_ieee_mode 1
		.amdhsa_fp16_overflow 0
		.amdhsa_workgroup_processor_mode 1
		.amdhsa_memory_ordered 1
		.amdhsa_forward_progress 0
		.amdhsa_shared_vgpr_count 0
		.amdhsa_exception_fp_ieee_invalid_op 0
		.amdhsa_exception_fp_denorm_src 0
		.amdhsa_exception_fp_ieee_div_zero 0
		.amdhsa_exception_fp_ieee_overflow 0
		.amdhsa_exception_fp_ieee_underflow 0
		.amdhsa_exception_fp_ieee_inexact 0
		.amdhsa_exception_int_div_zero 0
	.end_amdhsa_kernel
	.section	.text._ZN9rocsparseL42csr2bsr_wavefront_per_row_multipass_kernelILj256ELj32ELj8E21rocsparse_complex_numIfEliEEv20rocsparse_direction_T4_S4_S4_S4_S4_21rocsparse_index_base_PKT2_PKT3_PKS4_S5_PS6_PS9_PS4_,"axG",@progbits,_ZN9rocsparseL42csr2bsr_wavefront_per_row_multipass_kernelILj256ELj32ELj8E21rocsparse_complex_numIfEliEEv20rocsparse_direction_T4_S4_S4_S4_S4_21rocsparse_index_base_PKT2_PKT3_PKS4_S5_PS6_PS9_PS4_,comdat
.Lfunc_end84:
	.size	_ZN9rocsparseL42csr2bsr_wavefront_per_row_multipass_kernelILj256ELj32ELj8E21rocsparse_complex_numIfEliEEv20rocsparse_direction_T4_S4_S4_S4_S4_21rocsparse_index_base_PKT2_PKT3_PKS4_S5_PS6_PS9_PS4_, .Lfunc_end84-_ZN9rocsparseL42csr2bsr_wavefront_per_row_multipass_kernelILj256ELj32ELj8E21rocsparse_complex_numIfEliEEv20rocsparse_direction_T4_S4_S4_S4_S4_21rocsparse_index_base_PKT2_PKT3_PKS4_S5_PS6_PS9_PS4_
                                        ; -- End function
	.section	.AMDGPU.csdata,"",@progbits
; Kernel info:
; codeLenInByte = 1948
; NumSgprs: 24
; NumVgprs: 45
; ScratchSize: 0
; MemoryBound: 0
; FloatMode: 240
; IeeeMode: 1
; LDSByteSize: 4104 bytes/workgroup (compile time only)
; SGPRBlocks: 2
; VGPRBlocks: 5
; NumSGPRsForWavesPerEU: 24
; NumVGPRsForWavesPerEU: 45
; Occupancy: 16
; WaveLimiterHint : 0
; COMPUTE_PGM_RSRC2:SCRATCH_EN: 0
; COMPUTE_PGM_RSRC2:USER_SGPR: 15
; COMPUTE_PGM_RSRC2:TRAP_HANDLER: 0
; COMPUTE_PGM_RSRC2:TGID_X_EN: 1
; COMPUTE_PGM_RSRC2:TGID_Y_EN: 0
; COMPUTE_PGM_RSRC2:TGID_Z_EN: 0
; COMPUTE_PGM_RSRC2:TIDIG_COMP_CNT: 0
	.section	.text._ZN9rocsparseL42csr2bsr_wavefront_per_row_multipass_kernelILj256ELj64ELj16E21rocsparse_complex_numIfEliEEv20rocsparse_direction_T4_S4_S4_S4_S4_21rocsparse_index_base_PKT2_PKT3_PKS4_S5_PS6_PS9_PS4_,"axG",@progbits,_ZN9rocsparseL42csr2bsr_wavefront_per_row_multipass_kernelILj256ELj64ELj16E21rocsparse_complex_numIfEliEEv20rocsparse_direction_T4_S4_S4_S4_S4_21rocsparse_index_base_PKT2_PKT3_PKS4_S5_PS6_PS9_PS4_,comdat
	.globl	_ZN9rocsparseL42csr2bsr_wavefront_per_row_multipass_kernelILj256ELj64ELj16E21rocsparse_complex_numIfEliEEv20rocsparse_direction_T4_S4_S4_S4_S4_21rocsparse_index_base_PKT2_PKT3_PKS4_S5_PS6_PS9_PS4_ ; -- Begin function _ZN9rocsparseL42csr2bsr_wavefront_per_row_multipass_kernelILj256ELj64ELj16E21rocsparse_complex_numIfEliEEv20rocsparse_direction_T4_S4_S4_S4_S4_21rocsparse_index_base_PKT2_PKT3_PKS4_S5_PS6_PS9_PS4_
	.p2align	8
	.type	_ZN9rocsparseL42csr2bsr_wavefront_per_row_multipass_kernelILj256ELj64ELj16E21rocsparse_complex_numIfEliEEv20rocsparse_direction_T4_S4_S4_S4_S4_21rocsparse_index_base_PKT2_PKT3_PKS4_S5_PS6_PS9_PS4_,@function
_ZN9rocsparseL42csr2bsr_wavefront_per_row_multipass_kernelILj256ELj64ELj16E21rocsparse_complex_numIfEliEEv20rocsparse_direction_T4_S4_S4_S4_S4_21rocsparse_index_base_PKT2_PKT3_PKS4_S5_PS6_PS9_PS4_: ; @_ZN9rocsparseL42csr2bsr_wavefront_per_row_multipass_kernelILj256ELj64ELj16E21rocsparse_complex_numIfEliEEv20rocsparse_direction_T4_S4_S4_S4_S4_21rocsparse_index_base_PKT2_PKT3_PKS4_S5_PS6_PS9_PS4_
; %bb.0:
	s_clause 0x1
	s_load_b128 s[4:7], s[0:1], 0xc
	s_load_b64 s[16:17], s[0:1], 0x0
	v_lshrrev_b32_e32 v30, 6, v0
	v_bfe_u32 v9, v0, 2, 4
	s_load_b64 s[8:9], s[0:1], 0x28
	v_mov_b32_e32 v1, 0
	v_mov_b32_e32 v2, 0
	v_lshl_or_b32 v5, s15, 2, v30
	s_delay_alu instid0(VALU_DEP_2) | instskip(SKIP_1) | instid1(VALU_DEP_2)
	v_dual_mov_b32 v8, v2 :: v_dual_mov_b32 v7, v1
	s_waitcnt lgkmcnt(0)
	v_mad_u64_u32 v[3:4], null, v5, s6, v[9:10]
	v_cmp_gt_i32_e64 s2, s6, v9
	s_delay_alu instid0(VALU_DEP_2) | instskip(NEXT) | instid1(VALU_DEP_2)
	v_cmp_gt_i32_e32 vcc_lo, s17, v3
	s_and_b32 s3, s2, vcc_lo
	s_delay_alu instid0(SALU_CYCLE_1)
	s_and_saveexec_b32 s10, s3
	s_cbranch_execz .LBB85_2
; %bb.1:
	v_ashrrev_i32_e32 v4, 31, v3
	s_delay_alu instid0(VALU_DEP_1) | instskip(NEXT) | instid1(VALU_DEP_1)
	v_lshlrev_b64 v[6:7], 3, v[3:4]
	v_add_co_u32 v6, vcc_lo, s8, v6
	s_delay_alu instid0(VALU_DEP_2)
	v_add_co_ci_u32_e32 v7, vcc_lo, s9, v7, vcc_lo
	global_load_b64 v[7:8], v[6:7], off
	s_waitcnt vmcnt(0)
	v_sub_co_u32 v7, vcc_lo, v7, s7
	v_subrev_co_ci_u32_e32 v8, vcc_lo, 0, v8, vcc_lo
.LBB85_2:
	s_or_b32 exec_lo, exec_lo, s10
	s_and_saveexec_b32 s10, s3
	s_cbranch_execz .LBB85_4
; %bb.3:
	v_ashrrev_i32_e32 v4, 31, v3
	s_delay_alu instid0(VALU_DEP_1) | instskip(NEXT) | instid1(VALU_DEP_1)
	v_lshlrev_b64 v[1:2], 3, v[3:4]
	v_add_co_u32 v1, vcc_lo, s8, v1
	s_delay_alu instid0(VALU_DEP_2)
	v_add_co_ci_u32_e32 v2, vcc_lo, s9, v2, vcc_lo
	global_load_b64 v[1:2], v[1:2], off offset:8
	s_waitcnt vmcnt(0)
	v_sub_co_u32 v1, vcc_lo, v1, s7
	v_subrev_co_ci_u32_e32 v2, vcc_lo, 0, v2, vcc_lo
.LBB85_4:
	s_or_b32 exec_lo, exec_lo, s10
	s_load_b32 s17, s[0:1], 0x38
	v_mov_b32_e32 v3, 0
	v_mov_b32_e32 v4, 0
	s_mov_b32 s3, exec_lo
	v_cmpx_gt_i32_e64 s4, v5
	s_cbranch_execz .LBB85_6
; %bb.5:
	s_load_b64 s[8:9], s[0:1], 0x48
	v_ashrrev_i32_e32 v6, 31, v5
	s_delay_alu instid0(VALU_DEP_1) | instskip(SKIP_1) | instid1(VALU_DEP_1)
	v_lshlrev_b64 v[3:4], 3, v[5:6]
	s_waitcnt lgkmcnt(0)
	v_add_co_u32 v3, vcc_lo, s8, v3
	s_delay_alu instid0(VALU_DEP_2)
	v_add_co_ci_u32_e32 v4, vcc_lo, s9, v4, vcc_lo
	global_load_b64 v[3:4], v[3:4], off
	s_waitcnt vmcnt(0)
	v_sub_co_u32 v3, vcc_lo, v3, s17
	v_subrev_co_ci_u32_e32 v4, vcc_lo, 0, v4, vcc_lo
.LBB85_6:
	s_or_b32 exec_lo, exec_lo, s3
	s_cmp_lt_i32 s5, 1
	s_cbranch_scc1 .LBB85_27
; %bb.7:
	v_mbcnt_lo_u32_b32 v11, -1, 0
	v_lshlrev_b32_e32 v5, 8, v30
	s_clause 0x2
	s_load_b64 s[10:11], s[0:1], 0x50
	s_load_b64 s[20:21], s[0:1], 0x40
	;; [unrolled: 1-line block ×3, first 2 shown]
	v_dual_mov_b32 v19, 0 :: v_dual_lshlrev_b32 v12, 3, v9
	v_xor_b32_e32 v6, 2, v11
	v_xor_b32_e32 v10, 1, v11
	v_lshl_or_b32 v31, v9, 4, v5
	s_load_b64 s[8:9], s[0:1], 0x20
	v_xor_b32_e32 v13, 4, v11
	v_cmp_gt_i32_e32 vcc_lo, 32, v6
	v_and_b32_e32 v0, 3, v0
	s_cmp_eq_u32 s16, 0
	s_mov_b32 s14, 0
	v_lshl_or_b32 v34, v11, 2, 12
	v_cndmask_b32_e32 v5, v11, v6, vcc_lo
	v_cmp_gt_i32_e32 vcc_lo, 32, v10
	v_mov_b32_e32 v6, 0
	v_bfrev_b32_e32 v43, 0.5
	s_mul_hi_u32 s16, s6, s6
	v_lshlrev_b32_e32 v32, 2, v5
	v_mul_lo_u32 v5, v9, s6
	v_cndmask_b32_e32 v10, v11, v10, vcc_lo
	s_waitcnt lgkmcnt(0)
	v_add_co_u32 v35, s0, s20, v12
	s_delay_alu instid0(VALU_DEP_1) | instskip(NEXT) | instid1(VALU_DEP_3)
	v_add_co_ci_u32_e64 v36, null, s21, 0, s0
	v_dual_mov_b32 v14, v6 :: v_dual_lshlrev_b32 v33, 2, v10
	v_lshlrev_b64 v[9:10], 3, v[5:6]
	v_or_b32_e32 v5, 32, v11
	v_xor_b32_e32 v12, 8, v11
	s_cselect_b32 vcc_lo, -1, 0
	s_abs_i32 s19, s6
	s_lshl_b32 s15, s6, 2
	v_add_co_u32 v37, s0, s20, v9
	s_delay_alu instid0(VALU_DEP_1)
	v_add_co_ci_u32_e64 v38, s0, s21, v10, s0
	v_xor_b32_e32 v9, 16, v11
	v_cmp_gt_i32_e64 s0, 32, v5
	v_cvt_f32_u32_e32 v10, s19
	s_mul_i32 s18, s6, s6
	v_mov_b32_e32 v16, v6
	v_mov_b32_e32 v18, v6
	v_cndmask_b32_e64 v5, v11, v5, s0
	v_cmp_gt_i32_e64 s0, 32, v9
	v_rcp_iflag_f32_e32 v10, v10
	s_delay_alu instid0(VALU_DEP_2) | instskip(NEXT) | instid1(VALU_DEP_2)
	v_dual_mov_b32 v20, 0 :: v_dual_lshlrev_b32 v39, 2, v5
	v_cndmask_b32_e64 v9, v11, v9, s0
	v_cmp_gt_i32_e64 s0, 32, v12
	s_delay_alu instid0(VALU_DEP_1) | instskip(SKIP_1) | instid1(VALU_DEP_2)
	v_cndmask_b32_e64 v12, v11, v12, s0
	v_cmp_gt_i32_e64 s0, 32, v13
	v_lshlrev_b32_e32 v41, 2, v12
	s_delay_alu instid0(VALU_DEP_2) | instskip(SKIP_2) | instid1(VALU_DEP_2)
	v_cndmask_b32_e64 v5, v11, v13, s0
	s_sub_i32 s0, 0, s19
	v_or_b32_e32 v12, 12, v0
	v_lshlrev_b32_e32 v42, 2, v5
	v_mul_lo_u32 v5, v0, s6
	s_delay_alu instid0(VALU_DEP_3) | instskip(NEXT) | instid1(VALU_DEP_2)
	v_cmp_gt_u32_e64 s4, s6, v12
	v_add_nc_u32_e32 v13, s15, v5
	s_delay_alu instid0(VALU_DEP_1) | instskip(SKIP_1) | instid1(VALU_DEP_2)
	v_add_nc_u32_e32 v15, s15, v13
	v_lshlrev_b64 v[13:14], 3, v[13:14]
	v_add_nc_u32_e32 v17, s15, v15
	s_mov_b32 s15, s14
	v_dual_mul_f32 v9, 0x4f7ffffe, v10 :: v_dual_lshlrev_b32 v40, 2, v9
	v_or_b32_e32 v10, v31, v0
	v_lshlrev_b64 v[15:16], 3, v[15:16]
	s_delay_alu instid0(VALU_DEP_3) | instskip(NEXT) | instid1(VALU_DEP_3)
	v_cvt_u32_f32_e32 v9, v9
	v_lshlrev_b32_e32 v44, 3, v10
	v_or_b32_e32 v10, 4, v0
	s_delay_alu instid0(VALU_DEP_3) | instskip(SKIP_1) | instid1(VALU_DEP_3)
	v_mul_lo_u32 v11, s0, v9
	v_cmp_gt_u32_e64 s0, s6, v0
	v_cmp_gt_u32_e64 s1, s6, v10
	v_or_b32_e32 v10, 8, v0
	s_delay_alu instid0(VALU_DEP_3) | instskip(NEXT) | instid1(VALU_DEP_2)
	s_and_b32 s20, s0, s2
	s_and_b32 s21, s2, s1
	s_delay_alu instid0(VALU_DEP_4) | instskip(NEXT) | instid1(VALU_DEP_2)
	v_mul_hi_u32 v11, v9, v11
	v_cmp_gt_u32_e64 s3, s6, v10
	s_delay_alu instid0(VALU_DEP_1) | instskip(SKIP_1) | instid1(VALU_DEP_2)
	s_and_b32 s3, s2, s3
	s_and_b32 s2, s2, s4
	v_add_nc_u32_e32 v45, v9, v11
	v_dual_mov_b32 v9, s14 :: v_dual_mov_b32 v10, s15
	v_lshlrev_b64 v[11:12], 3, v[5:6]
	v_lshlrev_b64 v[17:18], 3, v[17:18]
	v_mov_b32_e32 v5, 1
	s_ashr_i32 s4, s6, 31
	s_branch .LBB85_10
.LBB85_8:                               ;   in Loop: Header=BB85_10 Depth=1
	s_or_b32 exec_lo, exec_lo, s15
	v_mov_b32_e32 v20, 1
	v_mov_b32_e32 v21, 0
.LBB85_9:                               ;   in Loop: Header=BB85_10 Depth=1
	s_or_b32 exec_lo, exec_lo, s1
	ds_bpermute_b32 v19, v39, v46
	v_add_co_u32 v3, s1, v20, v3
	s_delay_alu instid0(VALU_DEP_1)
	v_add_co_ci_u32_e64 v4, s1, v21, v4, s1
	s_waitcnt lgkmcnt(0)
	s_waitcnt_vscnt null, 0x0
	buffer_gl0_inv
	buffer_gl0_inv
	v_min_i32_e32 v19, v19, v46
	ds_bpermute_b32 v22, v40, v19
	s_waitcnt lgkmcnt(0)
	v_min_i32_e32 v19, v22, v19
	ds_bpermute_b32 v22, v41, v19
	s_waitcnt lgkmcnt(0)
	;; [unrolled: 3-line block ×6, first 2 shown]
	v_cmp_le_i32_e64 s0, s5, v19
	v_ashrrev_i32_e32 v20, 31, v19
	s_delay_alu instid0(VALU_DEP_2) | instskip(NEXT) | instid1(SALU_CYCLE_1)
	s_or_b32 s14, s0, s14
	s_and_not1_b32 exec_lo, exec_lo, s14
	s_cbranch_execz .LBB85_27
.LBB85_10:                              ; =>This Loop Header: Depth=1
                                        ;     Child Loop BB85_13 Depth 2
	v_add_co_u32 v7, s0, v7, v0
	v_mov_b32_e32 v26, v2
	v_add_co_ci_u32_e64 v8, s0, 0, v8, s0
	v_dual_mov_b32 v46, s5 :: v_dual_mov_b32 v25, v1
	s_mov_b32 s15, exec_lo
	ds_store_b8 v30, v6 offset:8192
	ds_store_2addr_b64 v44, v[9:10], v[9:10] offset1:4
	ds_store_2addr_b64 v44, v[9:10], v[9:10] offset0:8 offset1:12
	s_waitcnt lgkmcnt(0)
	buffer_gl0_inv
	v_cmpx_lt_i64_e64 v[7:8], v[1:2]
	s_cbranch_execz .LBB85_18
; %bb.11:                               ;   in Loop: Header=BB85_10 Depth=1
	v_lshlrev_b64 v[21:22], 3, v[7:8]
	v_lshlrev_b64 v[23:24], 2, v[7:8]
	v_mov_b32_e32 v26, v2
	v_dual_mov_b32 v46, s5 :: v_dual_mov_b32 v25, v1
	s_mov_b32 s22, 0
	s_delay_alu instid0(VALU_DEP_4) | instskip(NEXT) | instid1(VALU_DEP_1)
	v_add_co_u32 v21, s0, s8, v21
	v_add_co_ci_u32_e64 v22, s0, s9, v22, s0
	v_add_co_u32 v23, s0, s12, v23
	s_delay_alu instid0(VALU_DEP_1)
	v_add_co_ci_u32_e64 v24, s0, s13, v24, s0
	s_branch .LBB85_13
.LBB85_12:                              ;   in Loop: Header=BB85_13 Depth=2
	s_or_b32 exec_lo, exec_lo, s1
	v_add_co_u32 v7, s1, v7, 4
	s_delay_alu instid0(VALU_DEP_1) | instskip(SKIP_2) | instid1(VALU_DEP_2)
	v_add_co_ci_u32_e64 v8, s1, 0, v8, s1
	s_xor_b32 s23, s0, -1
	v_add_co_u32 v21, s0, v21, 32
	v_cmp_ge_i64_e64 s1, v[7:8], v[1:2]
	v_add_co_ci_u32_e64 v22, s0, 0, v22, s0
	v_add_co_u32 v23, s0, v23, 16
	s_delay_alu instid0(VALU_DEP_1) | instskip(NEXT) | instid1(VALU_DEP_4)
	v_add_co_ci_u32_e64 v24, s0, 0, v24, s0
	s_or_b32 s1, s23, s1
	s_delay_alu instid0(SALU_CYCLE_1) | instskip(NEXT) | instid1(SALU_CYCLE_1)
	s_and_b32 s0, exec_lo, s1
	s_or_b32 s22, s0, s22
	s_delay_alu instid0(SALU_CYCLE_1)
	s_and_not1_b32 exec_lo, exec_lo, s22
	s_cbranch_execz .LBB85_17
.LBB85_13:                              ;   Parent Loop BB85_10 Depth=1
                                        ; =>  This Inner Loop Header: Depth=2
	global_load_b32 v27, v[23:24], off
	s_waitcnt vmcnt(0)
	v_subrev_nc_u32_e32 v47, s7, v27
	s_delay_alu instid0(VALU_DEP_1) | instskip(NEXT) | instid1(VALU_DEP_1)
	v_sub_nc_u32_e32 v27, 0, v47
	v_max_i32_e32 v27, v47, v27
	s_delay_alu instid0(VALU_DEP_1) | instskip(NEXT) | instid1(VALU_DEP_1)
	v_mul_hi_u32 v28, v27, v45
	v_mul_lo_u32 v29, v28, s19
	s_delay_alu instid0(VALU_DEP_1) | instskip(SKIP_1) | instid1(VALU_DEP_2)
	v_sub_nc_u32_e32 v27, v27, v29
	v_add_nc_u32_e32 v29, 1, v28
	v_subrev_nc_u32_e32 v48, s19, v27
	v_cmp_le_u32_e64 s0, s19, v27
	s_delay_alu instid0(VALU_DEP_1) | instskip(NEXT) | instid1(VALU_DEP_3)
	v_cndmask_b32_e64 v28, v28, v29, s0
	v_cndmask_b32_e64 v27, v27, v48, s0
	v_ashrrev_i32_e32 v29, 31, v47
	s_delay_alu instid0(VALU_DEP_3) | instskip(NEXT) | instid1(VALU_DEP_3)
	v_add_nc_u32_e32 v48, 1, v28
	v_cmp_le_u32_e64 s0, s19, v27
	s_delay_alu instid0(VALU_DEP_3) | instskip(NEXT) | instid1(VALU_DEP_2)
	v_xor_b32_e32 v29, s4, v29
	v_cndmask_b32_e64 v27, v28, v48, s0
	s_delay_alu instid0(VALU_DEP_1) | instskip(NEXT) | instid1(VALU_DEP_1)
	v_xor_b32_e32 v27, v27, v29
	v_sub_nc_u32_e32 v27, v27, v29
	s_delay_alu instid0(VALU_DEP_1) | instskip(NEXT) | instid1(VALU_DEP_1)
	v_ashrrev_i32_e32 v28, 31, v27
	v_cmp_eq_u64_e64 s0, v[19:20], v[27:28]
	v_cmp_ne_u64_e64 s1, v[19:20], v[27:28]
	v_dual_mov_b32 v29, v26 :: v_dual_mov_b32 v28, v25
	s_delay_alu instid0(VALU_DEP_2) | instskip(NEXT) | instid1(SALU_CYCLE_1)
	s_and_saveexec_b32 s23, s1
	s_xor_b32 s1, exec_lo, s23
; %bb.14:                               ;   in Loop: Header=BB85_13 Depth=2
	v_min_i32_e32 v46, v27, v46
                                        ; implicit-def: $vgpr27
                                        ; implicit-def: $vgpr47
                                        ; implicit-def: $vgpr28_vgpr29
; %bb.15:                               ;   in Loop: Header=BB85_13 Depth=2
	s_or_saveexec_b32 s1, s1
	v_dual_mov_b32 v26, v8 :: v_dual_mov_b32 v25, v7
	s_xor_b32 exec_lo, exec_lo, s1
	s_cbranch_execz .LBB85_12
; %bb.16:                               ;   in Loop: Header=BB85_13 Depth=2
	global_load_b64 v[48:49], v[21:22], off
	v_mul_lo_u32 v25, v27, s6
	s_delay_alu instid0(VALU_DEP_1) | instskip(NEXT) | instid1(VALU_DEP_1)
	v_sub_nc_u32_e32 v25, v47, v25
	v_add_lshl_u32 v27, v31, v25, 3
	v_dual_mov_b32 v25, v28 :: v_dual_mov_b32 v26, v29
	ds_store_b8 v30, v5 offset:8192
	s_waitcnt vmcnt(0)
	ds_store_b64 v27, v[48:49]
	s_branch .LBB85_12
.LBB85_17:                              ;   in Loop: Header=BB85_10 Depth=1
	s_or_b32 exec_lo, exec_lo, s22
.LBB85_18:                              ;   in Loop: Header=BB85_10 Depth=1
	s_delay_alu instid0(SALU_CYCLE_1)
	s_or_b32 exec_lo, exec_lo, s15
	ds_bpermute_b32 v7, v32, v25
	ds_bpermute_b32 v8, v32, v26
	s_waitcnt lgkmcnt(0)
	buffer_gl0_inv
	ds_load_u8 v22, v30 offset:8192
	s_mov_b32 s1, exec_lo
	v_cmp_lt_i64_e64 s0, v[7:8], v[25:26]
	s_waitcnt lgkmcnt(0)
	v_and_b32_e32 v22, 1, v22
	s_delay_alu instid0(VALU_DEP_2)
	v_cndmask_b32_e64 v8, v26, v8, s0
	v_cndmask_b32_e64 v7, v25, v7, s0
	ds_bpermute_b32 v21, v33, v8
	ds_bpermute_b32 v20, v33, v7
	s_waitcnt lgkmcnt(0)
	v_cmp_lt_i64_e64 s0, v[20:21], v[7:8]
	s_delay_alu instid0(VALU_DEP_1)
	v_cndmask_b32_e64 v8, v8, v21, s0
	v_cndmask_b32_e64 v7, v7, v20, s0
	v_mov_b32_e32 v20, 0
	v_mov_b32_e32 v21, 0
	ds_bpermute_b32 v8, v34, v8
	ds_bpermute_b32 v7, v34, v7
	v_cmpx_eq_u32_e32 1, v22
	s_cbranch_execz .LBB85_9
; %bb.19:                               ;   in Loop: Header=BB85_10 Depth=1
	v_mul_lo_u32 v22, s16, v3
	v_mul_lo_u32 v23, s18, v4
	v_mad_u64_u32 v[20:21], null, s18, v3, 0
	v_add_nc_u32_e32 v28, s17, v19
	s_delay_alu instid0(VALU_DEP_2) | instskip(SKIP_1) | instid1(VALU_DEP_2)
	v_add3_u32 v21, v21, v23, v22
	v_lshlrev_b64 v[22:23], 2, v[3:4]
	v_lshlrev_b64 v[24:25], 3, v[20:21]
	s_delay_alu instid0(VALU_DEP_2) | instskip(NEXT) | instid1(VALU_DEP_1)
	v_add_co_u32 v26, s0, s10, v22
	v_add_co_ci_u32_e64 v27, s0, s11, v23, s0
	s_delay_alu instid0(VALU_DEP_3) | instskip(NEXT) | instid1(VALU_DEP_1)
	v_add_co_u32 v19, s0, v35, v24
	v_add_co_ci_u32_e64 v20, s0, v36, v25, s0
	v_add_co_u32 v21, s0, v37, v24
	s_delay_alu instid0(VALU_DEP_1)
	v_add_co_ci_u32_e64 v22, s0, v38, v25, s0
	v_lshlrev_b32_e32 v23, 3, v0
	global_store_b32 v[26:27], v28, off
	s_and_saveexec_b32 s15, s20
	s_cbranch_execnz .LBB85_23
; %bb.20:                               ;   in Loop: Header=BB85_10 Depth=1
	s_or_b32 exec_lo, exec_lo, s15
	s_and_saveexec_b32 s15, s21
	s_cbranch_execnz .LBB85_24
.LBB85_21:                              ;   in Loop: Header=BB85_10 Depth=1
	s_or_b32 exec_lo, exec_lo, s15
	s_and_saveexec_b32 s15, s3
	s_cbranch_execnz .LBB85_25
.LBB85_22:                              ;   in Loop: Header=BB85_10 Depth=1
	s_or_b32 exec_lo, exec_lo, s15
	s_and_saveexec_b32 s15, s2
	s_cbranch_execz .LBB85_8
	s_branch .LBB85_26
.LBB85_23:                              ;   in Loop: Header=BB85_10 Depth=1
	ds_load_b64 v[24:25], v44
	v_add_co_u32 v26, s0, v19, v11
	s_delay_alu instid0(VALU_DEP_1) | instskip(SKIP_1) | instid1(VALU_DEP_1)
	v_add_co_ci_u32_e64 v27, s0, v20, v12, s0
	v_add_co_u32 v28, s0, v21, v23
	v_add_co_ci_u32_e64 v29, s0, 0, v22, s0
	s_delay_alu instid0(VALU_DEP_1)
	v_dual_cndmask_b32 v26, v26, v28 :: v_dual_cndmask_b32 v27, v27, v29
	s_waitcnt lgkmcnt(0)
	global_store_b64 v[26:27], v[24:25], off
	s_or_b32 exec_lo, exec_lo, s15
	s_and_saveexec_b32 s15, s21
	s_cbranch_execz .LBB85_21
.LBB85_24:                              ;   in Loop: Header=BB85_10 Depth=1
	v_add_co_u32 v26, s0, v21, v23
	ds_load_b64 v[24:25], v44 offset:32
	v_add_co_ci_u32_e64 v27, s0, 0, v22, s0
	v_add_co_u32 v26, s0, v26, 32
	s_delay_alu instid0(VALU_DEP_1) | instskip(SKIP_1) | instid1(VALU_DEP_1)
	v_add_co_ci_u32_e64 v27, s0, 0, v27, s0
	v_add_co_u32 v28, s0, v19, v13
	v_add_co_ci_u32_e64 v29, s0, v20, v14, s0
	s_delay_alu instid0(VALU_DEP_1)
	v_dual_cndmask_b32 v26, v28, v26 :: v_dual_cndmask_b32 v27, v29, v27
	s_waitcnt lgkmcnt(0)
	global_store_b64 v[26:27], v[24:25], off
	s_or_b32 exec_lo, exec_lo, s15
	s_and_saveexec_b32 s15, s3
	s_cbranch_execz .LBB85_22
.LBB85_25:                              ;   in Loop: Header=BB85_10 Depth=1
	v_add_co_u32 v26, s0, v21, v23
	ds_load_b64 v[24:25], v44 offset:64
	v_add_co_ci_u32_e64 v27, s0, 0, v22, s0
	v_add_co_u32 v26, s0, v26, 64
	s_delay_alu instid0(VALU_DEP_1) | instskip(SKIP_1) | instid1(VALU_DEP_1)
	v_add_co_ci_u32_e64 v27, s0, 0, v27, s0
	v_add_co_u32 v28, s0, v19, v15
	v_add_co_ci_u32_e64 v29, s0, v20, v16, s0
	s_delay_alu instid0(VALU_DEP_1)
	v_dual_cndmask_b32 v26, v28, v26 :: v_dual_cndmask_b32 v27, v29, v27
	s_waitcnt lgkmcnt(0)
	global_store_b64 v[26:27], v[24:25], off
	s_or_b32 exec_lo, exec_lo, s15
	s_and_saveexec_b32 s15, s2
	s_cbranch_execz .LBB85_8
.LBB85_26:                              ;   in Loop: Header=BB85_10 Depth=1
	v_add_co_u32 v23, s0, v21, v23
	s_delay_alu instid0(VALU_DEP_1) | instskip(SKIP_2) | instid1(VALU_DEP_1)
	v_add_co_ci_u32_e64 v24, s0, 0, v22, s0
	ds_load_b64 v[21:22], v44 offset:96
	v_add_co_u32 v23, s0, 0x60, v23
	v_add_co_ci_u32_e64 v24, s0, 0, v24, s0
	v_add_co_u32 v19, s0, v19, v17
	s_delay_alu instid0(VALU_DEP_1) | instskip(NEXT) | instid1(VALU_DEP_1)
	v_add_co_ci_u32_e64 v20, s0, v20, v18, s0
	v_dual_cndmask_b32 v19, v19, v23 :: v_dual_cndmask_b32 v20, v20, v24
	s_waitcnt lgkmcnt(0)
	global_store_b64 v[19:20], v[21:22], off
	s_branch .LBB85_8
.LBB85_27:
	s_endpgm
	.section	.rodata,"a",@progbits
	.p2align	6, 0x0
	.amdhsa_kernel _ZN9rocsparseL42csr2bsr_wavefront_per_row_multipass_kernelILj256ELj64ELj16E21rocsparse_complex_numIfEliEEv20rocsparse_direction_T4_S4_S4_S4_S4_21rocsparse_index_base_PKT2_PKT3_PKS4_S5_PS6_PS9_PS4_
		.amdhsa_group_segment_fixed_size 8196
		.amdhsa_private_segment_fixed_size 0
		.amdhsa_kernarg_size 88
		.amdhsa_user_sgpr_count 15
		.amdhsa_user_sgpr_dispatch_ptr 0
		.amdhsa_user_sgpr_queue_ptr 0
		.amdhsa_user_sgpr_kernarg_segment_ptr 1
		.amdhsa_user_sgpr_dispatch_id 0
		.amdhsa_user_sgpr_private_segment_size 0
		.amdhsa_wavefront_size32 1
		.amdhsa_uses_dynamic_stack 0
		.amdhsa_enable_private_segment 0
		.amdhsa_system_sgpr_workgroup_id_x 1
		.amdhsa_system_sgpr_workgroup_id_y 0
		.amdhsa_system_sgpr_workgroup_id_z 0
		.amdhsa_system_sgpr_workgroup_info 0
		.amdhsa_system_vgpr_workitem_id 0
		.amdhsa_next_free_vgpr 50
		.amdhsa_next_free_sgpr 24
		.amdhsa_reserve_vcc 1
		.amdhsa_float_round_mode_32 0
		.amdhsa_float_round_mode_16_64 0
		.amdhsa_float_denorm_mode_32 3
		.amdhsa_float_denorm_mode_16_64 3
		.amdhsa_dx10_clamp 1
		.amdhsa_ieee_mode 1
		.amdhsa_fp16_overflow 0
		.amdhsa_workgroup_processor_mode 1
		.amdhsa_memory_ordered 1
		.amdhsa_forward_progress 0
		.amdhsa_shared_vgpr_count 0
		.amdhsa_exception_fp_ieee_invalid_op 0
		.amdhsa_exception_fp_denorm_src 0
		.amdhsa_exception_fp_ieee_div_zero 0
		.amdhsa_exception_fp_ieee_overflow 0
		.amdhsa_exception_fp_ieee_underflow 0
		.amdhsa_exception_fp_ieee_inexact 0
		.amdhsa_exception_int_div_zero 0
	.end_amdhsa_kernel
	.section	.text._ZN9rocsparseL42csr2bsr_wavefront_per_row_multipass_kernelILj256ELj64ELj16E21rocsparse_complex_numIfEliEEv20rocsparse_direction_T4_S4_S4_S4_S4_21rocsparse_index_base_PKT2_PKT3_PKS4_S5_PS6_PS9_PS4_,"axG",@progbits,_ZN9rocsparseL42csr2bsr_wavefront_per_row_multipass_kernelILj256ELj64ELj16E21rocsparse_complex_numIfEliEEv20rocsparse_direction_T4_S4_S4_S4_S4_21rocsparse_index_base_PKT2_PKT3_PKS4_S5_PS6_PS9_PS4_,comdat
.Lfunc_end85:
	.size	_ZN9rocsparseL42csr2bsr_wavefront_per_row_multipass_kernelILj256ELj64ELj16E21rocsparse_complex_numIfEliEEv20rocsparse_direction_T4_S4_S4_S4_S4_21rocsparse_index_base_PKT2_PKT3_PKS4_S5_PS6_PS9_PS4_, .Lfunc_end85-_ZN9rocsparseL42csr2bsr_wavefront_per_row_multipass_kernelILj256ELj64ELj16E21rocsparse_complex_numIfEliEEv20rocsparse_direction_T4_S4_S4_S4_S4_21rocsparse_index_base_PKT2_PKT3_PKS4_S5_PS6_PS9_PS4_
                                        ; -- End function
	.section	.AMDGPU.csdata,"",@progbits
; Kernel info:
; codeLenInByte = 2328
; NumSgprs: 26
; NumVgprs: 50
; ScratchSize: 0
; MemoryBound: 0
; FloatMode: 240
; IeeeMode: 1
; LDSByteSize: 8196 bytes/workgroup (compile time only)
; SGPRBlocks: 3
; VGPRBlocks: 6
; NumSGPRsForWavesPerEU: 26
; NumVGPRsForWavesPerEU: 50
; Occupancy: 16
; WaveLimiterHint : 0
; COMPUTE_PGM_RSRC2:SCRATCH_EN: 0
; COMPUTE_PGM_RSRC2:USER_SGPR: 15
; COMPUTE_PGM_RSRC2:TRAP_HANDLER: 0
; COMPUTE_PGM_RSRC2:TGID_X_EN: 1
; COMPUTE_PGM_RSRC2:TGID_Y_EN: 0
; COMPUTE_PGM_RSRC2:TGID_Z_EN: 0
; COMPUTE_PGM_RSRC2:TIDIG_COMP_CNT: 0
	.section	.text._ZN9rocsparseL42csr2bsr_wavefront_per_row_multipass_kernelILj256ELj32ELj16E21rocsparse_complex_numIfEliEEv20rocsparse_direction_T4_S4_S4_S4_S4_21rocsparse_index_base_PKT2_PKT3_PKS4_S5_PS6_PS9_PS4_,"axG",@progbits,_ZN9rocsparseL42csr2bsr_wavefront_per_row_multipass_kernelILj256ELj32ELj16E21rocsparse_complex_numIfEliEEv20rocsparse_direction_T4_S4_S4_S4_S4_21rocsparse_index_base_PKT2_PKT3_PKS4_S5_PS6_PS9_PS4_,comdat
	.globl	_ZN9rocsparseL42csr2bsr_wavefront_per_row_multipass_kernelILj256ELj32ELj16E21rocsparse_complex_numIfEliEEv20rocsparse_direction_T4_S4_S4_S4_S4_21rocsparse_index_base_PKT2_PKT3_PKS4_S5_PS6_PS9_PS4_ ; -- Begin function _ZN9rocsparseL42csr2bsr_wavefront_per_row_multipass_kernelILj256ELj32ELj16E21rocsparse_complex_numIfEliEEv20rocsparse_direction_T4_S4_S4_S4_S4_21rocsparse_index_base_PKT2_PKT3_PKS4_S5_PS6_PS9_PS4_
	.p2align	8
	.type	_ZN9rocsparseL42csr2bsr_wavefront_per_row_multipass_kernelILj256ELj32ELj16E21rocsparse_complex_numIfEliEEv20rocsparse_direction_T4_S4_S4_S4_S4_21rocsparse_index_base_PKT2_PKT3_PKS4_S5_PS6_PS9_PS4_,@function
_ZN9rocsparseL42csr2bsr_wavefront_per_row_multipass_kernelILj256ELj32ELj16E21rocsparse_complex_numIfEliEEv20rocsparse_direction_T4_S4_S4_S4_S4_21rocsparse_index_base_PKT2_PKT3_PKS4_S5_PS6_PS9_PS4_: ; @_ZN9rocsparseL42csr2bsr_wavefront_per_row_multipass_kernelILj256ELj32ELj16E21rocsparse_complex_numIfEliEEv20rocsparse_direction_T4_S4_S4_S4_S4_21rocsparse_index_base_PKT2_PKT3_PKS4_S5_PS6_PS9_PS4_
; %bb.0:
	s_clause 0x1
	s_load_b128 s[8:11], s[0:1], 0xc
	s_load_b64 s[4:5], s[0:1], 0x0
	v_lshrrev_b32_e32 v38, 5, v0
	v_bfe_u32 v9, v0, 1, 4
	s_load_b64 s[6:7], s[0:1], 0x28
	v_mov_b32_e32 v1, 0
	v_mov_b32_e32 v2, 0
	v_lshl_or_b32 v5, s15, 3, v38
	s_delay_alu instid0(VALU_DEP_2) | instskip(SKIP_1) | instid1(VALU_DEP_2)
	v_dual_mov_b32 v8, v2 :: v_dual_mov_b32 v7, v1
	s_waitcnt lgkmcnt(0)
	v_mad_u64_u32 v[3:4], null, v5, s10, v[9:10]
	v_cmp_gt_i32_e64 s2, s10, v9
	s_delay_alu instid0(VALU_DEP_2) | instskip(NEXT) | instid1(VALU_DEP_2)
	v_cmp_gt_i32_e32 vcc_lo, s5, v3
	s_and_b32 s3, s2, vcc_lo
	s_delay_alu instid0(SALU_CYCLE_1)
	s_and_saveexec_b32 s5, s3
	s_cbranch_execz .LBB86_2
; %bb.1:
	v_ashrrev_i32_e32 v4, 31, v3
	s_delay_alu instid0(VALU_DEP_1) | instskip(NEXT) | instid1(VALU_DEP_1)
	v_lshlrev_b64 v[6:7], 3, v[3:4]
	v_add_co_u32 v6, vcc_lo, s6, v6
	s_delay_alu instid0(VALU_DEP_2)
	v_add_co_ci_u32_e32 v7, vcc_lo, s7, v7, vcc_lo
	global_load_b64 v[7:8], v[6:7], off
	s_waitcnt vmcnt(0)
	v_sub_co_u32 v7, vcc_lo, v7, s11
	v_subrev_co_ci_u32_e32 v8, vcc_lo, 0, v8, vcc_lo
.LBB86_2:
	s_or_b32 exec_lo, exec_lo, s5
	s_and_saveexec_b32 s5, s3
	s_cbranch_execz .LBB86_4
; %bb.3:
	v_ashrrev_i32_e32 v4, 31, v3
	s_delay_alu instid0(VALU_DEP_1) | instskip(NEXT) | instid1(VALU_DEP_1)
	v_lshlrev_b64 v[1:2], 3, v[3:4]
	v_add_co_u32 v1, vcc_lo, s6, v1
	s_delay_alu instid0(VALU_DEP_2)
	v_add_co_ci_u32_e32 v2, vcc_lo, s7, v2, vcc_lo
	global_load_b64 v[1:2], v[1:2], off offset:8
	s_waitcnt vmcnt(0)
	v_sub_co_u32 v1, vcc_lo, v1, s11
	v_subrev_co_ci_u32_e32 v2, vcc_lo, 0, v2, vcc_lo
.LBB86_4:
	s_or_b32 exec_lo, exec_lo, s5
	s_load_b32 s20, s[0:1], 0x38
	v_mov_b32_e32 v3, 0
	v_mov_b32_e32 v4, 0
	s_mov_b32 s3, exec_lo
	v_cmpx_gt_i32_e64 s8, v5
	s_cbranch_execz .LBB86_6
; %bb.5:
	s_load_b64 s[6:7], s[0:1], 0x48
	v_ashrrev_i32_e32 v6, 31, v5
	s_delay_alu instid0(VALU_DEP_1) | instskip(SKIP_1) | instid1(VALU_DEP_1)
	v_lshlrev_b64 v[3:4], 3, v[5:6]
	s_waitcnt lgkmcnt(0)
	v_add_co_u32 v3, vcc_lo, s6, v3
	s_delay_alu instid0(VALU_DEP_2)
	v_add_co_ci_u32_e32 v4, vcc_lo, s7, v4, vcc_lo
	global_load_b64 v[3:4], v[3:4], off
	s_waitcnt vmcnt(0)
	v_sub_co_u32 v3, vcc_lo, v3, s20
	v_subrev_co_ci_u32_e32 v4, vcc_lo, 0, v4, vcc_lo
.LBB86_6:
	s_or_b32 exec_lo, exec_lo, s3
	s_cmp_lt_i32 s9, 1
	s_cbranch_scc1 .LBB86_35
; %bb.7:
	v_mbcnt_lo_u32_b32 v11, -1, 0
	s_clause 0x2
	s_load_b64 s[12:13], s[0:1], 0x20
	s_load_b64 s[14:15], s[0:1], 0x50
	;; [unrolled: 1-line block ×3, first 2 shown]
	v_lshlrev_b32_e32 v10, 8, v38
	v_mov_b32_e32 v6, 0
	s_mov_b32 s18, 0
	v_xor_b32_e32 v5, 1, v11
	s_load_b64 s[16:17], s[0:1], 0x30
	v_lshl_or_b32 v39, v9, 4, v10
	v_dual_mov_b32 v27, 0 :: v_dual_and_b32 v0, 1, v0
	s_delay_alu instid0(VALU_DEP_3)
	v_cmp_gt_i32_e32 vcc_lo, 32, v5
	s_cmp_eq_u32 s4, 0
	v_lshl_or_b32 v41, v11, 2, 4
	v_mov_b32_e32 v28, 0
	s_mul_hi_u32 s21, s10, s10
	v_cndmask_b32_e32 v12, v11, v5, vcc_lo
	v_mul_lo_u32 v5, v9, s10
	s_cselect_b32 vcc_lo, -1, 0
	s_abs_i32 s23, s10
	s_lshl_b32 s19, s10, 1
	v_lshlrev_b32_e32 v40, 2, v12
	v_lshlrev_b32_e32 v12, 3, v9
	s_mul_i32 s22, s10, s10
	s_delay_alu instid0(VALU_DEP_3) | instskip(SKIP_3) | instid1(VALU_DEP_1)
	v_lshlrev_b64 v[9:10], 3, v[5:6]
	v_xor_b32_e32 v5, 16, v11
	s_waitcnt lgkmcnt(0)
	v_add_co_u32 v42, s0, s6, v12
	v_add_co_ci_u32_e64 v43, null, s7, 0, s0
	s_delay_alu instid0(VALU_DEP_4) | instskip(NEXT) | instid1(VALU_DEP_1)
	v_add_co_u32 v44, s0, s6, v9
	v_add_co_ci_u32_e64 v45, s0, s7, v10, s0
	v_xor_b32_e32 v9, 8, v11
	v_cmp_gt_i32_e64 s0, 32, v5
	v_xor_b32_e32 v10, 4, v11
	v_xor_b32_e32 v12, 2, v11
	s_sub_i32 s7, 0, s23
	s_delay_alu instid0(VALU_DEP_3) | instskip(SKIP_1) | instid1(VALU_DEP_2)
	v_cndmask_b32_e64 v5, v11, v5, s0
	v_cmp_gt_i32_e64 s0, 32, v9
	v_lshlrev_b32_e32 v46, 2, v5
	s_delay_alu instid0(VALU_DEP_2) | instskip(SKIP_2) | instid1(VALU_DEP_3)
	v_cndmask_b32_e64 v9, v11, v9, s0
	v_cmp_gt_i32_e64 s0, 32, v10
	v_mul_lo_u32 v5, v0, s10
	v_lshlrev_b32_e32 v47, 2, v9
	s_delay_alu instid0(VALU_DEP_3)
	v_cndmask_b32_e64 v10, v11, v10, s0
	v_or_b32_e32 v9, v39, v0
	v_cmp_gt_i32_e64 s0, 32, v12
	v_dual_mov_b32 v50, 0x7c :: v_dual_add_nc_u32 v13, s19, v5
	v_mov_b32_e32 v14, v6
	v_lshlrev_b32_e32 v48, 2, v10
	v_cvt_f32_u32_e32 v10, s23
	v_lshlrev_b32_e32 v51, 3, v9
	v_or_b32_e32 v9, 2, v0
	v_cndmask_b32_e64 v11, v11, v12, s0
	v_dual_mov_b32 v16, v6 :: v_dual_add_nc_u32 v15, s19, v13
	v_rcp_iflag_f32_e32 v10, v10
	s_delay_alu instid0(VALU_DEP_3) | instskip(SKIP_4) | instid1(VALU_DEP_4)
	v_cmp_gt_u32_e64 s1, s10, v9
	v_or_b32_e32 v9, 4, v0
	v_lshlrev_b32_e32 v49, 2, v11
	v_or_b32_e32 v11, 6, v0
	v_dual_mov_b32 v18, v6 :: v_dual_add_nc_u32 v17, s19, v15
	v_cmp_gt_u32_e64 s3, s10, v9
	v_or_b32_e32 v9, 8, v0
	s_delay_alu instid0(VALU_DEP_4)
	v_cmp_gt_u32_e64 s4, s10, v11
	s_delay_alu instid0(TRANS32_DEP_1) | instid1(VALU_DEP_4)
	v_dual_mul_f32 v10, 0x4f7ffffe, v10 :: v_dual_add_nc_u32 v19, s19, v17
	v_or_b32_e32 v11, 10, v0
	s_delay_alu instid0(VALU_DEP_4) | instskip(SKIP_1) | instid1(VALU_DEP_4)
	v_cmp_gt_u32_e64 s5, s10, v9
	v_mov_b32_e32 v20, v6
	v_cvt_u32_f32_e32 v9, v10
	v_add_nc_u32_e32 v21, s19, v19
	v_cmp_gt_u32_e64 s6, s10, v11
	v_or_b32_e32 v10, 12, v0
	v_or_b32_e32 v12, 14, v0
	v_mul_lo_u32 v11, s7, v9
	v_dual_mov_b32 v22, v6 :: v_dual_add_nc_u32 v23, s19, v21
	s_delay_alu instid0(VALU_DEP_4) | instskip(SKIP_1) | instid1(VALU_DEP_3)
	v_cmp_gt_u32_e64 s7, s10, v10
	v_mov_b32_e32 v24, v6
	v_dual_mov_b32 v26, v6 :: v_dual_add_nc_u32 v25, s19, v23
	v_cmp_gt_u32_e64 s0, s10, v0
	v_mul_hi_u32 v10, v9, v11
	v_cmp_gt_u32_e64 s8, s10, v12
	s_mov_b32 s19, s18
	v_lshlrev_b64 v[11:12], 3, v[5:6]
	v_lshlrev_b64 v[13:14], 3, v[13:14]
	;; [unrolled: 1-line block ×5, first 2 shown]
	v_dual_mov_b32 v9, s18 :: v_dual_add_nc_u32 v52, v9, v10
	v_lshlrev_b64 v[21:22], 3, v[21:22]
	v_lshlrev_b64 v[23:24], 3, v[23:24]
	;; [unrolled: 1-line block ×3, first 2 shown]
	v_dual_mov_b32 v10, s19 :: v_dual_mov_b32 v5, 1
	s_and_b32 s24, s0, s2
	s_and_b32 s25, s2, s1
	;; [unrolled: 1-line block ×8, first 2 shown]
	s_ashr_i32 s8, s10, 31
	s_branch .LBB86_10
.LBB86_8:                               ;   in Loop: Header=BB86_10 Depth=1
	s_or_b32 exec_lo, exec_lo, s19
	v_mov_b32_e32 v28, 1
	v_mov_b32_e32 v29, 0
.LBB86_9:                               ;   in Loop: Header=BB86_10 Depth=1
	s_or_b32 exec_lo, exec_lo, s1
	ds_bpermute_b32 v27, v46, v53
	v_add_co_u32 v3, s1, v28, v3
	s_delay_alu instid0(VALU_DEP_1)
	v_add_co_ci_u32_e64 v4, s1, v29, v4, s1
	s_waitcnt lgkmcnt(0)
	s_waitcnt_vscnt null, 0x0
	buffer_gl0_inv
	buffer_gl0_inv
	v_min_i32_e32 v27, v27, v53
	ds_bpermute_b32 v30, v47, v27
	s_waitcnt lgkmcnt(0)
	v_min_i32_e32 v27, v30, v27
	ds_bpermute_b32 v30, v48, v27
	s_waitcnt lgkmcnt(0)
	;; [unrolled: 3-line block ×5, first 2 shown]
	v_cmp_le_i32_e64 s0, s9, v27
	v_ashrrev_i32_e32 v28, 31, v27
	s_delay_alu instid0(VALU_DEP_2) | instskip(NEXT) | instid1(SALU_CYCLE_1)
	s_or_b32 s18, s0, s18
	s_and_not1_b32 exec_lo, exec_lo, s18
	s_cbranch_execz .LBB86_35
.LBB86_10:                              ; =>This Loop Header: Depth=1
                                        ;     Child Loop BB86_13 Depth 2
	v_add_co_u32 v7, s0, v7, v0
	v_dual_mov_b32 v53, s9 :: v_dual_mov_b32 v34, v2
	v_add_co_ci_u32_e64 v8, s0, 0, v8, s0
	v_mov_b32_e32 v33, v1
	s_mov_b32 s19, exec_lo
	ds_store_b8 v38, v6 offset:16384
	ds_store_2addr_b64 v51, v[9:10], v[9:10] offset1:2
	ds_store_2addr_b64 v51, v[9:10], v[9:10] offset0:4 offset1:6
	ds_store_2addr_b64 v51, v[9:10], v[9:10] offset0:8 offset1:10
	ds_store_2addr_b64 v51, v[9:10], v[9:10] offset0:12 offset1:14
	s_waitcnt lgkmcnt(0)
	buffer_gl0_inv
	v_cmpx_lt_i64_e64 v[7:8], v[1:2]
	s_cbranch_execz .LBB86_18
; %bb.11:                               ;   in Loop: Header=BB86_10 Depth=1
	v_lshlrev_b64 v[29:30], 3, v[7:8]
	v_lshlrev_b64 v[31:32], 2, v[7:8]
	v_dual_mov_b32 v53, s9 :: v_dual_mov_b32 v34, v2
	v_mov_b32_e32 v33, v1
	s_mov_b32 s26, 0
	s_delay_alu instid0(VALU_DEP_4) | instskip(NEXT) | instid1(VALU_DEP_1)
	v_add_co_u32 v29, s0, s12, v29
	v_add_co_ci_u32_e64 v30, s0, s13, v30, s0
	v_add_co_u32 v31, s0, s16, v31
	s_delay_alu instid0(VALU_DEP_1)
	v_add_co_ci_u32_e64 v32, s0, s17, v32, s0
	s_branch .LBB86_13
.LBB86_12:                              ;   in Loop: Header=BB86_13 Depth=2
	s_or_b32 exec_lo, exec_lo, s1
	v_add_co_u32 v7, s1, v7, 2
	s_delay_alu instid0(VALU_DEP_1) | instskip(SKIP_2) | instid1(VALU_DEP_2)
	v_add_co_ci_u32_e64 v8, s1, 0, v8, s1
	s_xor_b32 s27, s0, -1
	v_add_co_u32 v29, s0, v29, 16
	v_cmp_ge_i64_e64 s1, v[7:8], v[1:2]
	v_add_co_ci_u32_e64 v30, s0, 0, v30, s0
	v_add_co_u32 v31, s0, v31, 8
	s_delay_alu instid0(VALU_DEP_1) | instskip(NEXT) | instid1(VALU_DEP_4)
	v_add_co_ci_u32_e64 v32, s0, 0, v32, s0
	s_or_b32 s1, s27, s1
	s_delay_alu instid0(SALU_CYCLE_1) | instskip(NEXT) | instid1(SALU_CYCLE_1)
	s_and_b32 s0, exec_lo, s1
	s_or_b32 s26, s0, s26
	s_delay_alu instid0(SALU_CYCLE_1)
	s_and_not1_b32 exec_lo, exec_lo, s26
	s_cbranch_execz .LBB86_17
.LBB86_13:                              ;   Parent Loop BB86_10 Depth=1
                                        ; =>  This Inner Loop Header: Depth=2
	global_load_b32 v35, v[31:32], off
	s_waitcnt vmcnt(0)
	v_subrev_nc_u32_e32 v54, s11, v35
	s_delay_alu instid0(VALU_DEP_1) | instskip(NEXT) | instid1(VALU_DEP_1)
	v_sub_nc_u32_e32 v35, 0, v54
	v_max_i32_e32 v35, v54, v35
	s_delay_alu instid0(VALU_DEP_1) | instskip(NEXT) | instid1(VALU_DEP_1)
	v_mul_hi_u32 v36, v35, v52
	v_mul_lo_u32 v37, v36, s23
	s_delay_alu instid0(VALU_DEP_1) | instskip(SKIP_1) | instid1(VALU_DEP_2)
	v_sub_nc_u32_e32 v35, v35, v37
	v_add_nc_u32_e32 v37, 1, v36
	v_subrev_nc_u32_e32 v55, s23, v35
	v_cmp_le_u32_e64 s0, s23, v35
	s_delay_alu instid0(VALU_DEP_1) | instskip(NEXT) | instid1(VALU_DEP_3)
	v_cndmask_b32_e64 v36, v36, v37, s0
	v_cndmask_b32_e64 v35, v35, v55, s0
	v_ashrrev_i32_e32 v37, 31, v54
	s_delay_alu instid0(VALU_DEP_3) | instskip(NEXT) | instid1(VALU_DEP_3)
	v_add_nc_u32_e32 v55, 1, v36
	v_cmp_le_u32_e64 s0, s23, v35
	s_delay_alu instid0(VALU_DEP_3) | instskip(NEXT) | instid1(VALU_DEP_2)
	v_xor_b32_e32 v37, s8, v37
	v_cndmask_b32_e64 v35, v36, v55, s0
	s_delay_alu instid0(VALU_DEP_1) | instskip(NEXT) | instid1(VALU_DEP_1)
	v_xor_b32_e32 v35, v35, v37
	v_sub_nc_u32_e32 v35, v35, v37
	s_delay_alu instid0(VALU_DEP_1) | instskip(NEXT) | instid1(VALU_DEP_1)
	v_ashrrev_i32_e32 v36, 31, v35
	v_cmp_eq_u64_e64 s0, v[27:28], v[35:36]
	v_cmp_ne_u64_e64 s1, v[27:28], v[35:36]
	v_dual_mov_b32 v37, v34 :: v_dual_mov_b32 v36, v33
	s_delay_alu instid0(VALU_DEP_2) | instskip(NEXT) | instid1(SALU_CYCLE_1)
	s_and_saveexec_b32 s27, s1
	s_xor_b32 s1, exec_lo, s27
; %bb.14:                               ;   in Loop: Header=BB86_13 Depth=2
	v_min_i32_e32 v53, v35, v53
                                        ; implicit-def: $vgpr35
                                        ; implicit-def: $vgpr54
                                        ; implicit-def: $vgpr36_vgpr37
; %bb.15:                               ;   in Loop: Header=BB86_13 Depth=2
	s_or_saveexec_b32 s1, s1
	v_dual_mov_b32 v34, v8 :: v_dual_mov_b32 v33, v7
	s_xor_b32 exec_lo, exec_lo, s1
	s_cbranch_execz .LBB86_12
; %bb.16:                               ;   in Loop: Header=BB86_13 Depth=2
	global_load_b64 v[55:56], v[29:30], off
	v_mul_lo_u32 v33, v35, s10
	s_delay_alu instid0(VALU_DEP_1) | instskip(NEXT) | instid1(VALU_DEP_1)
	v_sub_nc_u32_e32 v33, v54, v33
	v_add_lshl_u32 v35, v39, v33, 3
	v_dual_mov_b32 v33, v36 :: v_dual_mov_b32 v34, v37
	ds_store_b8 v38, v5 offset:16384
	s_waitcnt vmcnt(0)
	ds_store_b64 v35, v[55:56]
	s_branch .LBB86_12
.LBB86_17:                              ;   in Loop: Header=BB86_10 Depth=1
	s_or_b32 exec_lo, exec_lo, s26
.LBB86_18:                              ;   in Loop: Header=BB86_10 Depth=1
	s_delay_alu instid0(SALU_CYCLE_1)
	s_or_b32 exec_lo, exec_lo, s19
	ds_bpermute_b32 v7, v40, v33
	ds_bpermute_b32 v8, v40, v34
	s_waitcnt lgkmcnt(0)
	buffer_gl0_inv
	ds_load_u8 v28, v38 offset:16384
	s_mov_b32 s1, exec_lo
	v_cmp_lt_i64_e64 s0, v[7:8], v[33:34]
	s_waitcnt lgkmcnt(0)
	v_and_b32_e32 v30, 1, v28
	v_mov_b32_e32 v28, 0
	v_mov_b32_e32 v29, 0
	s_delay_alu instid0(VALU_DEP_4)
	v_cndmask_b32_e64 v8, v34, v8, s0
	v_cndmask_b32_e64 v7, v33, v7, s0
	ds_bpermute_b32 v8, v41, v8
	ds_bpermute_b32 v7, v41, v7
	v_cmpx_eq_u32_e32 1, v30
	s_cbranch_execz .LBB86_9
; %bb.19:                               ;   in Loop: Header=BB86_10 Depth=1
	v_mul_lo_u32 v30, s21, v3
	v_mul_lo_u32 v31, s22, v4
	v_mad_u64_u32 v[28:29], null, s22, v3, 0
	v_add_nc_u32_e32 v36, s20, v27
	s_delay_alu instid0(VALU_DEP_2) | instskip(SKIP_1) | instid1(VALU_DEP_2)
	v_add3_u32 v29, v29, v31, v30
	v_lshlrev_b64 v[30:31], 2, v[3:4]
	v_lshlrev_b64 v[32:33], 3, v[28:29]
	s_delay_alu instid0(VALU_DEP_2) | instskip(NEXT) | instid1(VALU_DEP_1)
	v_add_co_u32 v34, s0, s14, v30
	v_add_co_ci_u32_e64 v35, s0, s15, v31, s0
	s_delay_alu instid0(VALU_DEP_3) | instskip(NEXT) | instid1(VALU_DEP_1)
	v_add_co_u32 v27, s0, v42, v32
	v_add_co_ci_u32_e64 v28, s0, v43, v33, s0
	v_add_co_u32 v29, s0, v44, v32
	s_delay_alu instid0(VALU_DEP_1)
	v_add_co_ci_u32_e64 v30, s0, v45, v33, s0
	v_lshlrev_b32_e32 v31, 3, v0
	global_store_b32 v[34:35], v36, off
	s_and_saveexec_b32 s19, s24
	s_cbranch_execnz .LBB86_27
; %bb.20:                               ;   in Loop: Header=BB86_10 Depth=1
	s_or_b32 exec_lo, exec_lo, s19
	s_and_saveexec_b32 s19, s25
	s_cbranch_execnz .LBB86_28
.LBB86_21:                              ;   in Loop: Header=BB86_10 Depth=1
	s_or_b32 exec_lo, exec_lo, s19
	s_and_saveexec_b32 s19, s3
	s_cbranch_execnz .LBB86_29
.LBB86_22:                              ;   in Loop: Header=BB86_10 Depth=1
	s_or_b32 exec_lo, exec_lo, s19
	s_and_saveexec_b32 s19, s4
	s_cbranch_execnz .LBB86_30
.LBB86_23:                              ;   in Loop: Header=BB86_10 Depth=1
	s_or_b32 exec_lo, exec_lo, s19
	s_and_saveexec_b32 s19, s5
	s_cbranch_execnz .LBB86_31
.LBB86_24:                              ;   in Loop: Header=BB86_10 Depth=1
	s_or_b32 exec_lo, exec_lo, s19
	s_and_saveexec_b32 s19, s6
	s_cbranch_execnz .LBB86_32
.LBB86_25:                              ;   in Loop: Header=BB86_10 Depth=1
	s_or_b32 exec_lo, exec_lo, s19
	s_and_saveexec_b32 s19, s7
	s_cbranch_execnz .LBB86_33
.LBB86_26:                              ;   in Loop: Header=BB86_10 Depth=1
	s_or_b32 exec_lo, exec_lo, s19
	s_and_saveexec_b32 s19, s2
	s_cbranch_execz .LBB86_8
	s_branch .LBB86_34
.LBB86_27:                              ;   in Loop: Header=BB86_10 Depth=1
	ds_load_b64 v[32:33], v51
	v_add_co_u32 v34, s0, v27, v11
	s_delay_alu instid0(VALU_DEP_1) | instskip(SKIP_1) | instid1(VALU_DEP_1)
	v_add_co_ci_u32_e64 v35, s0, v28, v12, s0
	v_add_co_u32 v36, s0, v29, v31
	v_add_co_ci_u32_e64 v37, s0, 0, v30, s0
	s_delay_alu instid0(VALU_DEP_1)
	v_dual_cndmask_b32 v34, v34, v36 :: v_dual_cndmask_b32 v35, v35, v37
	s_waitcnt lgkmcnt(0)
	global_store_b64 v[34:35], v[32:33], off
	s_or_b32 exec_lo, exec_lo, s19
	s_and_saveexec_b32 s19, s25
	s_cbranch_execz .LBB86_21
.LBB86_28:                              ;   in Loop: Header=BB86_10 Depth=1
	v_add_co_u32 v34, s0, v29, v31
	ds_load_b64 v[32:33], v51 offset:16
	v_add_co_ci_u32_e64 v35, s0, 0, v30, s0
	v_add_co_u32 v34, s0, v34, 16
	s_delay_alu instid0(VALU_DEP_1) | instskip(SKIP_1) | instid1(VALU_DEP_1)
	v_add_co_ci_u32_e64 v35, s0, 0, v35, s0
	v_add_co_u32 v36, s0, v27, v13
	v_add_co_ci_u32_e64 v37, s0, v28, v14, s0
	s_delay_alu instid0(VALU_DEP_1)
	v_dual_cndmask_b32 v34, v36, v34 :: v_dual_cndmask_b32 v35, v37, v35
	s_waitcnt lgkmcnt(0)
	global_store_b64 v[34:35], v[32:33], off
	s_or_b32 exec_lo, exec_lo, s19
	s_and_saveexec_b32 s19, s3
	s_cbranch_execz .LBB86_22
.LBB86_29:                              ;   in Loop: Header=BB86_10 Depth=1
	v_add_co_u32 v34, s0, v29, v31
	ds_load_b64 v[32:33], v51 offset:32
	v_add_co_ci_u32_e64 v35, s0, 0, v30, s0
	v_add_co_u32 v34, s0, v34, 32
	s_delay_alu instid0(VALU_DEP_1) | instskip(SKIP_1) | instid1(VALU_DEP_1)
	v_add_co_ci_u32_e64 v35, s0, 0, v35, s0
	v_add_co_u32 v36, s0, v27, v15
	v_add_co_ci_u32_e64 v37, s0, v28, v16, s0
	s_delay_alu instid0(VALU_DEP_1)
	v_dual_cndmask_b32 v34, v36, v34 :: v_dual_cndmask_b32 v35, v37, v35
	s_waitcnt lgkmcnt(0)
	global_store_b64 v[34:35], v[32:33], off
	s_or_b32 exec_lo, exec_lo, s19
	s_and_saveexec_b32 s19, s4
	s_cbranch_execz .LBB86_23
.LBB86_30:                              ;   in Loop: Header=BB86_10 Depth=1
	v_add_co_u32 v34, s0, v29, v31
	ds_load_b64 v[32:33], v51 offset:48
	v_add_co_ci_u32_e64 v35, s0, 0, v30, s0
	v_add_co_u32 v34, s0, v34, 48
	s_delay_alu instid0(VALU_DEP_1) | instskip(SKIP_1) | instid1(VALU_DEP_1)
	v_add_co_ci_u32_e64 v35, s0, 0, v35, s0
	v_add_co_u32 v36, s0, v27, v17
	v_add_co_ci_u32_e64 v37, s0, v28, v18, s0
	s_delay_alu instid0(VALU_DEP_1)
	v_dual_cndmask_b32 v34, v36, v34 :: v_dual_cndmask_b32 v35, v37, v35
	s_waitcnt lgkmcnt(0)
	global_store_b64 v[34:35], v[32:33], off
	s_or_b32 exec_lo, exec_lo, s19
	s_and_saveexec_b32 s19, s5
	s_cbranch_execz .LBB86_24
.LBB86_31:                              ;   in Loop: Header=BB86_10 Depth=1
	v_add_co_u32 v34, s0, v29, v31
	ds_load_b64 v[32:33], v51 offset:64
	v_add_co_ci_u32_e64 v35, s0, 0, v30, s0
	v_add_co_u32 v34, s0, v34, 64
	s_delay_alu instid0(VALU_DEP_1) | instskip(SKIP_1) | instid1(VALU_DEP_1)
	v_add_co_ci_u32_e64 v35, s0, 0, v35, s0
	v_add_co_u32 v36, s0, v27, v19
	v_add_co_ci_u32_e64 v37, s0, v28, v20, s0
	s_delay_alu instid0(VALU_DEP_1)
	v_dual_cndmask_b32 v34, v36, v34 :: v_dual_cndmask_b32 v35, v37, v35
	s_waitcnt lgkmcnt(0)
	global_store_b64 v[34:35], v[32:33], off
	s_or_b32 exec_lo, exec_lo, s19
	s_and_saveexec_b32 s19, s6
	s_cbranch_execz .LBB86_25
.LBB86_32:                              ;   in Loop: Header=BB86_10 Depth=1
	v_add_co_u32 v34, s0, v29, v31
	ds_load_b64 v[32:33], v51 offset:80
	v_add_co_ci_u32_e64 v35, s0, 0, v30, s0
	v_add_co_u32 v34, s0, 0x50, v34
	s_delay_alu instid0(VALU_DEP_1) | instskip(SKIP_1) | instid1(VALU_DEP_1)
	v_add_co_ci_u32_e64 v35, s0, 0, v35, s0
	v_add_co_u32 v36, s0, v27, v21
	v_add_co_ci_u32_e64 v37, s0, v28, v22, s0
	s_delay_alu instid0(VALU_DEP_1)
	v_dual_cndmask_b32 v34, v36, v34 :: v_dual_cndmask_b32 v35, v37, v35
	s_waitcnt lgkmcnt(0)
	global_store_b64 v[34:35], v[32:33], off
	s_or_b32 exec_lo, exec_lo, s19
	s_and_saveexec_b32 s19, s7
	s_cbranch_execz .LBB86_26
.LBB86_33:                              ;   in Loop: Header=BB86_10 Depth=1
	v_add_co_u32 v34, s0, v29, v31
	ds_load_b64 v[32:33], v51 offset:96
	v_add_co_ci_u32_e64 v35, s0, 0, v30, s0
	v_add_co_u32 v34, s0, 0x60, v34
	s_delay_alu instid0(VALU_DEP_1) | instskip(SKIP_1) | instid1(VALU_DEP_1)
	v_add_co_ci_u32_e64 v35, s0, 0, v35, s0
	v_add_co_u32 v36, s0, v27, v23
	v_add_co_ci_u32_e64 v37, s0, v28, v24, s0
	s_delay_alu instid0(VALU_DEP_1)
	v_dual_cndmask_b32 v34, v36, v34 :: v_dual_cndmask_b32 v35, v37, v35
	s_waitcnt lgkmcnt(0)
	global_store_b64 v[34:35], v[32:33], off
	s_or_b32 exec_lo, exec_lo, s19
	s_and_saveexec_b32 s19, s2
	s_cbranch_execz .LBB86_8
.LBB86_34:                              ;   in Loop: Header=BB86_10 Depth=1
	v_add_co_u32 v31, s0, v29, v31
	s_delay_alu instid0(VALU_DEP_1) | instskip(SKIP_2) | instid1(VALU_DEP_1)
	v_add_co_ci_u32_e64 v32, s0, 0, v30, s0
	ds_load_b64 v[29:30], v51 offset:112
	v_add_co_u32 v31, s0, 0x70, v31
	v_add_co_ci_u32_e64 v32, s0, 0, v32, s0
	v_add_co_u32 v27, s0, v27, v25
	s_delay_alu instid0(VALU_DEP_1) | instskip(NEXT) | instid1(VALU_DEP_1)
	v_add_co_ci_u32_e64 v28, s0, v28, v26, s0
	v_dual_cndmask_b32 v27, v27, v31 :: v_dual_cndmask_b32 v28, v28, v32
	s_waitcnt lgkmcnt(0)
	global_store_b64 v[27:28], v[29:30], off
	s_branch .LBB86_8
.LBB86_35:
	s_endpgm
	.section	.rodata,"a",@progbits
	.p2align	6, 0x0
	.amdhsa_kernel _ZN9rocsparseL42csr2bsr_wavefront_per_row_multipass_kernelILj256ELj32ELj16E21rocsparse_complex_numIfEliEEv20rocsparse_direction_T4_S4_S4_S4_S4_21rocsparse_index_base_PKT2_PKT3_PKS4_S5_PS6_PS9_PS4_
		.amdhsa_group_segment_fixed_size 16392
		.amdhsa_private_segment_fixed_size 0
		.amdhsa_kernarg_size 88
		.amdhsa_user_sgpr_count 15
		.amdhsa_user_sgpr_dispatch_ptr 0
		.amdhsa_user_sgpr_queue_ptr 0
		.amdhsa_user_sgpr_kernarg_segment_ptr 1
		.amdhsa_user_sgpr_dispatch_id 0
		.amdhsa_user_sgpr_private_segment_size 0
		.amdhsa_wavefront_size32 1
		.amdhsa_uses_dynamic_stack 0
		.amdhsa_enable_private_segment 0
		.amdhsa_system_sgpr_workgroup_id_x 1
		.amdhsa_system_sgpr_workgroup_id_y 0
		.amdhsa_system_sgpr_workgroup_id_z 0
		.amdhsa_system_sgpr_workgroup_info 0
		.amdhsa_system_vgpr_workitem_id 0
		.amdhsa_next_free_vgpr 57
		.amdhsa_next_free_sgpr 28
		.amdhsa_reserve_vcc 1
		.amdhsa_float_round_mode_32 0
		.amdhsa_float_round_mode_16_64 0
		.amdhsa_float_denorm_mode_32 3
		.amdhsa_float_denorm_mode_16_64 3
		.amdhsa_dx10_clamp 1
		.amdhsa_ieee_mode 1
		.amdhsa_fp16_overflow 0
		.amdhsa_workgroup_processor_mode 1
		.amdhsa_memory_ordered 1
		.amdhsa_forward_progress 0
		.amdhsa_shared_vgpr_count 0
		.amdhsa_exception_fp_ieee_invalid_op 0
		.amdhsa_exception_fp_denorm_src 0
		.amdhsa_exception_fp_ieee_div_zero 0
		.amdhsa_exception_fp_ieee_overflow 0
		.amdhsa_exception_fp_ieee_underflow 0
		.amdhsa_exception_fp_ieee_inexact 0
		.amdhsa_exception_int_div_zero 0
	.end_amdhsa_kernel
	.section	.text._ZN9rocsparseL42csr2bsr_wavefront_per_row_multipass_kernelILj256ELj32ELj16E21rocsparse_complex_numIfEliEEv20rocsparse_direction_T4_S4_S4_S4_S4_21rocsparse_index_base_PKT2_PKT3_PKS4_S5_PS6_PS9_PS4_,"axG",@progbits,_ZN9rocsparseL42csr2bsr_wavefront_per_row_multipass_kernelILj256ELj32ELj16E21rocsparse_complex_numIfEliEEv20rocsparse_direction_T4_S4_S4_S4_S4_21rocsparse_index_base_PKT2_PKT3_PKS4_S5_PS6_PS9_PS4_,comdat
.Lfunc_end86:
	.size	_ZN9rocsparseL42csr2bsr_wavefront_per_row_multipass_kernelILj256ELj32ELj16E21rocsparse_complex_numIfEliEEv20rocsparse_direction_T4_S4_S4_S4_S4_21rocsparse_index_base_PKT2_PKT3_PKS4_S5_PS6_PS9_PS4_, .Lfunc_end86-_ZN9rocsparseL42csr2bsr_wavefront_per_row_multipass_kernelILj256ELj32ELj16E21rocsparse_complex_numIfEliEEv20rocsparse_direction_T4_S4_S4_S4_S4_21rocsparse_index_base_PKT2_PKT3_PKS4_S5_PS6_PS9_PS4_
                                        ; -- End function
	.section	.AMDGPU.csdata,"",@progbits
; Kernel info:
; codeLenInByte = 2832
; NumSgprs: 30
; NumVgprs: 57
; ScratchSize: 0
; MemoryBound: 0
; FloatMode: 240
; IeeeMode: 1
; LDSByteSize: 16392 bytes/workgroup (compile time only)
; SGPRBlocks: 3
; VGPRBlocks: 7
; NumSGPRsForWavesPerEU: 30
; NumVGPRsForWavesPerEU: 57
; Occupancy: 14
; WaveLimiterHint : 0
; COMPUTE_PGM_RSRC2:SCRATCH_EN: 0
; COMPUTE_PGM_RSRC2:USER_SGPR: 15
; COMPUTE_PGM_RSRC2:TRAP_HANDLER: 0
; COMPUTE_PGM_RSRC2:TGID_X_EN: 1
; COMPUTE_PGM_RSRC2:TGID_Y_EN: 0
; COMPUTE_PGM_RSRC2:TGID_Z_EN: 0
; COMPUTE_PGM_RSRC2:TIDIG_COMP_CNT: 0
	.section	.text._ZN9rocsparseL38csr2bsr_block_per_row_multipass_kernelILj256ELj32E21rocsparse_complex_numIfEliEEv20rocsparse_direction_T3_S4_S4_S4_S4_21rocsparse_index_base_PKT1_PKT2_PKS4_S5_PS6_PS9_PS4_,"axG",@progbits,_ZN9rocsparseL38csr2bsr_block_per_row_multipass_kernelILj256ELj32E21rocsparse_complex_numIfEliEEv20rocsparse_direction_T3_S4_S4_S4_S4_21rocsparse_index_base_PKT1_PKT2_PKS4_S5_PS6_PS9_PS4_,comdat
	.globl	_ZN9rocsparseL38csr2bsr_block_per_row_multipass_kernelILj256ELj32E21rocsparse_complex_numIfEliEEv20rocsparse_direction_T3_S4_S4_S4_S4_21rocsparse_index_base_PKT1_PKT2_PKS4_S5_PS6_PS9_PS4_ ; -- Begin function _ZN9rocsparseL38csr2bsr_block_per_row_multipass_kernelILj256ELj32E21rocsparse_complex_numIfEliEEv20rocsparse_direction_T3_S4_S4_S4_S4_21rocsparse_index_base_PKT1_PKT2_PKS4_S5_PS6_PS9_PS4_
	.p2align	8
	.type	_ZN9rocsparseL38csr2bsr_block_per_row_multipass_kernelILj256ELj32E21rocsparse_complex_numIfEliEEv20rocsparse_direction_T3_S4_S4_S4_S4_21rocsparse_index_base_PKT1_PKT2_PKS4_S5_PS6_PS9_PS4_,@function
_ZN9rocsparseL38csr2bsr_block_per_row_multipass_kernelILj256ELj32E21rocsparse_complex_numIfEliEEv20rocsparse_direction_T3_S4_S4_S4_S4_21rocsparse_index_base_PKT1_PKT2_PKS4_S5_PS6_PS9_PS4_: ; @_ZN9rocsparseL38csr2bsr_block_per_row_multipass_kernelILj256ELj32E21rocsparse_complex_numIfEliEEv20rocsparse_direction_T3_S4_S4_S4_S4_21rocsparse_index_base_PKT1_PKT2_PKS4_S5_PS6_PS9_PS4_
; %bb.0:
	s_clause 0x1
	s_load_b128 s[16:19], s[0:1], 0x10
	s_load_b64 s[8:9], s[0:1], 0x0
	v_lshrrev_b32_e32 v3, 3, v0
	s_load_b64 s[6:7], s[0:1], 0x28
	s_mov_b32 s4, s15
	v_mov_b32_e32 v1, 0
	v_mov_b32_e32 v2, 0
	s_delay_alu instid0(VALU_DEP_1) | instskip(SKIP_3) | instid1(VALU_DEP_2)
	v_dual_mov_b32 v12, v2 :: v_dual_mov_b32 v11, v1
	s_waitcnt lgkmcnt(0)
	v_mad_u64_u32 v[4:5], null, s4, s17, v[3:4]
	v_cmp_gt_i32_e32 vcc_lo, s17, v3
	v_cmp_gt_i32_e64 s2, s9, v4
	s_delay_alu instid0(VALU_DEP_1) | instskip(NEXT) | instid1(SALU_CYCLE_1)
	s_and_b32 s3, vcc_lo, s2
	s_and_saveexec_b32 s5, s3
	s_cbranch_execnz .LBB87_3
; %bb.1:
	s_or_b32 exec_lo, exec_lo, s5
	s_and_saveexec_b32 s5, s3
	s_cbranch_execnz .LBB87_4
.LBB87_2:
	s_or_b32 exec_lo, exec_lo, s5
	s_cmp_lt_i32 s16, 1
	s_cbranch_scc0 .LBB87_5
	s_branch .LBB87_41
.LBB87_3:
	v_ashrrev_i32_e32 v5, 31, v4
	s_delay_alu instid0(VALU_DEP_1) | instskip(NEXT) | instid1(VALU_DEP_1)
	v_lshlrev_b64 v[5:6], 3, v[4:5]
	v_add_co_u32 v5, s2, s6, v5
	s_delay_alu instid0(VALU_DEP_1) | instskip(SKIP_3) | instid1(VALU_DEP_1)
	v_add_co_ci_u32_e64 v6, s2, s7, v6, s2
	global_load_b64 v[5:6], v[5:6], off
	s_waitcnt vmcnt(0)
	v_sub_co_u32 v11, s2, v5, s18
	v_subrev_co_ci_u32_e64 v12, s2, 0, v6, s2
	s_or_b32 exec_lo, exec_lo, s5
	s_and_saveexec_b32 s5, s3
	s_cbranch_execz .LBB87_2
.LBB87_4:
	v_ashrrev_i32_e32 v5, 31, v4
	s_delay_alu instid0(VALU_DEP_1) | instskip(NEXT) | instid1(VALU_DEP_1)
	v_lshlrev_b64 v[1:2], 3, v[4:5]
	v_add_co_u32 v1, s2, s6, v1
	s_delay_alu instid0(VALU_DEP_1) | instskip(SKIP_3) | instid1(VALU_DEP_1)
	v_add_co_ci_u32_e64 v2, s2, s7, v2, s2
	global_load_b64 v[1:2], v[1:2], off offset:8
	s_waitcnt vmcnt(0)
	v_sub_co_u32 v1, s2, v1, s18
	v_subrev_co_ci_u32_e64 v2, s2, 0, v2, s2
	s_or_b32 exec_lo, exec_lo, s5
	s_cmp_lt_i32 s16, 1
	s_cbranch_scc1 .LBB87_41
.LBB87_5:
	s_clause 0x4
	s_load_b128 s[20:23], s[0:1], 0x40
	s_load_b64 s[14:15], s[0:1], 0x50
	s_load_b64 s[24:25], s[0:1], 0x20
	;; [unrolled: 1-line block ×3, first 2 shown]
	s_load_b32 s19, s[0:1], 0x38
	s_ashr_i32 s5, s4, 31
	v_mbcnt_lo_u32_b32 v7, -1, 0
	s_lshl_b64 s[0:1], s[4:5], 3
	s_mov_b32 s10, 0
	v_dual_mov_b32 v17, 0 :: v_dual_and_b32 v28, 7, v0
	s_delay_alu instid0(VALU_DEP_2) | instskip(SKIP_2) | instid1(VALU_DEP_3)
	v_xor_b32_e32 v8, 4, v7
	s_mov_b32 s11, s10
	v_dual_mov_b32 v5, s10 :: v_dual_lshlrev_b32 v30, 2, v0
	v_dual_mov_b32 v6, s11 :: v_dual_lshlrev_b32 v21, 3, v28
	v_xor_b32_e32 v13, 2, v7
	v_cmp_gt_i32_e64 s10, 32, v8
	v_xor_b32_e32 v15, 1, v7
	s_waitcnt lgkmcnt(0)
	s_add_u32 s0, s22, s0
	s_addc_u32 s1, s23, s1
	v_dual_mov_b32 v4, 0 :: v_dual_lshlrev_b32 v29, 5, v3
	s_load_b64 s[12:13], s[0:1], 0x0
	v_cndmask_b32_e64 v8, v7, v8, s10
	v_cmp_gt_i32_e64 s10, 32, v13
	v_dual_mov_b32 v18, 0 :: v_dual_lshlrev_b32 v9, 3, v3
	v_mul_lo_u32 v3, v3, s17
	v_cmp_gt_u32_e64 s0, 0x80, v0
	s_delay_alu instid0(VALU_DEP_4)
	v_cndmask_b32_e64 v13, v7, v13, s10
	v_cmp_gt_i32_e64 s10, 32, v15
	v_cmp_gt_u32_e64 s1, 64, v0
	v_cmp_gt_u32_e64 s2, 32, v0
	;; [unrolled: 1-line block ×6, first 2 shown]
	v_cmp_eq_u32_e64 s7, 0, v0
	v_lshl_or_b32 v0, v7, 2, 28
	v_or_b32_e32 v22, v29, v28
	v_cndmask_b32_e64 v7, v7, v15, s10
	v_lshlrev_b64 v[19:20], 3, v[3:4]
	s_waitcnt lgkmcnt(0)
	s_sub_u32 s22, s12, s19
	s_subb_u32 s23, s13, 0
	s_cmp_eq_u32 s8, 0
	v_mul_lo_u32 v3, v28, s17
	s_cselect_b32 s8, -1, 0
	s_abs_i32 s30, s17
	v_dual_mov_b32 v10, v4 :: v_dual_lshlrev_b32 v31, 3, v22
	v_cvt_f32_u32_e32 v25, s30
	s_sub_i32 s13, 0, s30
	s_lshl_b32 s31, s17, 3
	v_dual_mov_b32 v16, v4 :: v_dual_lshlrev_b32 v33, 2, v13
	s_delay_alu instid0(VALU_DEP_2)
	v_rcp_iflag_f32_e32 v25, v25
	v_mov_b32_e32 v14, v4
	v_dual_mov_b32 v39, 1 :: v_dual_lshlrev_b32 v32, 2, v8
	v_lshlrev_b32_e32 v34, 2, v7
	v_lshlrev_b64 v[7:8], 3, v[3:4]
	v_or_b32_e32 v23, 8, v28
	v_or_b32_e32 v24, 16, v28
	;; [unrolled: 1-line block ×3, first 2 shown]
	v_cmp_gt_u32_e64 s9, s17, v28
	s_delay_alu instid0(TRANS32_DEP_1)
	v_mul_f32_e32 v15, 0x4f7ffffe, v25
	v_cmp_gt_u32_e64 s10, s17, v23
	v_cmp_gt_u32_e64 s11, s17, v24
	;; [unrolled: 1-line block ×3, first 2 shown]
	s_mul_hi_u32 s28, s17, s17
	v_cvt_u32_f32_e32 v22, v15
	s_mul_i32 s29, s17, s17
	s_delay_alu instid0(VALU_DEP_2) | instskip(NEXT) | instid1(VALU_DEP_1)
	s_and_b32 s12, vcc_lo, s12
	v_mul_lo_u32 v15, s13, v22
	v_add_co_u32 v35, s13, s20, v9
	v_add_nc_u32_e32 v9, s31, v3
	v_add_co_ci_u32_e64 v36, null, s21, 0, s13
	v_add_co_u32 v3, s13, s20, v19
	s_delay_alu instid0(VALU_DEP_3) | instskip(SKIP_2) | instid1(VALU_DEP_4)
	v_add_nc_u32_e32 v13, s31, v9
	v_add_co_ci_u32_e64 v19, s13, s21, v20, s13
	v_mul_hi_u32 v20, v22, v15
	v_add_co_u32 v3, s13, v3, v21
	s_delay_alu instid0(VALU_DEP_4) | instskip(SKIP_3) | instid1(VALU_DEP_4)
	v_add_nc_u32_e32 v15, s31, v13
	v_lshlrev_b64 v[9:10], 3, v[9:10]
	v_lshlrev_b64 v[13:14], 3, v[13:14]
	v_add_co_ci_u32_e64 v37, s13, 0, v19, s13
	v_lshlrev_b64 v[15:16], 3, v[15:16]
	v_add_nc_u32_e32 v38, v22, v20
	s_and_b32 s13, vcc_lo, s9
	s_and_b32 s20, vcc_lo, s10
	;; [unrolled: 1-line block ×3, first 2 shown]
	s_ashr_i32 s31, s17, 31
	s_branch .LBB87_7
.LBB87_6:                               ;   in Loop: Header=BB87_7 Depth=1
	s_or_b32 exec_lo, exec_lo, s9
	s_waitcnt lgkmcnt(0)
	s_barrier
	buffer_gl0_inv
	ds_load_b32 v17, v4
	s_add_u32 s22, s10, s22
	s_addc_u32 s23, s11, s23
	s_waitcnt lgkmcnt(0)
	s_barrier
	buffer_gl0_inv
	v_cmp_gt_i32_e32 vcc_lo, s16, v17
	v_ashrrev_i32_e32 v18, 31, v17
	s_cbranch_vccz .LBB87_41
.LBB87_7:                               ; =>This Loop Header: Depth=1
                                        ;     Child Loop BB87_10 Depth 2
	v_add_co_u32 v11, vcc_lo, v11, v28
	v_mov_b32_e32 v24, v2
	v_add_co_ci_u32_e32 v12, vcc_lo, 0, v12, vcc_lo
	v_dual_mov_b32 v40, s16 :: v_dual_mov_b32 v23, v1
	s_mov_b32 s10, exec_lo
	ds_store_b8 v4, v4 offset:8192
	ds_store_2addr_b64 v31, v[5:6], v[5:6] offset1:8
	ds_store_2addr_b64 v31, v[5:6], v[5:6] offset0:16 offset1:24
	s_waitcnt lgkmcnt(0)
	s_barrier
	buffer_gl0_inv
	v_cmpx_lt_i64_e64 v[11:12], v[1:2]
	s_cbranch_execz .LBB87_15
; %bb.8:                                ;   in Loop: Header=BB87_7 Depth=1
	v_lshlrev_b64 v[19:20], 3, v[11:12]
	v_lshlrev_b64 v[21:22], 2, v[11:12]
	v_mov_b32_e32 v24, v2
	v_dual_mov_b32 v40, s16 :: v_dual_mov_b32 v23, v1
	s_mov_b32 s11, 0
	s_delay_alu instid0(VALU_DEP_4)
	v_add_co_u32 v19, vcc_lo, s24, v19
	v_add_co_ci_u32_e32 v20, vcc_lo, s25, v20, vcc_lo
	v_add_co_u32 v21, vcc_lo, s26, v21
	v_add_co_ci_u32_e32 v22, vcc_lo, s27, v22, vcc_lo
	s_branch .LBB87_10
.LBB87_9:                               ;   in Loop: Header=BB87_10 Depth=2
	s_or_b32 exec_lo, exec_lo, s9
	v_add_co_u32 v11, s9, v11, 8
	s_delay_alu instid0(VALU_DEP_1) | instskip(SKIP_2) | instid1(VALU_DEP_2)
	v_add_co_ci_u32_e64 v12, s9, 0, v12, s9
	s_xor_b32 s33, vcc_lo, -1
	v_add_co_u32 v19, vcc_lo, v19, 64
	v_cmp_ge_i64_e64 s9, v[11:12], v[1:2]
	v_add_co_ci_u32_e32 v20, vcc_lo, 0, v20, vcc_lo
	v_add_co_u32 v21, vcc_lo, v21, 32
	v_add_co_ci_u32_e32 v22, vcc_lo, 0, v22, vcc_lo
	s_delay_alu instid0(VALU_DEP_4) | instskip(NEXT) | instid1(SALU_CYCLE_1)
	s_or_b32 s9, s33, s9
	s_and_b32 s9, exec_lo, s9
	s_delay_alu instid0(SALU_CYCLE_1) | instskip(NEXT) | instid1(SALU_CYCLE_1)
	s_or_b32 s11, s9, s11
	s_and_not1_b32 exec_lo, exec_lo, s11
	s_cbranch_execz .LBB87_14
.LBB87_10:                              ;   Parent Loop BB87_7 Depth=1
                                        ; =>  This Inner Loop Header: Depth=2
	global_load_b32 v25, v[21:22], off
	s_waitcnt vmcnt(0)
	v_subrev_nc_u32_e32 v41, s18, v25
	s_delay_alu instid0(VALU_DEP_1) | instskip(NEXT) | instid1(VALU_DEP_1)
	v_sub_nc_u32_e32 v25, 0, v41
	v_max_i32_e32 v25, v41, v25
	s_delay_alu instid0(VALU_DEP_1) | instskip(NEXT) | instid1(VALU_DEP_1)
	v_mul_hi_u32 v26, v25, v38
	v_mul_lo_u32 v27, v26, s30
	s_delay_alu instid0(VALU_DEP_1) | instskip(SKIP_1) | instid1(VALU_DEP_2)
	v_sub_nc_u32_e32 v25, v25, v27
	v_add_nc_u32_e32 v27, 1, v26
	v_subrev_nc_u32_e32 v42, s30, v25
	v_cmp_le_u32_e32 vcc_lo, s30, v25
	s_delay_alu instid0(VALU_DEP_2) | instskip(SKIP_1) | instid1(VALU_DEP_2)
	v_dual_cndmask_b32 v26, v26, v27 :: v_dual_cndmask_b32 v25, v25, v42
	v_ashrrev_i32_e32 v27, 31, v41
	v_add_nc_u32_e32 v42, 1, v26
	s_delay_alu instid0(VALU_DEP_3) | instskip(NEXT) | instid1(VALU_DEP_3)
	v_cmp_le_u32_e32 vcc_lo, s30, v25
	v_xor_b32_e32 v27, s31, v27
	s_delay_alu instid0(VALU_DEP_3) | instskip(NEXT) | instid1(VALU_DEP_1)
	v_cndmask_b32_e32 v25, v26, v42, vcc_lo
	v_xor_b32_e32 v25, v25, v27
	s_delay_alu instid0(VALU_DEP_1) | instskip(NEXT) | instid1(VALU_DEP_1)
	v_sub_nc_u32_e32 v25, v25, v27
	v_ashrrev_i32_e32 v26, 31, v25
	s_delay_alu instid0(VALU_DEP_1) | instskip(SKIP_2) | instid1(VALU_DEP_2)
	v_cmp_eq_u64_e32 vcc_lo, v[17:18], v[25:26]
	v_cmp_ne_u64_e64 s9, v[17:18], v[25:26]
	v_dual_mov_b32 v27, v24 :: v_dual_mov_b32 v26, v23
	s_and_saveexec_b32 s33, s9
	s_delay_alu instid0(SALU_CYCLE_1)
	s_xor_b32 s9, exec_lo, s33
; %bb.11:                               ;   in Loop: Header=BB87_10 Depth=2
	v_min_i32_e32 v40, v25, v40
                                        ; implicit-def: $vgpr25
                                        ; implicit-def: $vgpr41
                                        ; implicit-def: $vgpr26_vgpr27
; %bb.12:                               ;   in Loop: Header=BB87_10 Depth=2
	s_or_saveexec_b32 s9, s9
	v_dual_mov_b32 v24, v12 :: v_dual_mov_b32 v23, v11
	s_xor_b32 exec_lo, exec_lo, s9
	s_cbranch_execz .LBB87_9
; %bb.13:                               ;   in Loop: Header=BB87_10 Depth=2
	global_load_b64 v[42:43], v[19:20], off
	v_mul_lo_u32 v23, v25, s17
	s_delay_alu instid0(VALU_DEP_1) | instskip(NEXT) | instid1(VALU_DEP_1)
	v_sub_nc_u32_e32 v23, v41, v23
	v_add_lshl_u32 v25, v23, v29, 3
	v_dual_mov_b32 v23, v26 :: v_dual_mov_b32 v24, v27
	ds_store_b8 v4, v39 offset:8192
	s_waitcnt vmcnt(0)
	ds_store_b64 v25, v[42:43]
	s_branch .LBB87_9
.LBB87_14:                              ;   in Loop: Header=BB87_7 Depth=1
	s_or_b32 exec_lo, exec_lo, s11
.LBB87_15:                              ;   in Loop: Header=BB87_7 Depth=1
	s_delay_alu instid0(SALU_CYCLE_1)
	s_or_b32 exec_lo, exec_lo, s10
	ds_bpermute_b32 v11, v32, v23
	ds_bpermute_b32 v12, v32, v24
	s_waitcnt lgkmcnt(0)
	s_barrier
	buffer_gl0_inv
	ds_load_u8 v20, v4 offset:8192
	s_mov_b64 s[10:11], 0
	v_cmp_lt_i64_e32 vcc_lo, v[11:12], v[23:24]
	v_dual_cndmask_b32 v12, v24, v12 :: v_dual_cndmask_b32 v11, v23, v11
	ds_bpermute_b32 v19, v33, v12
	ds_bpermute_b32 v18, v33, v11
	s_waitcnt lgkmcnt(0)
	v_cmp_lt_i64_e32 vcc_lo, v[18:19], v[11:12]
	v_dual_cndmask_b32 v12, v12, v19 :: v_dual_cndmask_b32 v11, v11, v18
	ds_bpermute_b32 v19, v34, v12
	ds_bpermute_b32 v18, v34, v11
	s_waitcnt lgkmcnt(0)
	v_cmp_lt_i64_e32 vcc_lo, v[18:19], v[11:12]
	v_dual_cndmask_b32 v12, v12, v19 :: v_dual_cndmask_b32 v11, v11, v18
	v_cmp_eq_u32_e32 vcc_lo, 0, v20
	ds_bpermute_b32 v12, v0, v12
	ds_bpermute_b32 v11, v0, v11
	s_cbranch_vccnz .LBB87_22
; %bb.16:                               ;   in Loop: Header=BB87_7 Depth=1
	s_lshl_b64 s[10:11], s[22:23], 2
	s_mul_i32 s9, s29, s23
	s_mul_hi_u32 s33, s29, s22
	s_add_u32 s10, s14, s10
	s_addc_u32 s11, s15, s11
	s_add_i32 s9, s33, s9
	s_mul_i32 s33, s28, s22
	s_mul_i32 s34, s29, s22
	s_add_i32 s35, s9, s33
	v_add_nc_u32_e32 v21, s19, v17
	s_lshl_b64 s[34:35], s[34:35], 3
	s_delay_alu instid0(SALU_CYCLE_1)
	v_add_co_u32 v17, vcc_lo, v35, s34
	v_add_co_ci_u32_e32 v18, vcc_lo, s35, v36, vcc_lo
	v_add_co_u32 v19, vcc_lo, v3, s34
	v_add_co_ci_u32_e32 v20, vcc_lo, s35, v37, vcc_lo
	global_store_b32 v4, v21, s[10:11]
	s_and_saveexec_b32 s9, s13
	s_cbranch_execnz .LBB87_38
; %bb.17:                               ;   in Loop: Header=BB87_7 Depth=1
	s_or_b32 exec_lo, exec_lo, s9
	s_and_saveexec_b32 s9, s20
	s_cbranch_execnz .LBB87_39
.LBB87_18:                              ;   in Loop: Header=BB87_7 Depth=1
	s_or_b32 exec_lo, exec_lo, s9
	s_and_saveexec_b32 s9, s21
	s_cbranch_execnz .LBB87_40
.LBB87_19:                              ;   in Loop: Header=BB87_7 Depth=1
	s_or_b32 exec_lo, exec_lo, s9
	s_and_saveexec_b32 s9, s12
	s_cbranch_execz .LBB87_21
.LBB87_20:                              ;   in Loop: Header=BB87_7 Depth=1
	ds_load_b64 v[21:22], v31 offset:192
	v_add_co_u32 v19, vcc_lo, 0xc0, v19
	v_add_co_ci_u32_e32 v20, vcc_lo, 0, v20, vcc_lo
	v_add_co_u32 v17, vcc_lo, v17, v15
	v_add_co_ci_u32_e32 v18, vcc_lo, v18, v16, vcc_lo
	s_delay_alu instid0(VALU_DEP_2) | instskip(NEXT) | instid1(VALU_DEP_2)
	v_cndmask_b32_e64 v17, v17, v19, s8
	v_cndmask_b32_e64 v18, v18, v20, s8
	s_waitcnt lgkmcnt(0)
	global_store_b64 v[17:18], v[21:22], off
.LBB87_21:                              ;   in Loop: Header=BB87_7 Depth=1
	s_or_b32 exec_lo, exec_lo, s9
	s_mov_b64 s[10:11], 1
.LBB87_22:                              ;   in Loop: Header=BB87_7 Depth=1
	s_waitcnt lgkmcnt(0)
	s_waitcnt_vscnt null, 0x0
	s_barrier
	buffer_gl0_inv
	ds_store_b32 v30, v40
	s_waitcnt lgkmcnt(0)
	s_barrier
	buffer_gl0_inv
	s_and_saveexec_b32 s9, s0
	s_cbranch_execz .LBB87_24
; %bb.23:                               ;   in Loop: Header=BB87_7 Depth=1
	ds_load_2addr_stride64_b32 v[17:18], v30 offset1:2
	s_waitcnt lgkmcnt(0)
	v_min_i32_e32 v17, v18, v17
	ds_store_b32 v30, v17
.LBB87_24:                              ;   in Loop: Header=BB87_7 Depth=1
	s_or_b32 exec_lo, exec_lo, s9
	s_waitcnt lgkmcnt(0)
	s_barrier
	buffer_gl0_inv
	s_and_saveexec_b32 s9, s1
	s_cbranch_execz .LBB87_26
; %bb.25:                               ;   in Loop: Header=BB87_7 Depth=1
	ds_load_2addr_stride64_b32 v[17:18], v30 offset1:1
	s_waitcnt lgkmcnt(0)
	v_min_i32_e32 v17, v18, v17
	ds_store_b32 v30, v17
.LBB87_26:                              ;   in Loop: Header=BB87_7 Depth=1
	s_or_b32 exec_lo, exec_lo, s9
	s_waitcnt lgkmcnt(0)
	s_barrier
	buffer_gl0_inv
	s_and_saveexec_b32 s9, s2
	s_cbranch_execz .LBB87_28
; %bb.27:                               ;   in Loop: Header=BB87_7 Depth=1
	ds_load_2addr_b32 v[17:18], v30 offset1:32
	s_waitcnt lgkmcnt(0)
	v_min_i32_e32 v17, v18, v17
	ds_store_b32 v30, v17
.LBB87_28:                              ;   in Loop: Header=BB87_7 Depth=1
	s_or_b32 exec_lo, exec_lo, s9
	s_waitcnt lgkmcnt(0)
	s_barrier
	buffer_gl0_inv
	s_and_saveexec_b32 s9, s3
	s_cbranch_execz .LBB87_30
; %bb.29:                               ;   in Loop: Header=BB87_7 Depth=1
	ds_load_2addr_b32 v[17:18], v30 offset1:16
	s_waitcnt lgkmcnt(0)
	v_min_i32_e32 v17, v18, v17
	ds_store_b32 v30, v17
.LBB87_30:                              ;   in Loop: Header=BB87_7 Depth=1
	;; [unrolled: 12-line block ×5, first 2 shown]
	s_or_b32 exec_lo, exec_lo, s9
	s_waitcnt lgkmcnt(0)
	s_barrier
	buffer_gl0_inv
	s_and_saveexec_b32 s9, s7
	s_cbranch_execz .LBB87_6
; %bb.37:                               ;   in Loop: Header=BB87_7 Depth=1
	ds_load_b64 v[17:18], v4
	s_waitcnt lgkmcnt(0)
	v_min_i32_e32 v17, v18, v17
	ds_store_b32 v4, v17
	s_branch .LBB87_6
.LBB87_38:                              ;   in Loop: Header=BB87_7 Depth=1
	ds_load_b64 v[21:22], v31
	v_add_co_u32 v23, vcc_lo, v17, v7
	v_add_co_ci_u32_e32 v24, vcc_lo, v18, v8, vcc_lo
	s_delay_alu instid0(VALU_DEP_2) | instskip(NEXT) | instid1(VALU_DEP_2)
	v_cndmask_b32_e64 v23, v23, v19, s8
	v_cndmask_b32_e64 v24, v24, v20, s8
	s_waitcnt lgkmcnt(0)
	global_store_b64 v[23:24], v[21:22], off
	s_or_b32 exec_lo, exec_lo, s9
	s_and_saveexec_b32 s9, s20
	s_cbranch_execz .LBB87_18
.LBB87_39:                              ;   in Loop: Header=BB87_7 Depth=1
	ds_load_b64 v[21:22], v31 offset:64
	v_add_co_u32 v23, vcc_lo, v19, 64
	v_add_co_ci_u32_e32 v24, vcc_lo, 0, v20, vcc_lo
	v_add_co_u32 v25, vcc_lo, v17, v9
	v_add_co_ci_u32_e32 v26, vcc_lo, v18, v10, vcc_lo
	s_delay_alu instid0(VALU_DEP_2) | instskip(NEXT) | instid1(VALU_DEP_2)
	v_cndmask_b32_e64 v23, v25, v23, s8
	v_cndmask_b32_e64 v24, v26, v24, s8
	s_waitcnt lgkmcnt(0)
	global_store_b64 v[23:24], v[21:22], off
	s_or_b32 exec_lo, exec_lo, s9
	s_and_saveexec_b32 s9, s21
	s_cbranch_execz .LBB87_19
.LBB87_40:                              ;   in Loop: Header=BB87_7 Depth=1
	ds_load_b64 v[21:22], v31 offset:128
	v_add_co_u32 v23, vcc_lo, 0x80, v19
	v_add_co_ci_u32_e32 v24, vcc_lo, 0, v20, vcc_lo
	v_add_co_u32 v25, vcc_lo, v17, v13
	v_add_co_ci_u32_e32 v26, vcc_lo, v18, v14, vcc_lo
	s_delay_alu instid0(VALU_DEP_2) | instskip(NEXT) | instid1(VALU_DEP_2)
	v_cndmask_b32_e64 v23, v25, v23, s8
	v_cndmask_b32_e64 v24, v26, v24, s8
	s_waitcnt lgkmcnt(0)
	global_store_b64 v[23:24], v[21:22], off
	s_or_b32 exec_lo, exec_lo, s9
	s_and_saveexec_b32 s9, s12
	s_cbranch_execnz .LBB87_20
	s_branch .LBB87_21
.LBB87_41:
	s_endpgm
	.section	.rodata,"a",@progbits
	.p2align	6, 0x0
	.amdhsa_kernel _ZN9rocsparseL38csr2bsr_block_per_row_multipass_kernelILj256ELj32E21rocsparse_complex_numIfEliEEv20rocsparse_direction_T3_S4_S4_S4_S4_21rocsparse_index_base_PKT1_PKT2_PKS4_S5_PS6_PS9_PS4_
		.amdhsa_group_segment_fixed_size 8196
		.amdhsa_private_segment_fixed_size 0
		.amdhsa_kernarg_size 88
		.amdhsa_user_sgpr_count 15
		.amdhsa_user_sgpr_dispatch_ptr 0
		.amdhsa_user_sgpr_queue_ptr 0
		.amdhsa_user_sgpr_kernarg_segment_ptr 1
		.amdhsa_user_sgpr_dispatch_id 0
		.amdhsa_user_sgpr_private_segment_size 0
		.amdhsa_wavefront_size32 1
		.amdhsa_uses_dynamic_stack 0
		.amdhsa_enable_private_segment 0
		.amdhsa_system_sgpr_workgroup_id_x 1
		.amdhsa_system_sgpr_workgroup_id_y 0
		.amdhsa_system_sgpr_workgroup_id_z 0
		.amdhsa_system_sgpr_workgroup_info 0
		.amdhsa_system_vgpr_workitem_id 0
		.amdhsa_next_free_vgpr 44
		.amdhsa_next_free_sgpr 36
		.amdhsa_reserve_vcc 1
		.amdhsa_float_round_mode_32 0
		.amdhsa_float_round_mode_16_64 0
		.amdhsa_float_denorm_mode_32 3
		.amdhsa_float_denorm_mode_16_64 3
		.amdhsa_dx10_clamp 1
		.amdhsa_ieee_mode 1
		.amdhsa_fp16_overflow 0
		.amdhsa_workgroup_processor_mode 1
		.amdhsa_memory_ordered 1
		.amdhsa_forward_progress 0
		.amdhsa_shared_vgpr_count 0
		.amdhsa_exception_fp_ieee_invalid_op 0
		.amdhsa_exception_fp_denorm_src 0
		.amdhsa_exception_fp_ieee_div_zero 0
		.amdhsa_exception_fp_ieee_overflow 0
		.amdhsa_exception_fp_ieee_underflow 0
		.amdhsa_exception_fp_ieee_inexact 0
		.amdhsa_exception_int_div_zero 0
	.end_amdhsa_kernel
	.section	.text._ZN9rocsparseL38csr2bsr_block_per_row_multipass_kernelILj256ELj32E21rocsparse_complex_numIfEliEEv20rocsparse_direction_T3_S4_S4_S4_S4_21rocsparse_index_base_PKT1_PKT2_PKS4_S5_PS6_PS9_PS4_,"axG",@progbits,_ZN9rocsparseL38csr2bsr_block_per_row_multipass_kernelILj256ELj32E21rocsparse_complex_numIfEliEEv20rocsparse_direction_T3_S4_S4_S4_S4_21rocsparse_index_base_PKT1_PKT2_PKS4_S5_PS6_PS9_PS4_,comdat
.Lfunc_end87:
	.size	_ZN9rocsparseL38csr2bsr_block_per_row_multipass_kernelILj256ELj32E21rocsparse_complex_numIfEliEEv20rocsparse_direction_T3_S4_S4_S4_S4_21rocsparse_index_base_PKT1_PKT2_PKS4_S5_PS6_PS9_PS4_, .Lfunc_end87-_ZN9rocsparseL38csr2bsr_block_per_row_multipass_kernelILj256ELj32E21rocsparse_complex_numIfEliEEv20rocsparse_direction_T3_S4_S4_S4_S4_21rocsparse_index_base_PKT1_PKT2_PKS4_S5_PS6_PS9_PS4_
                                        ; -- End function
	.section	.AMDGPU.csdata,"",@progbits
; Kernel info:
; codeLenInByte = 2440
; NumSgprs: 38
; NumVgprs: 44
; ScratchSize: 0
; MemoryBound: 0
; FloatMode: 240
; IeeeMode: 1
; LDSByteSize: 8196 bytes/workgroup (compile time only)
; SGPRBlocks: 4
; VGPRBlocks: 5
; NumSGPRsForWavesPerEU: 38
; NumVGPRsForWavesPerEU: 44
; Occupancy: 16
; WaveLimiterHint : 0
; COMPUTE_PGM_RSRC2:SCRATCH_EN: 0
; COMPUTE_PGM_RSRC2:USER_SGPR: 15
; COMPUTE_PGM_RSRC2:TRAP_HANDLER: 0
; COMPUTE_PGM_RSRC2:TGID_X_EN: 1
; COMPUTE_PGM_RSRC2:TGID_Y_EN: 0
; COMPUTE_PGM_RSRC2:TGID_Z_EN: 0
; COMPUTE_PGM_RSRC2:TIDIG_COMP_CNT: 0
	.section	.text._ZN9rocsparseL38csr2bsr_block_per_row_multipass_kernelILj256ELj64E21rocsparse_complex_numIfEliEEv20rocsparse_direction_T3_S4_S4_S4_S4_21rocsparse_index_base_PKT1_PKT2_PKS4_S5_PS6_PS9_PS4_,"axG",@progbits,_ZN9rocsparseL38csr2bsr_block_per_row_multipass_kernelILj256ELj64E21rocsparse_complex_numIfEliEEv20rocsparse_direction_T3_S4_S4_S4_S4_21rocsparse_index_base_PKT1_PKT2_PKS4_S5_PS6_PS9_PS4_,comdat
	.globl	_ZN9rocsparseL38csr2bsr_block_per_row_multipass_kernelILj256ELj64E21rocsparse_complex_numIfEliEEv20rocsparse_direction_T3_S4_S4_S4_S4_21rocsparse_index_base_PKT1_PKT2_PKS4_S5_PS6_PS9_PS4_ ; -- Begin function _ZN9rocsparseL38csr2bsr_block_per_row_multipass_kernelILj256ELj64E21rocsparse_complex_numIfEliEEv20rocsparse_direction_T3_S4_S4_S4_S4_21rocsparse_index_base_PKT1_PKT2_PKS4_S5_PS6_PS9_PS4_
	.p2align	8
	.type	_ZN9rocsparseL38csr2bsr_block_per_row_multipass_kernelILj256ELj64E21rocsparse_complex_numIfEliEEv20rocsparse_direction_T3_S4_S4_S4_S4_21rocsparse_index_base_PKT1_PKT2_PKS4_S5_PS6_PS9_PS4_,@function
_ZN9rocsparseL38csr2bsr_block_per_row_multipass_kernelILj256ELj64E21rocsparse_complex_numIfEliEEv20rocsparse_direction_T3_S4_S4_S4_S4_21rocsparse_index_base_PKT1_PKT2_PKS4_S5_PS6_PS9_PS4_: ; @_ZN9rocsparseL38csr2bsr_block_per_row_multipass_kernelILj256ELj64E21rocsparse_complex_numIfEliEEv20rocsparse_direction_T3_S4_S4_S4_S4_21rocsparse_index_base_PKT1_PKT2_PKS4_S5_PS6_PS9_PS4_
; %bb.0:
	s_mov_b32 s10, s15
	s_clause 0x1
	s_load_b128 s[12:15], s[0:1], 0x10
	s_load_b64 s[8:9], s[0:1], 0x0
	v_lshrrev_b32_e32 v3, 2, v0
	s_load_b64 s[4:5], s[0:1], 0x28
	v_mov_b32_e32 v1, 0
	v_mov_b32_e32 v2, 0
	s_delay_alu instid0(VALU_DEP_1) | instskip(SKIP_3) | instid1(VALU_DEP_2)
	v_dual_mov_b32 v6, v2 :: v_dual_mov_b32 v5, v1
	s_waitcnt lgkmcnt(0)
	v_mad_u64_u32 v[7:8], null, s10, s13, v[3:4]
	v_cmp_gt_i32_e32 vcc_lo, s13, v3
	v_cmp_gt_i32_e64 s2, s9, v7
	s_delay_alu instid0(VALU_DEP_1) | instskip(NEXT) | instid1(SALU_CYCLE_1)
	s_and_b32 s3, vcc_lo, s2
	s_and_saveexec_b32 s6, s3
	s_cbranch_execnz .LBB88_3
; %bb.1:
	s_or_b32 exec_lo, exec_lo, s6
	s_and_saveexec_b32 s6, s3
	s_cbranch_execnz .LBB88_4
.LBB88_2:
	s_or_b32 exec_lo, exec_lo, s6
	s_cmp_lt_i32 s12, 1
	s_cbranch_scc0 .LBB88_5
	s_branch .LBB88_65
.LBB88_3:
	v_ashrrev_i32_e32 v8, 31, v7
	s_delay_alu instid0(VALU_DEP_1) | instskip(NEXT) | instid1(VALU_DEP_1)
	v_lshlrev_b64 v[4:5], 3, v[7:8]
	v_add_co_u32 v4, s2, s4, v4
	s_delay_alu instid0(VALU_DEP_1) | instskip(SKIP_3) | instid1(VALU_DEP_1)
	v_add_co_ci_u32_e64 v5, s2, s5, v5, s2
	global_load_b64 v[5:6], v[4:5], off
	s_waitcnt vmcnt(0)
	v_sub_co_u32 v5, s2, v5, s14
	v_subrev_co_ci_u32_e64 v6, s2, 0, v6, s2
	s_or_b32 exec_lo, exec_lo, s6
	s_and_saveexec_b32 s6, s3
	s_cbranch_execz .LBB88_2
.LBB88_4:
	v_ashrrev_i32_e32 v8, 31, v7
	s_delay_alu instid0(VALU_DEP_1) | instskip(NEXT) | instid1(VALU_DEP_1)
	v_lshlrev_b64 v[1:2], 3, v[7:8]
	v_add_co_u32 v1, s2, s4, v1
	s_delay_alu instid0(VALU_DEP_1) | instskip(SKIP_3) | instid1(VALU_DEP_1)
	v_add_co_ci_u32_e64 v2, s2, s5, v2, s2
	global_load_b64 v[1:2], v[1:2], off offset:8
	s_waitcnt vmcnt(0)
	v_sub_co_u32 v1, s2, v1, s14
	v_subrev_co_ci_u32_e64 v2, s2, 0, v2, s2
	s_or_b32 exec_lo, exec_lo, s6
	s_cmp_lt_i32 s12, 1
	s_cbranch_scc1 .LBB88_65
.LBB88_5:
	s_clause 0x4
	s_load_b128 s[4:7], s[0:1], 0x40
	s_load_b64 s[16:17], s[0:1], 0x50
	s_load_b64 s[18:19], s[0:1], 0x20
	;; [unrolled: 1-line block ×3, first 2 shown]
	s_load_b32 s15, s[0:1], 0x38
	v_mbcnt_lo_u32_b32 v7, -1, 0
	s_ashr_i32 s11, s10, 31
	v_dual_mov_b32 v4, 0 :: v_dual_lshlrev_b32 v53, 6, v3
	s_lshl_b64 s[0:1], s[10:11], 3
	s_delay_alu instid0(VALU_DEP_2)
	v_xor_b32_e32 v8, 2, v7
	v_xor_b32_e32 v10, 1, v7
	v_lshlrev_b32_e32 v9, 3, v3
	v_mul_lo_u32 v3, v3, s13
	v_lshl_or_b32 v55, v7, 2, 12
	v_and_b32_e32 v52, 3, v0
	s_mov_b32 s24, 0
	v_dual_mov_b32 v41, 0 :: v_dual_lshlrev_b32 v54, 2, v0
	s_mul_hi_u32 s26, s13, s13
	s_waitcnt lgkmcnt(0)
	s_add_u32 s0, s6, s0
	s_addc_u32 s1, s7, s1
	v_lshlrev_b32_e32 v12, 3, v52
	s_load_b64 s[2:3], s[0:1], 0x0
	v_cmp_gt_i32_e64 s1, 32, v8
	v_cmp_gt_u32_e64 s0, 0x80, v0
	v_cmp_gt_u32_e64 s6, 4, v0
	;; [unrolled: 1-line block ×4, first 2 shown]
	v_cndmask_b32_e64 v11, v7, v8, s1
	v_cmp_gt_i32_e64 s1, 32, v10
	s_mul_i32 s27, s13, s13
	v_mov_b32_e32 v14, v4
	v_mov_b32_e32 v16, v4
	v_lshlrev_b32_e32 v56, 2, v11
	v_cndmask_b32_e64 v10, v7, v10, s1
	v_lshlrev_b64 v[7:8], 3, v[3:4]
	v_add_co_u32 v58, s1, s4, v9
	s_delay_alu instid0(VALU_DEP_1) | instskip(NEXT) | instid1(VALU_DEP_4)
	v_add_co_ci_u32_e64 v59, null, s5, 0, s1
	v_lshlrev_b32_e32 v57, 2, v10
	s_delay_alu instid0(VALU_DEP_4) | instskip(NEXT) | instid1(VALU_DEP_1)
	v_add_co_u32 v3, s1, s4, v7
	v_add_co_ci_u32_e64 v7, s1, s5, v8, s1
	s_waitcnt lgkmcnt(0)
	s_sub_u32 s22, s2, s15
	s_delay_alu instid0(VALU_DEP_2)
	v_add_co_u32 v60, s1, v3, v12
	s_subb_u32 s23, s3, 0
	s_cmp_eq_u32 s8, 0
	v_add_co_ci_u32_e64 v61, s1, 0, v7, s1
	v_cmp_gt_u32_e64 s2, 64, v0
	v_cmp_gt_u32_e64 s3, 32, v0
	;; [unrolled: 1-line block ×4, first 2 shown]
	v_cmp_eq_u32_e64 s8, 0, v0
	v_or_b32_e32 v0, 4, v52
	v_or_b32_e32 v7, v53, v52
	;; [unrolled: 1-line block ×3, first 2 shown]
	s_cselect_b32 s1, -1, 0
	s_and_b32 s28, vcc_lo, s9
	v_cmp_gt_u32_e64 s10, s13, v0
	v_lshlrev_b32_e32 v0, 3, v7
	v_cmp_gt_u32_e64 s9, s13, v8
	v_or_b32_e32 v7, 12, v52
	v_or_b32_e32 v8, 16, v52
	s_and_b32 s29, vcc_lo, s10
	s_abs_i32 s38, s13
	s_and_b32 s30, vcc_lo, s9
	v_cmp_gt_u32_e64 s9, s13, v7
	v_or_b32_e32 v7, 20, v52
	v_cmp_gt_u32_e64 s10, s13, v8
	v_or_b32_e32 v8, 28, v52
	s_lshl_b32 s11, s13, 2
	s_and_b32 s31, vcc_lo, s9
	v_cmp_gt_u32_e64 s9, s13, v7
	v_or_b32_e32 v7, 24, v52
	s_and_b32 s33, vcc_lo, s10
	v_cmp_gt_u32_e64 s10, s13, v8
	v_cvt_f32_u32_e32 v8, s38
	s_and_b32 s34, vcc_lo, s9
	v_cmp_gt_u32_e64 s9, s13, v7
	v_or_b32_e32 v7, 32, v52
	s_sub_i32 s25, 0, s38
	s_and_b32 s36, vcc_lo, s10
	v_mov_b32_e32 v12, v4
	s_and_b32 s35, vcc_lo, s9
	v_cmp_gt_u32_e64 s9, s13, v7
	v_or_b32_e32 v7, 36, v52
	s_ashr_i32 s44, s13, 31
	v_mov_b32_e32 v18, v4
	v_mov_b32_e32 v20, v4
	s_and_b32 s37, vcc_lo, s9
	v_cmp_gt_u32_e64 s9, s13, v7
	v_rcp_iflag_f32_e32 v7, v8
	v_mov_b32_e32 v22, v4
	v_mov_b32_e32 v24, v4
	;; [unrolled: 1-line block ×3, first 2 shown]
	s_and_b32 s39, vcc_lo, s9
	v_mov_b32_e32 v28, v4
	v_mov_b32_e32 v30, v4
	v_mov_b32_e32 v32, v4
	v_mov_b32_e32 v34, v4
	s_delay_alu instid0(TRANS32_DEP_1)
	v_dual_mov_b32 v36, v4 :: v_dual_mul_f32 v7, 0x4f7ffffe, v7
	v_mul_lo_u32 v3, v52, s13
	v_or_b32_e32 v8, 44, v52
	v_or_b32_e32 v9, 40, v52
	;; [unrolled: 1-line block ×3, first 2 shown]
	v_cvt_u32_f32_e32 v7, v7
	v_mov_b32_e32 v38, v4
	v_cmp_gt_u32_e64 s9, s13, v8
	v_or_b32_e32 v8, 48, v52
	v_add_nc_u32_e32 v11, s11, v3
	v_cmp_gt_u32_e64 s10, s13, v9
	v_or_b32_e32 v9, 52, v52
	s_and_b32 s41, vcc_lo, s9
	v_cmp_gt_u32_e64 s9, s13, v8
	v_add_nc_u32_e32 v13, s11, v11
	v_mul_lo_u32 v8, s25, v7
	s_and_b32 s40, vcc_lo, s10
	v_cmp_gt_u32_e64 s10, s13, v9
	v_or_b32_e32 v9, 56, v52
	v_add_nc_u32_e32 v15, s11, v13
	s_mov_b32 s25, s24
	s_and_b32 s42, vcc_lo, s9
	s_and_b32 s43, vcc_lo, s10
	v_mul_hi_u32 v8, v7, v8
	v_add_nc_u32_e32 v17, s11, v15
	v_cmp_gt_u32_e64 s9, s13, v9
	v_cmp_gt_u32_e64 s10, s13, v10
	v_lshlrev_b64 v[9:10], 3, v[3:4]
	v_lshlrev_b64 v[11:12], 3, v[11:12]
	v_add_nc_u32_e32 v19, s11, v17
	v_lshlrev_b64 v[13:14], 3, v[13:14]
	v_dual_mov_b32 v7, s24 :: v_dual_add_nc_u32 v62, v7, v8
	v_lshlrev_b64 v[15:16], 3, v[15:16]
	s_delay_alu instid0(VALU_DEP_4) | instskip(SKIP_3) | instid1(VALU_DEP_4)
	v_add_nc_u32_e32 v21, s11, v19
	v_lshlrev_b64 v[17:18], 3, v[17:18]
	v_lshlrev_b64 v[19:20], 3, v[19:20]
	v_dual_mov_b32 v3, 1 :: v_dual_mov_b32 v40, v4
	v_add_nc_u32_e32 v23, s11, v21
	v_lshlrev_b64 v[21:22], 3, v[21:22]
	v_mov_b32_e32 v42, 0
	v_mov_b32_e32 v8, s25
	s_and_b32 s24, vcc_lo, s9
	v_add_nc_u32_e32 v25, s11, v23
	v_lshlrev_b64 v[23:24], 3, v[23:24]
	s_and_b32 s25, vcc_lo, s10
	s_delay_alu instid0(VALU_DEP_2) | instskip(SKIP_1) | instid1(VALU_DEP_2)
	v_add_nc_u32_e32 v27, s11, v25
	v_lshlrev_b64 v[25:26], 3, v[25:26]
	v_add_nc_u32_e32 v29, s11, v27
	v_lshlrev_b64 v[27:28], 3, v[27:28]
	s_delay_alu instid0(VALU_DEP_2) | instskip(SKIP_1) | instid1(VALU_DEP_2)
	v_add_nc_u32_e32 v31, s11, v29
	v_lshlrev_b64 v[29:30], 3, v[29:30]
	v_add_nc_u32_e32 v33, s11, v31
	v_lshlrev_b64 v[31:32], 3, v[31:32]
	;; [unrolled: 5-line block ×3, first 2 shown]
	s_delay_alu instid0(VALU_DEP_2) | instskip(SKIP_1) | instid1(VALU_DEP_2)
	v_add_nc_u32_e32 v39, s11, v37
	v_lshlrev_b64 v[37:38], 3, v[37:38]
	v_lshlrev_b64 v[39:40], 3, v[39:40]
	s_branch .LBB88_7
.LBB88_6:                               ;   in Loop: Header=BB88_7 Depth=1
	s_or_b32 exec_lo, exec_lo, s9
	s_waitcnt lgkmcnt(0)
	s_barrier
	buffer_gl0_inv
	ds_load_b32 v41, v4
	s_add_u32 s22, s10, s22
	s_addc_u32 s23, s11, s23
	s_waitcnt lgkmcnt(0)
	s_barrier
	buffer_gl0_inv
	v_cmp_gt_i32_e32 vcc_lo, s12, v41
	v_ashrrev_i32_e32 v42, 31, v41
	s_cbranch_vccz .LBB88_65
.LBB88_7:                               ; =>This Loop Header: Depth=1
                                        ;     Child Loop BB88_10 Depth 2
	v_add_co_u32 v5, vcc_lo, v5, v52
	v_dual_mov_b32 v63, s12 :: v_dual_mov_b32 v48, v2
	v_add_co_ci_u32_e32 v6, vcc_lo, 0, v6, vcc_lo
	v_mov_b32_e32 v47, v1
	s_mov_b32 s10, exec_lo
	ds_store_b8 v4, v4 offset:32768
	ds_store_2addr_b64 v0, v[7:8], v[7:8] offset1:4
	ds_store_2addr_b64 v0, v[7:8], v[7:8] offset0:8 offset1:12
	ds_store_2addr_b64 v0, v[7:8], v[7:8] offset0:16 offset1:20
	;; [unrolled: 1-line block ×7, first 2 shown]
	s_waitcnt lgkmcnt(0)
	s_barrier
	buffer_gl0_inv
	v_cmpx_lt_i64_e64 v[5:6], v[1:2]
	s_cbranch_execz .LBB88_15
; %bb.8:                                ;   in Loop: Header=BB88_7 Depth=1
	v_lshlrev_b64 v[43:44], 3, v[5:6]
	v_lshlrev_b64 v[45:46], 2, v[5:6]
	v_dual_mov_b32 v63, s12 :: v_dual_mov_b32 v48, v2
	v_mov_b32_e32 v47, v1
	s_mov_b32 s11, 0
	s_delay_alu instid0(VALU_DEP_4)
	v_add_co_u32 v43, vcc_lo, s18, v43
	v_add_co_ci_u32_e32 v44, vcc_lo, s19, v44, vcc_lo
	v_add_co_u32 v45, vcc_lo, s20, v45
	v_add_co_ci_u32_e32 v46, vcc_lo, s21, v46, vcc_lo
	s_branch .LBB88_10
.LBB88_9:                               ;   in Loop: Header=BB88_10 Depth=2
	s_or_b32 exec_lo, exec_lo, s9
	v_add_co_u32 v5, s9, v5, 4
	s_delay_alu instid0(VALU_DEP_1) | instskip(SKIP_2) | instid1(VALU_DEP_2)
	v_add_co_ci_u32_e64 v6, s9, 0, v6, s9
	s_xor_b32 s45, vcc_lo, -1
	v_add_co_u32 v43, vcc_lo, v43, 32
	v_cmp_ge_i64_e64 s9, v[5:6], v[1:2]
	v_add_co_ci_u32_e32 v44, vcc_lo, 0, v44, vcc_lo
	v_add_co_u32 v45, vcc_lo, v45, 16
	v_add_co_ci_u32_e32 v46, vcc_lo, 0, v46, vcc_lo
	s_delay_alu instid0(VALU_DEP_4) | instskip(NEXT) | instid1(SALU_CYCLE_1)
	s_or_b32 s9, s45, s9
	s_and_b32 s9, exec_lo, s9
	s_delay_alu instid0(SALU_CYCLE_1) | instskip(NEXT) | instid1(SALU_CYCLE_1)
	s_or_b32 s11, s9, s11
	s_and_not1_b32 exec_lo, exec_lo, s11
	s_cbranch_execz .LBB88_14
.LBB88_10:                              ;   Parent Loop BB88_7 Depth=1
                                        ; =>  This Inner Loop Header: Depth=2
	global_load_b32 v49, v[45:46], off
	s_waitcnt vmcnt(0)
	v_subrev_nc_u32_e32 v64, s14, v49
	s_delay_alu instid0(VALU_DEP_1) | instskip(NEXT) | instid1(VALU_DEP_1)
	v_sub_nc_u32_e32 v49, 0, v64
	v_max_i32_e32 v49, v64, v49
	s_delay_alu instid0(VALU_DEP_1) | instskip(NEXT) | instid1(VALU_DEP_1)
	v_mul_hi_u32 v50, v49, v62
	v_mul_lo_u32 v51, v50, s38
	s_delay_alu instid0(VALU_DEP_1) | instskip(SKIP_1) | instid1(VALU_DEP_2)
	v_sub_nc_u32_e32 v49, v49, v51
	v_add_nc_u32_e32 v51, 1, v50
	v_subrev_nc_u32_e32 v65, s38, v49
	v_cmp_le_u32_e32 vcc_lo, s38, v49
	s_delay_alu instid0(VALU_DEP_2) | instskip(SKIP_1) | instid1(VALU_DEP_2)
	v_dual_cndmask_b32 v50, v50, v51 :: v_dual_cndmask_b32 v49, v49, v65
	v_ashrrev_i32_e32 v51, 31, v64
	v_add_nc_u32_e32 v65, 1, v50
	s_delay_alu instid0(VALU_DEP_3) | instskip(NEXT) | instid1(VALU_DEP_3)
	v_cmp_le_u32_e32 vcc_lo, s38, v49
	v_xor_b32_e32 v51, s44, v51
	s_delay_alu instid0(VALU_DEP_3) | instskip(NEXT) | instid1(VALU_DEP_1)
	v_cndmask_b32_e32 v49, v50, v65, vcc_lo
	v_xor_b32_e32 v49, v49, v51
	s_delay_alu instid0(VALU_DEP_1) | instskip(NEXT) | instid1(VALU_DEP_1)
	v_sub_nc_u32_e32 v49, v49, v51
	v_ashrrev_i32_e32 v50, 31, v49
	s_delay_alu instid0(VALU_DEP_1) | instskip(SKIP_2) | instid1(VALU_DEP_2)
	v_cmp_eq_u64_e32 vcc_lo, v[41:42], v[49:50]
	v_cmp_ne_u64_e64 s9, v[41:42], v[49:50]
	v_dual_mov_b32 v51, v48 :: v_dual_mov_b32 v50, v47
	s_and_saveexec_b32 s45, s9
	s_delay_alu instid0(SALU_CYCLE_1)
	s_xor_b32 s9, exec_lo, s45
; %bb.11:                               ;   in Loop: Header=BB88_10 Depth=2
	v_min_i32_e32 v63, v49, v63
                                        ; implicit-def: $vgpr49
                                        ; implicit-def: $vgpr64
                                        ; implicit-def: $vgpr50_vgpr51
; %bb.12:                               ;   in Loop: Header=BB88_10 Depth=2
	s_or_saveexec_b32 s9, s9
	v_dual_mov_b32 v48, v6 :: v_dual_mov_b32 v47, v5
	s_xor_b32 exec_lo, exec_lo, s9
	s_cbranch_execz .LBB88_9
; %bb.13:                               ;   in Loop: Header=BB88_10 Depth=2
	global_load_b64 v[65:66], v[43:44], off
	v_mul_lo_u32 v47, v49, s13
	s_delay_alu instid0(VALU_DEP_1) | instskip(NEXT) | instid1(VALU_DEP_1)
	v_sub_nc_u32_e32 v47, v64, v47
	v_add_lshl_u32 v49, v47, v53, 3
	v_dual_mov_b32 v47, v50 :: v_dual_mov_b32 v48, v51
	ds_store_b8 v4, v3 offset:32768
	s_waitcnt vmcnt(0)
	ds_store_b64 v49, v[65:66]
	s_branch .LBB88_9
.LBB88_14:                              ;   in Loop: Header=BB88_7 Depth=1
	s_or_b32 exec_lo, exec_lo, s11
.LBB88_15:                              ;   in Loop: Header=BB88_7 Depth=1
	s_delay_alu instid0(SALU_CYCLE_1)
	s_or_b32 exec_lo, exec_lo, s10
	ds_bpermute_b32 v5, v56, v47
	ds_bpermute_b32 v6, v56, v48
	s_waitcnt lgkmcnt(0)
	s_barrier
	buffer_gl0_inv
	ds_load_u8 v44, v4 offset:32768
	s_mov_b64 s[10:11], 0
	v_cmp_lt_i64_e32 vcc_lo, v[5:6], v[47:48]
	v_dual_cndmask_b32 v6, v48, v6 :: v_dual_cndmask_b32 v5, v47, v5
	ds_bpermute_b32 v43, v57, v6
	ds_bpermute_b32 v42, v57, v5
	s_waitcnt lgkmcnt(0)
	v_cmp_lt_i64_e32 vcc_lo, v[42:43], v[5:6]
	v_dual_cndmask_b32 v6, v6, v43 :: v_dual_cndmask_b32 v5, v5, v42
	v_cmp_eq_u32_e32 vcc_lo, 0, v44
	ds_bpermute_b32 v6, v55, v6
	ds_bpermute_b32 v5, v55, v5
	s_cbranch_vccnz .LBB88_34
; %bb.16:                               ;   in Loop: Header=BB88_7 Depth=1
	s_lshl_b64 s[10:11], s[22:23], 2
	s_mul_i32 s9, s27, s23
	s_mul_hi_u32 s45, s27, s22
	s_add_u32 s10, s16, s10
	s_addc_u32 s11, s17, s11
	s_add_i32 s9, s45, s9
	s_mul_i32 s45, s26, s22
	s_mul_i32 s46, s27, s22
	s_add_i32 s47, s9, s45
	v_add_nc_u32_e32 v45, s15, v41
	s_lshl_b64 s[46:47], s[46:47], 3
	s_delay_alu instid0(SALU_CYCLE_1)
	v_add_co_u32 v41, vcc_lo, v58, s46
	v_add_co_ci_u32_e32 v42, vcc_lo, s47, v59, vcc_lo
	v_add_co_u32 v43, vcc_lo, v60, s46
	v_add_co_ci_u32_e32 v44, vcc_lo, s47, v61, vcc_lo
	global_store_b32 v4, v45, s[10:11]
	s_and_saveexec_b32 s9, s28
	s_cbranch_execnz .LBB88_50
; %bb.17:                               ;   in Loop: Header=BB88_7 Depth=1
	s_or_b32 exec_lo, exec_lo, s9
	s_and_saveexec_b32 s9, s29
	s_cbranch_execnz .LBB88_51
.LBB88_18:                              ;   in Loop: Header=BB88_7 Depth=1
	s_or_b32 exec_lo, exec_lo, s9
	s_and_saveexec_b32 s9, s30
	s_cbranch_execnz .LBB88_52
.LBB88_19:                              ;   in Loop: Header=BB88_7 Depth=1
	s_or_b32 exec_lo, exec_lo, s9
	s_and_saveexec_b32 s9, s31
	s_cbranch_execnz .LBB88_53
.LBB88_20:                              ;   in Loop: Header=BB88_7 Depth=1
	s_or_b32 exec_lo, exec_lo, s9
	s_and_saveexec_b32 s9, s33
	s_cbranch_execnz .LBB88_54
.LBB88_21:                              ;   in Loop: Header=BB88_7 Depth=1
	s_or_b32 exec_lo, exec_lo, s9
	s_and_saveexec_b32 s9, s34
	s_cbranch_execnz .LBB88_55
.LBB88_22:                              ;   in Loop: Header=BB88_7 Depth=1
	s_or_b32 exec_lo, exec_lo, s9
	s_and_saveexec_b32 s9, s35
	s_cbranch_execnz .LBB88_56
.LBB88_23:                              ;   in Loop: Header=BB88_7 Depth=1
	s_or_b32 exec_lo, exec_lo, s9
	s_and_saveexec_b32 s9, s36
	s_cbranch_execnz .LBB88_57
.LBB88_24:                              ;   in Loop: Header=BB88_7 Depth=1
	s_or_b32 exec_lo, exec_lo, s9
	s_and_saveexec_b32 s9, s37
	s_cbranch_execnz .LBB88_58
.LBB88_25:                              ;   in Loop: Header=BB88_7 Depth=1
	s_or_b32 exec_lo, exec_lo, s9
	s_and_saveexec_b32 s9, s39
	s_cbranch_execnz .LBB88_59
.LBB88_26:                              ;   in Loop: Header=BB88_7 Depth=1
	s_or_b32 exec_lo, exec_lo, s9
	s_and_saveexec_b32 s9, s40
	s_cbranch_execnz .LBB88_60
.LBB88_27:                              ;   in Loop: Header=BB88_7 Depth=1
	s_or_b32 exec_lo, exec_lo, s9
	s_and_saveexec_b32 s9, s41
	s_cbranch_execnz .LBB88_61
.LBB88_28:                              ;   in Loop: Header=BB88_7 Depth=1
	s_or_b32 exec_lo, exec_lo, s9
	s_and_saveexec_b32 s9, s42
	s_cbranch_execnz .LBB88_62
.LBB88_29:                              ;   in Loop: Header=BB88_7 Depth=1
	s_or_b32 exec_lo, exec_lo, s9
	s_and_saveexec_b32 s9, s43
	s_cbranch_execnz .LBB88_63
.LBB88_30:                              ;   in Loop: Header=BB88_7 Depth=1
	s_or_b32 exec_lo, exec_lo, s9
	s_and_saveexec_b32 s9, s24
	s_cbranch_execnz .LBB88_64
.LBB88_31:                              ;   in Loop: Header=BB88_7 Depth=1
	s_or_b32 exec_lo, exec_lo, s9
	s_and_saveexec_b32 s9, s25
	s_cbranch_execz .LBB88_33
.LBB88_32:                              ;   in Loop: Header=BB88_7 Depth=1
	ds_load_b64 v[45:46], v0 offset:480
	v_add_co_u32 v43, vcc_lo, 0x1e0, v43
	v_add_co_ci_u32_e32 v44, vcc_lo, 0, v44, vcc_lo
	v_add_co_u32 v41, vcc_lo, v41, v39
	v_add_co_ci_u32_e32 v42, vcc_lo, v42, v40, vcc_lo
	s_delay_alu instid0(VALU_DEP_2) | instskip(NEXT) | instid1(VALU_DEP_2)
	v_cndmask_b32_e64 v41, v41, v43, s1
	v_cndmask_b32_e64 v42, v42, v44, s1
	s_waitcnt lgkmcnt(0)
	global_store_b64 v[41:42], v[45:46], off
.LBB88_33:                              ;   in Loop: Header=BB88_7 Depth=1
	s_or_b32 exec_lo, exec_lo, s9
	s_mov_b64 s[10:11], 1
.LBB88_34:                              ;   in Loop: Header=BB88_7 Depth=1
	s_waitcnt lgkmcnt(0)
	s_waitcnt_vscnt null, 0x0
	s_barrier
	buffer_gl0_inv
	ds_store_b32 v54, v63
	s_waitcnt lgkmcnt(0)
	s_barrier
	buffer_gl0_inv
	s_and_saveexec_b32 s9, s0
	s_cbranch_execz .LBB88_36
; %bb.35:                               ;   in Loop: Header=BB88_7 Depth=1
	ds_load_2addr_stride64_b32 v[41:42], v54 offset1:2
	s_waitcnt lgkmcnt(0)
	v_min_i32_e32 v41, v42, v41
	ds_store_b32 v54, v41
.LBB88_36:                              ;   in Loop: Header=BB88_7 Depth=1
	s_or_b32 exec_lo, exec_lo, s9
	s_waitcnt lgkmcnt(0)
	s_barrier
	buffer_gl0_inv
	s_and_saveexec_b32 s9, s2
	s_cbranch_execz .LBB88_38
; %bb.37:                               ;   in Loop: Header=BB88_7 Depth=1
	ds_load_2addr_stride64_b32 v[41:42], v54 offset1:1
	s_waitcnt lgkmcnt(0)
	v_min_i32_e32 v41, v42, v41
	ds_store_b32 v54, v41
.LBB88_38:                              ;   in Loop: Header=BB88_7 Depth=1
	s_or_b32 exec_lo, exec_lo, s9
	s_waitcnt lgkmcnt(0)
	s_barrier
	buffer_gl0_inv
	s_and_saveexec_b32 s9, s3
	s_cbranch_execz .LBB88_40
; %bb.39:                               ;   in Loop: Header=BB88_7 Depth=1
	ds_load_2addr_b32 v[41:42], v54 offset1:32
	s_waitcnt lgkmcnt(0)
	v_min_i32_e32 v41, v42, v41
	ds_store_b32 v54, v41
.LBB88_40:                              ;   in Loop: Header=BB88_7 Depth=1
	s_or_b32 exec_lo, exec_lo, s9
	s_waitcnt lgkmcnt(0)
	s_barrier
	buffer_gl0_inv
	s_and_saveexec_b32 s9, s4
	s_cbranch_execz .LBB88_42
; %bb.41:                               ;   in Loop: Header=BB88_7 Depth=1
	ds_load_2addr_b32 v[41:42], v54 offset1:16
	s_waitcnt lgkmcnt(0)
	v_min_i32_e32 v41, v42, v41
	ds_store_b32 v54, v41
.LBB88_42:                              ;   in Loop: Header=BB88_7 Depth=1
	;; [unrolled: 12-line block ×5, first 2 shown]
	s_or_b32 exec_lo, exec_lo, s9
	s_waitcnt lgkmcnt(0)
	s_barrier
	buffer_gl0_inv
	s_and_saveexec_b32 s9, s8
	s_cbranch_execz .LBB88_6
; %bb.49:                               ;   in Loop: Header=BB88_7 Depth=1
	ds_load_b64 v[41:42], v4
	s_waitcnt lgkmcnt(0)
	v_min_i32_e32 v41, v42, v41
	ds_store_b32 v4, v41
	s_branch .LBB88_6
.LBB88_50:                              ;   in Loop: Header=BB88_7 Depth=1
	ds_load_b64 v[45:46], v0
	v_add_co_u32 v47, vcc_lo, v41, v9
	v_add_co_ci_u32_e32 v48, vcc_lo, v42, v10, vcc_lo
	s_delay_alu instid0(VALU_DEP_2) | instskip(NEXT) | instid1(VALU_DEP_2)
	v_cndmask_b32_e64 v47, v47, v43, s1
	v_cndmask_b32_e64 v48, v48, v44, s1
	s_waitcnt lgkmcnt(0)
	global_store_b64 v[47:48], v[45:46], off
	s_or_b32 exec_lo, exec_lo, s9
	s_and_saveexec_b32 s9, s29
	s_cbranch_execz .LBB88_18
.LBB88_51:                              ;   in Loop: Header=BB88_7 Depth=1
	ds_load_b64 v[45:46], v0 offset:32
	v_add_co_u32 v47, vcc_lo, v43, 32
	v_add_co_ci_u32_e32 v48, vcc_lo, 0, v44, vcc_lo
	v_add_co_u32 v49, vcc_lo, v41, v11
	v_add_co_ci_u32_e32 v50, vcc_lo, v42, v12, vcc_lo
	s_delay_alu instid0(VALU_DEP_2) | instskip(NEXT) | instid1(VALU_DEP_2)
	v_cndmask_b32_e64 v47, v49, v47, s1
	v_cndmask_b32_e64 v48, v50, v48, s1
	s_waitcnt lgkmcnt(0)
	global_store_b64 v[47:48], v[45:46], off
	s_or_b32 exec_lo, exec_lo, s9
	s_and_saveexec_b32 s9, s30
	s_cbranch_execz .LBB88_19
.LBB88_52:                              ;   in Loop: Header=BB88_7 Depth=1
	ds_load_b64 v[45:46], v0 offset:64
	v_add_co_u32 v47, vcc_lo, v43, 64
	v_add_co_ci_u32_e32 v48, vcc_lo, 0, v44, vcc_lo
	v_add_co_u32 v49, vcc_lo, v41, v13
	v_add_co_ci_u32_e32 v50, vcc_lo, v42, v14, vcc_lo
	s_delay_alu instid0(VALU_DEP_2) | instskip(NEXT) | instid1(VALU_DEP_2)
	v_cndmask_b32_e64 v47, v49, v47, s1
	v_cndmask_b32_e64 v48, v50, v48, s1
	s_waitcnt lgkmcnt(0)
	global_store_b64 v[47:48], v[45:46], off
	s_or_b32 exec_lo, exec_lo, s9
	s_and_saveexec_b32 s9, s31
	s_cbranch_execz .LBB88_20
.LBB88_53:                              ;   in Loop: Header=BB88_7 Depth=1
	ds_load_b64 v[45:46], v0 offset:96
	v_add_co_u32 v47, vcc_lo, 0x60, v43
	v_add_co_ci_u32_e32 v48, vcc_lo, 0, v44, vcc_lo
	v_add_co_u32 v49, vcc_lo, v41, v15
	v_add_co_ci_u32_e32 v50, vcc_lo, v42, v16, vcc_lo
	s_delay_alu instid0(VALU_DEP_2) | instskip(NEXT) | instid1(VALU_DEP_2)
	v_cndmask_b32_e64 v47, v49, v47, s1
	v_cndmask_b32_e64 v48, v50, v48, s1
	s_waitcnt lgkmcnt(0)
	global_store_b64 v[47:48], v[45:46], off
	s_or_b32 exec_lo, exec_lo, s9
	s_and_saveexec_b32 s9, s33
	s_cbranch_execz .LBB88_21
.LBB88_54:                              ;   in Loop: Header=BB88_7 Depth=1
	ds_load_b64 v[45:46], v0 offset:128
	v_add_co_u32 v47, vcc_lo, 0x80, v43
	v_add_co_ci_u32_e32 v48, vcc_lo, 0, v44, vcc_lo
	v_add_co_u32 v49, vcc_lo, v41, v17
	v_add_co_ci_u32_e32 v50, vcc_lo, v42, v18, vcc_lo
	s_delay_alu instid0(VALU_DEP_2) | instskip(NEXT) | instid1(VALU_DEP_2)
	v_cndmask_b32_e64 v47, v49, v47, s1
	v_cndmask_b32_e64 v48, v50, v48, s1
	s_waitcnt lgkmcnt(0)
	global_store_b64 v[47:48], v[45:46], off
	s_or_b32 exec_lo, exec_lo, s9
	s_and_saveexec_b32 s9, s34
	s_cbranch_execz .LBB88_22
.LBB88_55:                              ;   in Loop: Header=BB88_7 Depth=1
	ds_load_b64 v[45:46], v0 offset:160
	v_add_co_u32 v47, vcc_lo, 0xa0, v43
	v_add_co_ci_u32_e32 v48, vcc_lo, 0, v44, vcc_lo
	v_add_co_u32 v49, vcc_lo, v41, v19
	v_add_co_ci_u32_e32 v50, vcc_lo, v42, v20, vcc_lo
	s_delay_alu instid0(VALU_DEP_2) | instskip(NEXT) | instid1(VALU_DEP_2)
	v_cndmask_b32_e64 v47, v49, v47, s1
	v_cndmask_b32_e64 v48, v50, v48, s1
	s_waitcnt lgkmcnt(0)
	global_store_b64 v[47:48], v[45:46], off
	s_or_b32 exec_lo, exec_lo, s9
	s_and_saveexec_b32 s9, s35
	s_cbranch_execz .LBB88_23
.LBB88_56:                              ;   in Loop: Header=BB88_7 Depth=1
	ds_load_b64 v[45:46], v0 offset:192
	v_add_co_u32 v47, vcc_lo, 0xc0, v43
	v_add_co_ci_u32_e32 v48, vcc_lo, 0, v44, vcc_lo
	v_add_co_u32 v49, vcc_lo, v41, v21
	v_add_co_ci_u32_e32 v50, vcc_lo, v42, v22, vcc_lo
	s_delay_alu instid0(VALU_DEP_2) | instskip(NEXT) | instid1(VALU_DEP_2)
	v_cndmask_b32_e64 v47, v49, v47, s1
	v_cndmask_b32_e64 v48, v50, v48, s1
	s_waitcnt lgkmcnt(0)
	global_store_b64 v[47:48], v[45:46], off
	s_or_b32 exec_lo, exec_lo, s9
	s_and_saveexec_b32 s9, s36
	s_cbranch_execz .LBB88_24
.LBB88_57:                              ;   in Loop: Header=BB88_7 Depth=1
	ds_load_b64 v[45:46], v0 offset:224
	v_add_co_u32 v47, vcc_lo, 0xe0, v43
	v_add_co_ci_u32_e32 v48, vcc_lo, 0, v44, vcc_lo
	v_add_co_u32 v49, vcc_lo, v41, v23
	v_add_co_ci_u32_e32 v50, vcc_lo, v42, v24, vcc_lo
	s_delay_alu instid0(VALU_DEP_2) | instskip(NEXT) | instid1(VALU_DEP_2)
	v_cndmask_b32_e64 v47, v49, v47, s1
	v_cndmask_b32_e64 v48, v50, v48, s1
	s_waitcnt lgkmcnt(0)
	global_store_b64 v[47:48], v[45:46], off
	s_or_b32 exec_lo, exec_lo, s9
	s_and_saveexec_b32 s9, s37
	s_cbranch_execz .LBB88_25
.LBB88_58:                              ;   in Loop: Header=BB88_7 Depth=1
	ds_load_b64 v[45:46], v0 offset:256
	v_add_co_u32 v47, vcc_lo, 0x100, v43
	v_add_co_ci_u32_e32 v48, vcc_lo, 0, v44, vcc_lo
	v_add_co_u32 v49, vcc_lo, v41, v25
	v_add_co_ci_u32_e32 v50, vcc_lo, v42, v26, vcc_lo
	s_delay_alu instid0(VALU_DEP_2) | instskip(NEXT) | instid1(VALU_DEP_2)
	v_cndmask_b32_e64 v47, v49, v47, s1
	v_cndmask_b32_e64 v48, v50, v48, s1
	s_waitcnt lgkmcnt(0)
	global_store_b64 v[47:48], v[45:46], off
	s_or_b32 exec_lo, exec_lo, s9
	s_and_saveexec_b32 s9, s39
	s_cbranch_execz .LBB88_26
.LBB88_59:                              ;   in Loop: Header=BB88_7 Depth=1
	ds_load_b64 v[45:46], v0 offset:288
	v_add_co_u32 v47, vcc_lo, 0x120, v43
	v_add_co_ci_u32_e32 v48, vcc_lo, 0, v44, vcc_lo
	v_add_co_u32 v49, vcc_lo, v41, v27
	v_add_co_ci_u32_e32 v50, vcc_lo, v42, v28, vcc_lo
	s_delay_alu instid0(VALU_DEP_2) | instskip(NEXT) | instid1(VALU_DEP_2)
	v_cndmask_b32_e64 v47, v49, v47, s1
	v_cndmask_b32_e64 v48, v50, v48, s1
	s_waitcnt lgkmcnt(0)
	global_store_b64 v[47:48], v[45:46], off
	s_or_b32 exec_lo, exec_lo, s9
	s_and_saveexec_b32 s9, s40
	s_cbranch_execz .LBB88_27
.LBB88_60:                              ;   in Loop: Header=BB88_7 Depth=1
	ds_load_b64 v[45:46], v0 offset:320
	v_add_co_u32 v47, vcc_lo, 0x140, v43
	v_add_co_ci_u32_e32 v48, vcc_lo, 0, v44, vcc_lo
	v_add_co_u32 v49, vcc_lo, v41, v29
	v_add_co_ci_u32_e32 v50, vcc_lo, v42, v30, vcc_lo
	s_delay_alu instid0(VALU_DEP_2) | instskip(NEXT) | instid1(VALU_DEP_2)
	v_cndmask_b32_e64 v47, v49, v47, s1
	v_cndmask_b32_e64 v48, v50, v48, s1
	s_waitcnt lgkmcnt(0)
	global_store_b64 v[47:48], v[45:46], off
	s_or_b32 exec_lo, exec_lo, s9
	s_and_saveexec_b32 s9, s41
	s_cbranch_execz .LBB88_28
.LBB88_61:                              ;   in Loop: Header=BB88_7 Depth=1
	ds_load_b64 v[45:46], v0 offset:352
	v_add_co_u32 v47, vcc_lo, 0x160, v43
	v_add_co_ci_u32_e32 v48, vcc_lo, 0, v44, vcc_lo
	v_add_co_u32 v49, vcc_lo, v41, v31
	v_add_co_ci_u32_e32 v50, vcc_lo, v42, v32, vcc_lo
	s_delay_alu instid0(VALU_DEP_2) | instskip(NEXT) | instid1(VALU_DEP_2)
	v_cndmask_b32_e64 v47, v49, v47, s1
	v_cndmask_b32_e64 v48, v50, v48, s1
	s_waitcnt lgkmcnt(0)
	global_store_b64 v[47:48], v[45:46], off
	s_or_b32 exec_lo, exec_lo, s9
	s_and_saveexec_b32 s9, s42
	s_cbranch_execz .LBB88_29
.LBB88_62:                              ;   in Loop: Header=BB88_7 Depth=1
	ds_load_b64 v[45:46], v0 offset:384
	v_add_co_u32 v47, vcc_lo, 0x180, v43
	v_add_co_ci_u32_e32 v48, vcc_lo, 0, v44, vcc_lo
	v_add_co_u32 v49, vcc_lo, v41, v33
	v_add_co_ci_u32_e32 v50, vcc_lo, v42, v34, vcc_lo
	s_delay_alu instid0(VALU_DEP_2) | instskip(NEXT) | instid1(VALU_DEP_2)
	v_cndmask_b32_e64 v47, v49, v47, s1
	v_cndmask_b32_e64 v48, v50, v48, s1
	s_waitcnt lgkmcnt(0)
	global_store_b64 v[47:48], v[45:46], off
	s_or_b32 exec_lo, exec_lo, s9
	s_and_saveexec_b32 s9, s43
	s_cbranch_execz .LBB88_30
.LBB88_63:                              ;   in Loop: Header=BB88_7 Depth=1
	ds_load_b64 v[45:46], v0 offset:416
	v_add_co_u32 v47, vcc_lo, 0x1a0, v43
	v_add_co_ci_u32_e32 v48, vcc_lo, 0, v44, vcc_lo
	v_add_co_u32 v49, vcc_lo, v41, v35
	v_add_co_ci_u32_e32 v50, vcc_lo, v42, v36, vcc_lo
	s_delay_alu instid0(VALU_DEP_2) | instskip(NEXT) | instid1(VALU_DEP_2)
	v_cndmask_b32_e64 v47, v49, v47, s1
	v_cndmask_b32_e64 v48, v50, v48, s1
	s_waitcnt lgkmcnt(0)
	global_store_b64 v[47:48], v[45:46], off
	s_or_b32 exec_lo, exec_lo, s9
	s_and_saveexec_b32 s9, s24
	s_cbranch_execz .LBB88_31
.LBB88_64:                              ;   in Loop: Header=BB88_7 Depth=1
	ds_load_b64 v[45:46], v0 offset:448
	v_add_co_u32 v47, vcc_lo, 0x1c0, v43
	v_add_co_ci_u32_e32 v48, vcc_lo, 0, v44, vcc_lo
	v_add_co_u32 v49, vcc_lo, v41, v37
	v_add_co_ci_u32_e32 v50, vcc_lo, v42, v38, vcc_lo
	s_delay_alu instid0(VALU_DEP_2) | instskip(NEXT) | instid1(VALU_DEP_2)
	v_cndmask_b32_e64 v47, v49, v47, s1
	v_cndmask_b32_e64 v48, v50, v48, s1
	s_waitcnt lgkmcnt(0)
	global_store_b64 v[47:48], v[45:46], off
	s_or_b32 exec_lo, exec_lo, s9
	s_and_saveexec_b32 s9, s25
	s_cbranch_execnz .LBB88_32
	s_branch .LBB88_33
.LBB88_65:
	s_endpgm
	.section	.rodata,"a",@progbits
	.p2align	6, 0x0
	.amdhsa_kernel _ZN9rocsparseL38csr2bsr_block_per_row_multipass_kernelILj256ELj64E21rocsparse_complex_numIfEliEEv20rocsparse_direction_T3_S4_S4_S4_S4_21rocsparse_index_base_PKT1_PKT2_PKS4_S5_PS6_PS9_PS4_
		.amdhsa_group_segment_fixed_size 32772
		.amdhsa_private_segment_fixed_size 0
		.amdhsa_kernarg_size 88
		.amdhsa_user_sgpr_count 15
		.amdhsa_user_sgpr_dispatch_ptr 0
		.amdhsa_user_sgpr_queue_ptr 0
		.amdhsa_user_sgpr_kernarg_segment_ptr 1
		.amdhsa_user_sgpr_dispatch_id 0
		.amdhsa_user_sgpr_private_segment_size 0
		.amdhsa_wavefront_size32 1
		.amdhsa_uses_dynamic_stack 0
		.amdhsa_enable_private_segment 0
		.amdhsa_system_sgpr_workgroup_id_x 1
		.amdhsa_system_sgpr_workgroup_id_y 0
		.amdhsa_system_sgpr_workgroup_id_z 0
		.amdhsa_system_sgpr_workgroup_info 0
		.amdhsa_system_vgpr_workitem_id 0
		.amdhsa_next_free_vgpr 67
		.amdhsa_next_free_sgpr 48
		.amdhsa_reserve_vcc 1
		.amdhsa_float_round_mode_32 0
		.amdhsa_float_round_mode_16_64 0
		.amdhsa_float_denorm_mode_32 3
		.amdhsa_float_denorm_mode_16_64 3
		.amdhsa_dx10_clamp 1
		.amdhsa_ieee_mode 1
		.amdhsa_fp16_overflow 0
		.amdhsa_workgroup_processor_mode 1
		.amdhsa_memory_ordered 1
		.amdhsa_forward_progress 0
		.amdhsa_shared_vgpr_count 0
		.amdhsa_exception_fp_ieee_invalid_op 0
		.amdhsa_exception_fp_denorm_src 0
		.amdhsa_exception_fp_ieee_div_zero 0
		.amdhsa_exception_fp_ieee_overflow 0
		.amdhsa_exception_fp_ieee_underflow 0
		.amdhsa_exception_fp_ieee_inexact 0
		.amdhsa_exception_int_div_zero 0
	.end_amdhsa_kernel
	.section	.text._ZN9rocsparseL38csr2bsr_block_per_row_multipass_kernelILj256ELj64E21rocsparse_complex_numIfEliEEv20rocsparse_direction_T3_S4_S4_S4_S4_21rocsparse_index_base_PKT1_PKT2_PKS4_S5_PS6_PS9_PS4_,"axG",@progbits,_ZN9rocsparseL38csr2bsr_block_per_row_multipass_kernelILj256ELj64E21rocsparse_complex_numIfEliEEv20rocsparse_direction_T3_S4_S4_S4_S4_21rocsparse_index_base_PKT1_PKT2_PKS4_S5_PS6_PS9_PS4_,comdat
.Lfunc_end88:
	.size	_ZN9rocsparseL38csr2bsr_block_per_row_multipass_kernelILj256ELj64E21rocsparse_complex_numIfEliEEv20rocsparse_direction_T3_S4_S4_S4_S4_21rocsparse_index_base_PKT1_PKT2_PKS4_S5_PS6_PS9_PS4_, .Lfunc_end88-_ZN9rocsparseL38csr2bsr_block_per_row_multipass_kernelILj256ELj64E21rocsparse_complex_numIfEliEEv20rocsparse_direction_T3_S4_S4_S4_S4_21rocsparse_index_base_PKT1_PKT2_PKS4_S5_PS6_PS9_PS4_
                                        ; -- End function
	.section	.AMDGPU.csdata,"",@progbits
; Kernel info:
; codeLenInByte = 3928
; NumSgprs: 50
; NumVgprs: 67
; ScratchSize: 0
; MemoryBound: 0
; FloatMode: 240
; IeeeMode: 1
; LDSByteSize: 32772 bytes/workgroup (compile time only)
; SGPRBlocks: 6
; VGPRBlocks: 8
; NumSGPRsForWavesPerEU: 50
; NumVGPRsForWavesPerEU: 67
; Occupancy: 6
; WaveLimiterHint : 0
; COMPUTE_PGM_RSRC2:SCRATCH_EN: 0
; COMPUTE_PGM_RSRC2:USER_SGPR: 15
; COMPUTE_PGM_RSRC2:TRAP_HANDLER: 0
; COMPUTE_PGM_RSRC2:TGID_X_EN: 1
; COMPUTE_PGM_RSRC2:TGID_Y_EN: 0
; COMPUTE_PGM_RSRC2:TGID_Z_EN: 0
; COMPUTE_PGM_RSRC2:TIDIG_COMP_CNT: 0
	.section	.text._ZN9rocsparseL21csr2bsr_65_inf_kernelILj32E21rocsparse_complex_numIfEliEEv20rocsparse_direction_T2_S4_S4_S4_S4_S4_21rocsparse_index_base_PKT0_PKT1_PKS4_S5_PS6_PS9_PS4_SF_SG_SE_,"axG",@progbits,_ZN9rocsparseL21csr2bsr_65_inf_kernelILj32E21rocsparse_complex_numIfEliEEv20rocsparse_direction_T2_S4_S4_S4_S4_S4_21rocsparse_index_base_PKT0_PKT1_PKS4_S5_PS6_PS9_PS4_SF_SG_SE_,comdat
	.globl	_ZN9rocsparseL21csr2bsr_65_inf_kernelILj32E21rocsparse_complex_numIfEliEEv20rocsparse_direction_T2_S4_S4_S4_S4_S4_21rocsparse_index_base_PKT0_PKT1_PKS4_S5_PS6_PS9_PS4_SF_SG_SE_ ; -- Begin function _ZN9rocsparseL21csr2bsr_65_inf_kernelILj32E21rocsparse_complex_numIfEliEEv20rocsparse_direction_T2_S4_S4_S4_S4_S4_21rocsparse_index_base_PKT0_PKT1_PKS4_S5_PS6_PS9_PS4_SF_SG_SE_
	.p2align	8
	.type	_ZN9rocsparseL21csr2bsr_65_inf_kernelILj32E21rocsparse_complex_numIfEliEEv20rocsparse_direction_T2_S4_S4_S4_S4_S4_21rocsparse_index_base_PKT0_PKT1_PKS4_S5_PS6_PS9_PS4_SF_SG_SE_,@function
_ZN9rocsparseL21csr2bsr_65_inf_kernelILj32E21rocsparse_complex_numIfEliEEv20rocsparse_direction_T2_S4_S4_S4_S4_S4_21rocsparse_index_base_PKT0_PKT1_PKS4_S5_PS6_PS9_PS4_SF_SG_SE_: ; @_ZN9rocsparseL21csr2bsr_65_inf_kernelILj32E21rocsparse_complex_numIfEliEEv20rocsparse_direction_T2_S4_S4_S4_S4_S4_21rocsparse_index_base_PKT0_PKT1_PKS4_S5_PS6_PS9_PS4_SF_SG_SE_
; %bb.0:
	s_clause 0x2
	s_load_b128 s[4:7], s[0:1], 0x0
	s_load_b64 s[2:3], s[0:1], 0x58
	s_load_b32 s26, s[0:1], 0x38
	s_mov_b32 s22, s15
	s_mov_b32 s25, 0
	s_waitcnt lgkmcnt(0)
	s_cmp_ge_i32 s15, s7
	s_mov_b32 s7, 0
	s_cbranch_scc1 .LBB89_2
; %bb.1:
	s_load_b64 s[8:9], s[0:1], 0x48
	s_ashr_i32 s23, s22, 31
	s_delay_alu instid0(SALU_CYCLE_1)
	s_lshl_b64 s[10:11], s[22:23], 3
	s_waitcnt lgkmcnt(0)
	s_add_u32 s8, s8, s10
	s_addc_u32 s9, s9, s11
	s_load_b32 s7, s[8:9], 0x0
	s_waitcnt lgkmcnt(0)
	s_sub_i32 s7, s7, s26
.LBB89_2:
	s_load_b128 s[8:11], s[0:1], 0x14
	s_waitcnt lgkmcnt(0)
	v_mul_lo_u32 v3, v0, s9
	s_mul_i32 s11, s22, s9
	s_delay_alu instid0(SALU_CYCLE_1) | instskip(NEXT) | instid1(SALU_CYCLE_1)
	s_lshl_b32 s24, s11, 6
	s_lshl_b64 s[12:13], s[24:25], 3
	s_delay_alu instid0(SALU_CYCLE_1) | instskip(NEXT) | instid1(VALU_DEP_1)
	s_add_u32 s27, s2, s12
	v_ashrrev_i32_e32 v4, 31, v3
	s_addc_u32 s28, s3, s13
	s_lshl_b32 s24, s9, 5
	s_cmp_gt_i32 s9, 0
	s_cselect_b32 s11, -1, 0
	v_lshlrev_b64 v[8:9], 3, v[3:4]
	s_cmp_lt_i32 s9, 1
	s_delay_alu instid0(VALU_DEP_1) | instskip(NEXT) | instid1(VALU_DEP_2)
	v_add_co_u32 v1, vcc_lo, s27, v8
	v_add_co_ci_u32_e32 v2, vcc_lo, s28, v9, vcc_lo
	s_cbranch_scc1 .LBB89_7
; %bb.3:
	s_load_b64 s[12:13], s[0:1], 0x28
	s_mov_b32 s2, 0
	s_delay_alu instid0(VALU_DEP_1)
	v_mov_b32_e32 v11, v2
	s_mov_b32 s3, s2
	v_dual_mov_b32 v7, v0 :: v_dual_mov_b32 v10, v1
	v_dual_mov_b32 v6, s3 :: v_dual_mov_b32 v5, s2
	s_mul_i32 s16, s22, s8
	s_lshl_b64 s[14:15], s[24:25], 3
	s_mov_b32 s17, s9
	s_set_inst_prefetch_distance 0x1
	s_branch .LBB89_5
	.p2align	6
.LBB89_4:                               ;   in Loop: Header=BB89_5 Depth=1
	s_or_b32 exec_lo, exec_lo, s2
	v_add_co_u32 v10, vcc_lo, v10, 8
	v_add_co_ci_u32_e32 v11, vcc_lo, 0, v11, vcc_lo
	v_add_nc_u32_e32 v7, 32, v7
	s_add_i32 s17, s17, -1
	s_delay_alu instid0(SALU_CYCLE_1)
	s_cmp_eq_u32 s17, 0
	s_cbranch_scc1 .LBB89_7
.LBB89_5:                               ; =>This Inner Loop Header: Depth=1
	s_delay_alu instid0(VALU_DEP_1) | instskip(SKIP_2) | instid1(VALU_DEP_1)
	v_add_nc_u32_e32 v14, s16, v7
	v_cmp_gt_u32_e32 vcc_lo, s8, v7
	v_add_co_u32 v12, s3, v10, s14
	v_add_co_ci_u32_e64 v13, s3, s15, v11, s3
	s_delay_alu instid0(VALU_DEP_4) | instskip(SKIP_4) | instid1(SALU_CYCLE_1)
	v_cmp_gt_i32_e64 s2, s5, v14
	s_clause 0x1
	global_store_b64 v[10:11], v[5:6], off
	global_store_b64 v[12:13], v[5:6], off
	s_and_b32 s3, vcc_lo, s2
	s_and_saveexec_b32 s2, s3
	s_cbranch_execz .LBB89_4
; %bb.6:                                ;   in Loop: Header=BB89_5 Depth=1
	v_ashrrev_i32_e32 v15, 31, v14
	s_delay_alu instid0(VALU_DEP_1) | instskip(SKIP_1) | instid1(VALU_DEP_1)
	v_lshlrev_b64 v[14:15], 3, v[14:15]
	s_waitcnt lgkmcnt(0)
	v_add_co_u32 v14, vcc_lo, s12, v14
	s_delay_alu instid0(VALU_DEP_2)
	v_add_co_ci_u32_e32 v15, vcc_lo, s13, v15, vcc_lo
	global_load_b128 v[14:17], v[14:15], off
	s_waitcnt vmcnt(0)
	v_sub_co_u32 v14, vcc_lo, v14, s10
	v_subrev_co_ci_u32_e32 v15, vcc_lo, 0, v15, vcc_lo
	v_sub_co_u32 v16, vcc_lo, v16, s10
	v_subrev_co_ci_u32_e32 v17, vcc_lo, 0, v17, vcc_lo
	s_clause 0x1
	global_store_b64 v[10:11], v[14:15], off
	global_store_b64 v[12:13], v[16:17], off
	s_branch .LBB89_4
.LBB89_7:
	s_set_inst_prefetch_distance 0x2
	s_cmp_lt_i32 s6, 1
	s_cbranch_scc1 .LBB89_37
; %bb.8:
	s_waitcnt lgkmcnt(0)
	s_clause 0x4
	s_load_b128 s[12:15], s[0:1], 0x60
	s_load_b64 s[2:3], s[0:1], 0x20
	s_load_b64 s[16:17], s[0:1], 0x50
	;; [unrolled: 1-line block ×4, first 2 shown]
	s_lshl_b64 s[30:31], s[24:25], 3
	s_mul_i32 s22, s24, s22
	s_mov_b32 s23, 0
	s_add_u32 s1, s27, s30
	s_addc_u32 s27, s28, s31
	s_lshl_b64 s[24:25], s[22:23], 2
	v_lshlrev_b64 v[6:7], 2, v[3:4]
	v_mbcnt_lo_u32_b32 v4, -1, 0
	v_add_co_u32 v26, vcc_lo, s1, v8
	v_add_co_ci_u32_e32 v27, vcc_lo, s27, v9, vcc_lo
	s_delay_alu instid0(VALU_DEP_3)
	v_xor_b32_e32 v11, 16, v4
	v_xor_b32_e32 v12, 8, v4
	;; [unrolled: 1-line block ×3, first 2 shown]
	s_waitcnt lgkmcnt(0)
	s_add_u32 s24, s12, s24
	s_addc_u32 s25, s13, s25
	s_lshl_b64 s[12:13], s[22:23], 3
	v_cmp_gt_i32_e32 vcc_lo, 32, v11
	s_add_u32 s14, s14, s12
	s_addc_u32 s15, s15, s13
	s_cmp_lg_u32 s4, 0
	v_xor_b32_e32 v14, 2, v4
	s_cselect_b32 s12, -1, 0
	s_abs_i32 s13, s8
	v_xor_b32_e32 v15, 1, v4
	v_cvt_f32_u32_e32 v10, s13
	s_sub_i32 s1, 0, s13
	v_mul_lo_u32 v25, v0, s8
	v_cmp_eq_u32_e64 s0, 31, v0
	v_dual_mov_b32 v24, 0x7c :: v_dual_mov_b32 v3, 0
	v_rcp_iflag_f32_e32 v10, v10
	v_dual_mov_b32 v5, 0 :: v_dual_mov_b32 v36, 0
	s_mul_hi_i32 s5, s8, s8
	s_mul_i32 s4, s8, s8
	v_cndmask_b32_e32 v11, v4, v11, vcc_lo
	v_cmp_gt_i32_e32 vcc_lo, 32, v12
	v_dual_mov_b32 v35, 0 :: v_dual_mov_b32 v34, 0
	s_waitcnt_depctr 0xfff
	v_mul_f32_e32 v10, 0x4f7ffffe, v10
	v_cndmask_b32_e32 v12, v4, v12, vcc_lo
	v_cmp_gt_i32_e32 vcc_lo, 32, v13
	v_lshlrev_b32_e32 v28, 2, v11
	s_delay_alu instid0(VALU_DEP_4) | instskip(SKIP_2) | instid1(VALU_DEP_3)
	v_cvt_u32_f32_e32 v10, v10
	v_cndmask_b32_e32 v13, v4, v13, vcc_lo
	v_cmp_gt_i32_e32 vcc_lo, 32, v14
	v_mul_lo_u32 v16, s1, v10
	s_delay_alu instid0(VALU_DEP_3) | instskip(SKIP_2) | instid1(VALU_DEP_2)
	v_lshlrev_b32_e32 v30, 2, v13
	v_cndmask_b32_e32 v14, v4, v14, vcc_lo
	v_cmp_gt_i32_e32 vcc_lo, 32, v15
	v_lshlrev_b32_e32 v31, 2, v14
	v_dual_cndmask_b32 v4, v4, v15 :: v_dual_lshlrev_b32 v29, 2, v12
	v_add_co_u32 v6, vcc_lo, s24, v6
	v_add_co_ci_u32_e32 v7, vcc_lo, s25, v7, vcc_lo
	s_delay_alu instid0(VALU_DEP_3)
	v_lshlrev_b32_e32 v32, 2, v4
	v_mul_hi_u32 v4, v10, v16
	v_add_co_u32 v8, vcc_lo, s14, v8
	v_add_co_ci_u32_e32 v9, vcc_lo, s15, v9, vcc_lo
	s_add_i32 s14, s7, -1
	s_ashr_i32 s15, s8, 31
	s_lshl_b32 s24, s8, 5
	s_delay_alu instid0(VALU_DEP_3)
	v_add_nc_u32_e32 v33, v10, v4
	s_mov_b32 s25, 0
	s_branch .LBB89_10
.LBB89_9:                               ;   in Loop: Header=BB89_10 Depth=1
	s_waitcnt lgkmcnt(1)
	v_add_nc_u32_e32 v36, 1, v22
	s_delay_alu instid0(VALU_DEP_1) | instskip(SKIP_1) | instid1(SALU_CYCLE_1)
	v_cmp_le_i32_e32 vcc_lo, s6, v36
	s_or_b32 s25, vcc_lo, s25
	s_and_not1_b32 exec_lo, exec_lo, s25
	s_cbranch_execz .LBB89_37
.LBB89_10:                              ; =>This Loop Header: Depth=1
                                        ;     Child Loop BB89_14 Depth 2
                                        ;       Child Loop BB89_17 Depth 3
                                        ;     Child Loop BB89_31 Depth 2
	v_mov_b32_e32 v37, s6
	s_and_not1_b32 vcc_lo, exec_lo, s11
	s_cbranch_vccnz .LBB89_23
; %bb.11:                               ;   in Loop: Header=BB89_10 Depth=1
	v_mov_b32_e32 v37, s6
	s_mov_b32 s22, 0
	s_branch .LBB89_14
.LBB89_12:                              ;   in Loop: Header=BB89_14 Depth=2
	s_or_b32 exec_lo, exec_lo, s1
.LBB89_13:                              ;   in Loop: Header=BB89_14 Depth=2
	s_delay_alu instid0(SALU_CYCLE_1) | instskip(SKIP_1) | instid1(SALU_CYCLE_1)
	s_or_b32 exec_lo, exec_lo, s27
	s_add_i32 s22, s22, 1
	s_cmp_eq_u32 s22, s9
	s_cbranch_scc1 .LBB89_23
.LBB89_14:                              ;   Parent Loop BB89_10 Depth=1
                                        ; =>  This Loop Header: Depth=2
                                        ;       Child Loop BB89_17 Depth 3
	s_lshl_b64 s[28:29], s[22:23], 3
	v_mov_b32_e32 v4, v3
	v_add_co_u32 v10, vcc_lo, v1, s28
	v_add_co_ci_u32_e32 v11, vcc_lo, s29, v2, vcc_lo
	v_add_co_u32 v12, vcc_lo, v26, s28
	v_add_co_ci_u32_e32 v13, vcc_lo, s29, v27, vcc_lo
	v_mov_b32_e32 v16, s6
	s_clause 0x1
	global_load_b64 v[20:21], v[10:11], off
	global_load_b64 v[18:19], v[12:13], off
	v_add_co_u32 v12, vcc_lo, v8, s28
	v_add_co_ci_u32_e32 v13, vcc_lo, s29, v9, vcc_lo
	s_lshl_b64 s[28:29], s[22:23], 2
	s_mov_b32 s27, exec_lo
	v_add_co_u32 v14, vcc_lo, v6, s28
	v_add_co_ci_u32_e32 v15, vcc_lo, s29, v7, vcc_lo
	global_store_b64 v[12:13], v[3:4], off
	global_store_b32 v[14:15], v16, off
	s_waitcnt vmcnt(0)
	v_cmpx_lt_i64_e64 v[20:21], v[18:19]
	s_cbranch_execz .LBB89_13
; %bb.15:                               ;   in Loop: Header=BB89_14 Depth=2
	v_lshlrev_b64 v[16:17], 2, v[20:21]
	s_mov_b32 s28, 0
                                        ; implicit-def: $sgpr29
                                        ; implicit-def: $sgpr31
                                        ; implicit-def: $sgpr30
	s_delay_alu instid0(VALU_DEP_1) | instskip(NEXT) | instid1(VALU_DEP_2)
	v_add_co_u32 v22, vcc_lo, s20, v16
	v_add_co_ci_u32_e32 v23, vcc_lo, s21, v17, vcc_lo
	s_set_inst_prefetch_distance 0x1
	s_branch .LBB89_17
	.p2align	6
.LBB89_16:                              ;   in Loop: Header=BB89_17 Depth=3
	s_or_b32 exec_lo, exec_lo, s33
	s_delay_alu instid0(SALU_CYCLE_1) | instskip(NEXT) | instid1(SALU_CYCLE_1)
	s_and_b32 s1, exec_lo, s31
	s_or_b32 s28, s1, s28
	s_and_not1_b32 s1, s29, exec_lo
	s_and_b32 s29, s30, exec_lo
	s_delay_alu instid0(SALU_CYCLE_1)
	s_or_b32 s29, s1, s29
	s_and_not1_b32 exec_lo, exec_lo, s28
	s_cbranch_execz .LBB89_19
.LBB89_17:                              ;   Parent Loop BB89_10 Depth=1
                                        ;     Parent Loop BB89_14 Depth=2
                                        ; =>    This Inner Loop Header: Depth=3
	global_load_b32 v4, v[22:23], off
	v_dual_mov_b32 v16, v20 :: v_dual_mov_b32 v17, v21
	s_or_b32 s30, s30, exec_lo
	s_or_b32 s31, s31, exec_lo
	s_mov_b32 s33, exec_lo
                                        ; implicit-def: $vgpr20_vgpr21
	s_waitcnt vmcnt(0)
	v_subrev_nc_u32_e32 v4, s10, v4
	s_delay_alu instid0(VALU_DEP_1)
	v_cmpx_lt_i32_e64 v4, v36
	s_cbranch_execz .LBB89_16
; %bb.18:                               ;   in Loop: Header=BB89_17 Depth=3
	v_add_co_u32 v20, vcc_lo, v16, 1
	v_add_co_ci_u32_e32 v21, vcc_lo, 0, v17, vcc_lo
	v_add_co_u32 v22, s1, v22, 4
	s_delay_alu instid0(VALU_DEP_1) | instskip(NEXT) | instid1(VALU_DEP_3)
	v_add_co_ci_u32_e64 v23, s1, 0, v23, s1
	v_cmp_ge_i64_e32 vcc_lo, v[20:21], v[18:19]
	s_and_not1_b32 s1, s31, exec_lo
	s_and_not1_b32 s30, s30, exec_lo
	s_and_b32 s31, vcc_lo, exec_lo
	s_delay_alu instid0(SALU_CYCLE_1)
	s_or_b32 s31, s1, s31
	s_branch .LBB89_16
.LBB89_19:                              ;   in Loop: Header=BB89_14 Depth=2
	s_set_inst_prefetch_distance 0x2
	s_or_b32 exec_lo, exec_lo, s28
	v_lshlrev_b64 v[18:19], 3, v[16:17]
	s_xor_b32 s1, s29, -1
	s_delay_alu instid0(SALU_CYCLE_1) | instskip(NEXT) | instid1(SALU_CYCLE_1)
	s_and_saveexec_b32 s28, s1
	s_xor_b32 s1, exec_lo, s28
	s_cbranch_execz .LBB89_21
; %bb.20:                               ;   in Loop: Header=BB89_14 Depth=2
	s_delay_alu instid0(VALU_DEP_1)
	v_add_co_u32 v10, vcc_lo, s2, v18
	v_add_co_ci_u32_e32 v11, vcc_lo, s3, v19, vcc_lo
                                        ; implicit-def: $vgpr18_vgpr19
	global_load_b64 v[10:11], v[10:11], off
	s_waitcnt vmcnt(0)
	global_store_b64 v[12:13], v[10:11], off
	global_store_b32 v[14:15], v4, off
                                        ; implicit-def: $vgpr12_vgpr13
                                        ; implicit-def: $vgpr14_vgpr15
                                        ; implicit-def: $vgpr10_vgpr11
.LBB89_21:                              ;   in Loop: Header=BB89_14 Depth=2
	s_and_not1_saveexec_b32 s1, s1
	s_cbranch_execz .LBB89_12
; %bb.22:                               ;   in Loop: Header=BB89_14 Depth=2
	v_add_co_u32 v18, vcc_lo, s2, v18
	v_add_co_ci_u32_e32 v19, vcc_lo, s3, v19, vcc_lo
	v_min_i32_e32 v37, v4, v37
	global_load_b64 v[18:19], v[18:19], off
	global_store_b32 v[14:15], v4, off
	s_waitcnt vmcnt(0)
	global_store_b64 v[12:13], v[18:19], off
	global_store_b64 v[10:11], v[16:17], off
	s_branch .LBB89_12
.LBB89_23:                              ;   in Loop: Header=BB89_10 Depth=1
	ds_bpermute_b32 v4, v28, v37
	s_waitcnt lgkmcnt(0)
	v_min_i32_e32 v4, v4, v37
	ds_bpermute_b32 v10, v29, v4
	s_waitcnt lgkmcnt(0)
	v_min_i32_e32 v4, v10, v4
	;; [unrolled: 3-line block ×5, first 2 shown]
	s_delay_alu instid0(VALU_DEP_1) | instskip(SKIP_1) | instid1(SALU_CYCLE_1)
	v_cmp_gt_i32_e32 vcc_lo, s6, v4
	s_and_b32 s22, s0, vcc_lo
	s_and_saveexec_b32 s1, s22
	s_cbranch_execz .LBB89_27
; %bb.24:                               ;   in Loop: Header=BB89_10 Depth=1
	v_sub_nc_u32_e32 v10, 0, v4
	s_mov_b32 s22, exec_lo
	s_delay_alu instid0(VALU_DEP_1) | instskip(NEXT) | instid1(VALU_DEP_1)
	v_max_i32_e32 v10, v4, v10
	v_mul_hi_u32 v11, v10, v33
	s_delay_alu instid0(VALU_DEP_1) | instskip(NEXT) | instid1(VALU_DEP_1)
	v_mul_lo_u32 v12, v11, s13
	v_sub_nc_u32_e32 v10, v10, v12
	v_add_nc_u32_e32 v12, 1, v11
	s_delay_alu instid0(VALU_DEP_2) | instskip(SKIP_1) | instid1(VALU_DEP_2)
	v_subrev_nc_u32_e32 v13, s13, v10
	v_cmp_le_u32_e32 vcc_lo, s13, v10
	v_dual_cndmask_b32 v11, v11, v12 :: v_dual_cndmask_b32 v10, v10, v13
	v_ashrrev_i32_e32 v12, 31, v4
	s_delay_alu instid0(VALU_DEP_2) | instskip(NEXT) | instid1(VALU_DEP_3)
	v_add_nc_u32_e32 v13, 1, v11
	v_cmp_le_u32_e32 vcc_lo, s13, v10
	s_delay_alu instid0(VALU_DEP_3) | instskip(NEXT) | instid1(VALU_DEP_3)
	v_xor_b32_e32 v12, s15, v12
	v_cndmask_b32_e32 v10, v11, v13, vcc_lo
	s_delay_alu instid0(VALU_DEP_1) | instskip(NEXT) | instid1(VALU_DEP_1)
	v_xor_b32_e32 v10, v10, v12
	v_sub_nc_u32_e32 v10, v10, v12
	s_delay_alu instid0(VALU_DEP_1)
	v_cmpx_ge_i32_e64 v10, v34
	s_cbranch_execz .LBB89_26
; %bb.25:                               ;   in Loop: Header=BB89_10 Depth=1
	v_add_nc_u32_e32 v11, s7, v35
	v_add_nc_u32_e32 v34, 1, v10
	;; [unrolled: 1-line block ×4, first 2 shown]
	s_delay_alu instid0(VALU_DEP_4) | instskip(NEXT) | instid1(VALU_DEP_1)
	v_ashrrev_i32_e32 v12, 31, v11
	v_lshlrev_b64 v[11:12], 2, v[11:12]
	s_delay_alu instid0(VALU_DEP_1) | instskip(NEXT) | instid1(VALU_DEP_2)
	v_add_co_u32 v11, vcc_lo, s16, v11
	v_add_co_ci_u32_e32 v12, vcc_lo, s17, v12, vcc_lo
	global_store_b32 v[11:12], v10, off
.LBB89_26:                              ;   in Loop: Header=BB89_10 Depth=1
	s_or_b32 exec_lo, exec_lo, s22
.LBB89_27:                              ;   in Loop: Header=BB89_10 Depth=1
	s_delay_alu instid0(SALU_CYCLE_1)
	s_or_b32 exec_lo, exec_lo, s1
	ds_bpermute_b32 v22, v24, v4
	ds_bpermute_b32 v35, v24, v35
	s_and_not1_b32 vcc_lo, exec_lo, s11
	s_cbranch_vccnz .LBB89_9
; %bb.28:                               ;   in Loop: Header=BB89_10 Depth=1
	s_waitcnt lgkmcnt(1)
	v_sub_nc_u32_e32 v4, 0, v22
	s_mov_b32 s1, s9
	s_delay_alu instid0(VALU_DEP_1) | instskip(NEXT) | instid1(VALU_DEP_1)
	v_max_i32_e32 v4, v22, v4
	v_mul_hi_u32 v12, v4, v33
	s_delay_alu instid0(VALU_DEP_1) | instskip(SKIP_1) | instid1(VALU_DEP_2)
	v_mul_lo_u32 v10, v12, s13
	v_add_nc_u32_e32 v16, 1, v12
	v_sub_nc_u32_e32 v4, v4, v10
	s_delay_alu instid0(VALU_DEP_1) | instskip(SKIP_1) | instid1(VALU_DEP_3)
	v_cmp_le_u32_e32 vcc_lo, s13, v4
	s_waitcnt lgkmcnt(0)
	v_dual_cndmask_b32 v12, v12, v16 :: v_dual_add_nc_u32 v13, s14, v35
	s_delay_alu instid0(VALU_DEP_1) | instskip(SKIP_3) | instid1(VALU_DEP_4)
	v_ashrrev_i32_e32 v14, 31, v13
	v_mul_lo_u32 v15, s5, v13
	v_mad_u64_u32 v[10:11], null, s4, v13, 0
	v_ashrrev_i32_e32 v16, 31, v22
	v_mul_lo_u32 v13, s4, v14
	v_subrev_nc_u32_e32 v14, s13, v4
	s_delay_alu instid0(VALU_DEP_3) | instskip(NEXT) | instid1(VALU_DEP_2)
	v_xor_b32_e32 v17, s15, v16
	v_cndmask_b32_e32 v4, v4, v14, vcc_lo
	v_add_nc_u32_e32 v14, 1, v12
	v_add3_u32 v11, v11, v13, v15
	s_delay_alu instid0(VALU_DEP_3) | instskip(NEXT) | instid1(VALU_DEP_2)
	v_cmp_le_u32_e32 vcc_lo, s13, v4
	v_lshlrev_b64 v[15:16], 3, v[10:11]
	v_dual_mov_b32 v11, v9 :: v_dual_mov_b32 v10, v8
	v_dual_cndmask_b32 v4, v12, v14 :: v_dual_mov_b32 v13, v7
	v_mov_b32_e32 v12, v6
	s_delay_alu instid0(VALU_DEP_4) | instskip(NEXT) | instid1(VALU_DEP_3)
	v_add_co_u32 v23, vcc_lo, s18, v15
	v_xor_b32_e32 v4, v4, v17
	v_mov_b32_e32 v14, v0
	v_add_co_ci_u32_e32 v36, vcc_lo, s19, v16, vcc_lo
	s_delay_alu instid0(VALU_DEP_3)
	v_sub_nc_u32_e32 v37, v4, v17
	v_mov_b32_e32 v4, v25
	s_branch .LBB89_31
.LBB89_29:                              ;   in Loop: Header=BB89_31 Depth=2
	s_delay_alu instid0(VALU_DEP_1) | instskip(NEXT) | instid1(VALU_DEP_2)
	v_lshlrev_b64 v[18:19], 3, v[18:19]
	v_lshlrev_b64 v[20:21], 3, v[20:21]
	s_delay_alu instid0(VALU_DEP_2) | instskip(NEXT) | instid1(VALU_DEP_3)
	v_add_co_u32 v15, vcc_lo, v23, v18
	v_add_co_ci_u32_e32 v19, vcc_lo, v36, v19, vcc_lo
	s_delay_alu instid0(VALU_DEP_2) | instskip(NEXT) | instid1(VALU_DEP_2)
	v_add_co_u32 v18, vcc_lo, v15, v20
	v_add_co_ci_u32_e32 v19, vcc_lo, v19, v21, vcc_lo
	s_waitcnt vmcnt(0)
	global_store_b64 v[18:19], v[16:17], off
.LBB89_30:                              ;   in Loop: Header=BB89_31 Depth=2
	s_or_b32 exec_lo, exec_lo, s22
	v_add_co_u32 v12, vcc_lo, v12, 4
	v_add_co_ci_u32_e32 v13, vcc_lo, 0, v13, vcc_lo
	v_add_co_u32 v10, vcc_lo, v10, 8
	v_add_nc_u32_e32 v4, s24, v4
	v_add_nc_u32_e32 v14, 32, v14
	v_add_co_ci_u32_e32 v11, vcc_lo, 0, v11, vcc_lo
	s_add_i32 s1, s1, -1
	s_delay_alu instid0(SALU_CYCLE_1)
	s_cmp_eq_u32 s1, 0
	s_cbranch_scc1 .LBB89_9
.LBB89_31:                              ;   Parent Loop BB89_10 Depth=1
                                        ; =>  This Inner Loop Header: Depth=2
	global_load_b32 v15, v[12:13], off
	s_mov_b32 s22, exec_lo
	s_waitcnt vmcnt(0)
	v_cmpx_gt_i32_e64 s6, v15
	s_cbranch_execz .LBB89_30
; %bb.32:                               ;   in Loop: Header=BB89_31 Depth=2
	v_sub_nc_u32_e32 v16, 0, v15
	v_ashrrev_i32_e32 v39, 31, v15
	s_delay_alu instid0(VALU_DEP_2) | instskip(NEXT) | instid1(VALU_DEP_2)
	v_max_i32_e32 v16, v15, v16
	v_xor_b32_e32 v19, s15, v39
	s_delay_alu instid0(VALU_DEP_2) | instskip(NEXT) | instid1(VALU_DEP_1)
	v_mul_hi_u32 v17, v16, v33
	v_mul_lo_u32 v18, v17, s13
	s_delay_alu instid0(VALU_DEP_1) | instskip(NEXT) | instid1(VALU_DEP_1)
	v_sub_nc_u32_e32 v38, v16, v18
	v_subrev_nc_u32_e32 v40, s13, v38
	v_cmp_le_u32_e32 vcc_lo, s13, v38
	v_add_nc_u32_e32 v16, 1, v17
	s_delay_alu instid0(VALU_DEP_1) | instskip(NEXT) | instid1(VALU_DEP_4)
	v_cndmask_b32_e32 v16, v17, v16, vcc_lo
	v_cndmask_b32_e32 v17, v38, v40, vcc_lo
	s_delay_alu instid0(VALU_DEP_2) | instskip(NEXT) | instid1(VALU_DEP_2)
	v_add_nc_u32_e32 v18, 1, v16
	v_cmp_le_u32_e32 vcc_lo, s13, v17
	s_delay_alu instid0(VALU_DEP_2) | instskip(NEXT) | instid1(VALU_DEP_1)
	v_cndmask_b32_e32 v16, v16, v18, vcc_lo
	v_xor_b32_e32 v16, v16, v19
	s_delay_alu instid0(VALU_DEP_1) | instskip(NEXT) | instid1(VALU_DEP_1)
	v_sub_nc_u32_e32 v16, v16, v19
	v_cmp_eq_u32_e32 vcc_lo, v16, v37
	s_and_b32 exec_lo, exec_lo, vcc_lo
	s_cbranch_execz .LBB89_30
; %bb.33:                               ;   in Loop: Header=BB89_31 Depth=2
	global_load_b64 v[16:17], v[10:11], off
	s_and_b32 vcc_lo, exec_lo, s12
	s_cbranch_vccz .LBB89_35
; %bb.34:                               ;   in Loop: Header=BB89_31 Depth=2
	v_mul_lo_u32 v18, v37, s8
	s_delay_alu instid0(VALU_DEP_1) | instskip(NEXT) | instid1(VALU_DEP_1)
	v_sub_nc_u32_e32 v15, v15, v18
	v_mul_lo_u32 v18, v15, s8
	v_mov_b32_e32 v15, v3
	s_delay_alu instid0(VALU_DEP_1) | instskip(NEXT) | instid1(VALU_DEP_3)
	v_dual_mov_b32 v21, v15 :: v_dual_mov_b32 v20, v14
	v_ashrrev_i32_e32 v19, 31, v18
	s_cbranch_execnz .LBB89_29
	s_branch .LBB89_36
.LBB89_35:                              ;   in Loop: Header=BB89_31 Depth=2
                                        ; implicit-def: $vgpr20_vgpr21
                                        ; implicit-def: $vgpr18_vgpr19
.LBB89_36:                              ;   in Loop: Header=BB89_31 Depth=2
	v_cmp_le_u32_e32 vcc_lo, s13, v38
	v_cndmask_b32_e32 v15, v38, v40, vcc_lo
	s_delay_alu instid0(VALU_DEP_1) | instskip(SKIP_1) | instid1(VALU_DEP_2)
	v_subrev_nc_u32_e32 v18, s13, v15
	v_cmp_le_u32_e32 vcc_lo, s13, v15
	v_cndmask_b32_e32 v15, v15, v18, vcc_lo
	v_dual_mov_b32 v19, v5 :: v_dual_mov_b32 v18, v4
	s_delay_alu instid0(VALU_DEP_2) | instskip(NEXT) | instid1(VALU_DEP_1)
	v_xor_b32_e32 v15, v15, v39
	v_sub_nc_u32_e32 v20, v15, v39
	s_delay_alu instid0(VALU_DEP_1)
	v_ashrrev_i32_e32 v21, 31, v20
	s_branch .LBB89_29
.LBB89_37:
	s_nop 0
	s_sendmsg sendmsg(MSG_DEALLOC_VGPRS)
	s_endpgm
	.section	.rodata,"a",@progbits
	.p2align	6, 0x0
	.amdhsa_kernel _ZN9rocsparseL21csr2bsr_65_inf_kernelILj32E21rocsparse_complex_numIfEliEEv20rocsparse_direction_T2_S4_S4_S4_S4_S4_21rocsparse_index_base_PKT0_PKT1_PKS4_S5_PS6_PS9_PS4_SF_SG_SE_
		.amdhsa_group_segment_fixed_size 0
		.amdhsa_private_segment_fixed_size 0
		.amdhsa_kernarg_size 112
		.amdhsa_user_sgpr_count 15
		.amdhsa_user_sgpr_dispatch_ptr 0
		.amdhsa_user_sgpr_queue_ptr 0
		.amdhsa_user_sgpr_kernarg_segment_ptr 1
		.amdhsa_user_sgpr_dispatch_id 0
		.amdhsa_user_sgpr_private_segment_size 0
		.amdhsa_wavefront_size32 1
		.amdhsa_uses_dynamic_stack 0
		.amdhsa_enable_private_segment 0
		.amdhsa_system_sgpr_workgroup_id_x 1
		.amdhsa_system_sgpr_workgroup_id_y 0
		.amdhsa_system_sgpr_workgroup_id_z 0
		.amdhsa_system_sgpr_workgroup_info 0
		.amdhsa_system_vgpr_workitem_id 0
		.amdhsa_next_free_vgpr 41
		.amdhsa_next_free_sgpr 34
		.amdhsa_reserve_vcc 1
		.amdhsa_float_round_mode_32 0
		.amdhsa_float_round_mode_16_64 0
		.amdhsa_float_denorm_mode_32 3
		.amdhsa_float_denorm_mode_16_64 3
		.amdhsa_dx10_clamp 1
		.amdhsa_ieee_mode 1
		.amdhsa_fp16_overflow 0
		.amdhsa_workgroup_processor_mode 1
		.amdhsa_memory_ordered 1
		.amdhsa_forward_progress 0
		.amdhsa_shared_vgpr_count 0
		.amdhsa_exception_fp_ieee_invalid_op 0
		.amdhsa_exception_fp_denorm_src 0
		.amdhsa_exception_fp_ieee_div_zero 0
		.amdhsa_exception_fp_ieee_overflow 0
		.amdhsa_exception_fp_ieee_underflow 0
		.amdhsa_exception_fp_ieee_inexact 0
		.amdhsa_exception_int_div_zero 0
	.end_amdhsa_kernel
	.section	.text._ZN9rocsparseL21csr2bsr_65_inf_kernelILj32E21rocsparse_complex_numIfEliEEv20rocsparse_direction_T2_S4_S4_S4_S4_S4_21rocsparse_index_base_PKT0_PKT1_PKS4_S5_PS6_PS9_PS4_SF_SG_SE_,"axG",@progbits,_ZN9rocsparseL21csr2bsr_65_inf_kernelILj32E21rocsparse_complex_numIfEliEEv20rocsparse_direction_T2_S4_S4_S4_S4_S4_21rocsparse_index_base_PKT0_PKT1_PKS4_S5_PS6_PS9_PS4_SF_SG_SE_,comdat
.Lfunc_end89:
	.size	_ZN9rocsparseL21csr2bsr_65_inf_kernelILj32E21rocsparse_complex_numIfEliEEv20rocsparse_direction_T2_S4_S4_S4_S4_S4_21rocsparse_index_base_PKT0_PKT1_PKS4_S5_PS6_PS9_PS4_SF_SG_SE_, .Lfunc_end89-_ZN9rocsparseL21csr2bsr_65_inf_kernelILj32E21rocsparse_complex_numIfEliEEv20rocsparse_direction_T2_S4_S4_S4_S4_S4_21rocsparse_index_base_PKT0_PKT1_PKS4_S5_PS6_PS9_PS4_SF_SG_SE_
                                        ; -- End function
	.section	.AMDGPU.csdata,"",@progbits
; Kernel info:
; codeLenInByte = 2296
; NumSgprs: 36
; NumVgprs: 41
; ScratchSize: 0
; MemoryBound: 0
; FloatMode: 240
; IeeeMode: 1
; LDSByteSize: 0 bytes/workgroup (compile time only)
; SGPRBlocks: 4
; VGPRBlocks: 5
; NumSGPRsForWavesPerEU: 36
; NumVGPRsForWavesPerEU: 41
; Occupancy: 16
; WaveLimiterHint : 0
; COMPUTE_PGM_RSRC2:SCRATCH_EN: 0
; COMPUTE_PGM_RSRC2:USER_SGPR: 15
; COMPUTE_PGM_RSRC2:TRAP_HANDLER: 0
; COMPUTE_PGM_RSRC2:TGID_X_EN: 1
; COMPUTE_PGM_RSRC2:TGID_Y_EN: 0
; COMPUTE_PGM_RSRC2:TGID_Z_EN: 0
; COMPUTE_PGM_RSRC2:TIDIG_COMP_CNT: 0
	.section	.text._ZN9rocsparseL35csr2bsr_block_dim_equals_one_kernelILj256E21rocsparse_complex_numIfEilEEvT2_S3_S3_S3_21rocsparse_index_base_PKT0_PKT1_PKS3_S4_PS5_PS8_PS3_,"axG",@progbits,_ZN9rocsparseL35csr2bsr_block_dim_equals_one_kernelILj256E21rocsparse_complex_numIfEilEEvT2_S3_S3_S3_21rocsparse_index_base_PKT0_PKT1_PKS3_S4_PS5_PS8_PS3_,comdat
	.globl	_ZN9rocsparseL35csr2bsr_block_dim_equals_one_kernelILj256E21rocsparse_complex_numIfEilEEvT2_S3_S3_S3_21rocsparse_index_base_PKT0_PKT1_PKS3_S4_PS5_PS8_PS3_ ; -- Begin function _ZN9rocsparseL35csr2bsr_block_dim_equals_one_kernelILj256E21rocsparse_complex_numIfEilEEvT2_S3_S3_S3_21rocsparse_index_base_PKT0_PKT1_PKS3_S4_PS5_PS8_PS3_
	.p2align	8
	.type	_ZN9rocsparseL35csr2bsr_block_dim_equals_one_kernelILj256E21rocsparse_complex_numIfEilEEvT2_S3_S3_S3_21rocsparse_index_base_PKT0_PKT1_PKS3_S4_PS5_PS8_PS3_,@function
_ZN9rocsparseL35csr2bsr_block_dim_equals_one_kernelILj256E21rocsparse_complex_numIfEilEEvT2_S3_S3_S3_21rocsparse_index_base_PKT0_PKT1_PKS3_S4_PS5_PS8_PS3_: ; @_ZN9rocsparseL35csr2bsr_block_dim_equals_one_kernelILj256E21rocsparse_complex_numIfEilEEvT2_S3_S3_S3_21rocsparse_index_base_PKT0_PKT1_PKS3_S4_PS5_PS8_PS3_
; %bb.0:
	s_clause 0x1
	s_load_b64 s[2:3], s[0:1], 0x0
	s_load_b128 s[4:7], s[0:1], 0x28
	v_lshl_or_b32 v0, s15, 8, v0
	s_waitcnt lgkmcnt(0)
	s_lshl_b64 s[2:3], s[2:3], 2
	s_delay_alu instid0(SALU_CYCLE_1)
	s_add_u32 s2, s6, s2
	s_addc_u32 s3, s7, s3
	s_clause 0x1
	s_load_b32 s2, s[2:3], 0x0
	s_load_b32 s3, s[6:7], 0x0
	s_waitcnt lgkmcnt(0)
	s_sub_i32 s10, s2, s3
	s_mov_b32 s2, exec_lo
	v_cmpx_gt_i32_e64 s10, v0
	s_cbranch_execz .LBB90_3
; %bb.1:
	s_clause 0x5
	s_load_b32 s11, s[0:1], 0x40
	s_load_b64 s[2:3], s[0:1], 0x48
	s_load_b32 s12, s[0:1], 0x20
	s_load_b32 s13, s[0:1], 0x60
	s_load_b64 s[6:7], s[0:1], 0x38
	s_load_b64 s[8:9], s[0:1], 0x58
	s_mov_b32 s1, 0
	s_waitcnt lgkmcnt(0)
	s_sub_u32 s11, s11, s12
	s_subb_u32 s12, 0, 0
	s_lshl_b32 s13, s13, 8
	.p2align	6
.LBB90_2:                               ; =>This Inner Loop Header: Depth=1
	v_ashrrev_i32_e32 v1, 31, v0
	s_delay_alu instid0(VALU_DEP_1) | instskip(SKIP_1) | instid1(VALU_DEP_2)
	v_lshlrev_b64 v[1:2], 3, v[0:1]
	v_add_nc_u32_e32 v0, s13, v0
	v_add_co_u32 v3, vcc_lo, s6, v1
	s_delay_alu instid0(VALU_DEP_3)
	v_add_co_ci_u32_e32 v4, vcc_lo, s7, v2, vcc_lo
	v_add_co_u32 v5, vcc_lo, s8, v1
	v_add_co_ci_u32_e32 v6, vcc_lo, s9, v2, vcc_lo
	global_load_b64 v[3:4], v[3:4], off
	s_waitcnt vmcnt(0)
	v_add_co_u32 v3, vcc_lo, s11, v3
	v_add_co_ci_u32_e32 v4, vcc_lo, s12, v4, vcc_lo
	v_add_co_u32 v7, vcc_lo, s4, v1
	v_add_co_ci_u32_e32 v8, vcc_lo, s5, v2, vcc_lo
	global_store_b64 v[5:6], v[3:4], off
	v_cmp_le_i32_e32 vcc_lo, s10, v0
	v_add_co_u32 v1, s0, s2, v1
	global_load_b64 v[3:4], v[7:8], off
	v_add_co_ci_u32_e64 v2, s0, s3, v2, s0
	s_or_b32 s1, vcc_lo, s1
	s_waitcnt vmcnt(0)
	global_store_b64 v[1:2], v[3:4], off
	s_and_not1_b32 exec_lo, exec_lo, s1
	s_cbranch_execnz .LBB90_2
.LBB90_3:
	s_nop 0
	s_sendmsg sendmsg(MSG_DEALLOC_VGPRS)
	s_endpgm
	.section	.rodata,"a",@progbits
	.p2align	6, 0x0
	.amdhsa_kernel _ZN9rocsparseL35csr2bsr_block_dim_equals_one_kernelILj256E21rocsparse_complex_numIfEilEEvT2_S3_S3_S3_21rocsparse_index_base_PKT0_PKT1_PKS3_S4_PS5_PS8_PS3_
		.amdhsa_group_segment_fixed_size 0
		.amdhsa_private_segment_fixed_size 0
		.amdhsa_kernarg_size 352
		.amdhsa_user_sgpr_count 15
		.amdhsa_user_sgpr_dispatch_ptr 0
		.amdhsa_user_sgpr_queue_ptr 0
		.amdhsa_user_sgpr_kernarg_segment_ptr 1
		.amdhsa_user_sgpr_dispatch_id 0
		.amdhsa_user_sgpr_private_segment_size 0
		.amdhsa_wavefront_size32 1
		.amdhsa_uses_dynamic_stack 0
		.amdhsa_enable_private_segment 0
		.amdhsa_system_sgpr_workgroup_id_x 1
		.amdhsa_system_sgpr_workgroup_id_y 0
		.amdhsa_system_sgpr_workgroup_id_z 0
		.amdhsa_system_sgpr_workgroup_info 0
		.amdhsa_system_vgpr_workitem_id 0
		.amdhsa_next_free_vgpr 9
		.amdhsa_next_free_sgpr 16
		.amdhsa_reserve_vcc 1
		.amdhsa_float_round_mode_32 0
		.amdhsa_float_round_mode_16_64 0
		.amdhsa_float_denorm_mode_32 3
		.amdhsa_float_denorm_mode_16_64 3
		.amdhsa_dx10_clamp 1
		.amdhsa_ieee_mode 1
		.amdhsa_fp16_overflow 0
		.amdhsa_workgroup_processor_mode 1
		.amdhsa_memory_ordered 1
		.amdhsa_forward_progress 0
		.amdhsa_shared_vgpr_count 0
		.amdhsa_exception_fp_ieee_invalid_op 0
		.amdhsa_exception_fp_denorm_src 0
		.amdhsa_exception_fp_ieee_div_zero 0
		.amdhsa_exception_fp_ieee_overflow 0
		.amdhsa_exception_fp_ieee_underflow 0
		.amdhsa_exception_fp_ieee_inexact 0
		.amdhsa_exception_int_div_zero 0
	.end_amdhsa_kernel
	.section	.text._ZN9rocsparseL35csr2bsr_block_dim_equals_one_kernelILj256E21rocsparse_complex_numIfEilEEvT2_S3_S3_S3_21rocsparse_index_base_PKT0_PKT1_PKS3_S4_PS5_PS8_PS3_,"axG",@progbits,_ZN9rocsparseL35csr2bsr_block_dim_equals_one_kernelILj256E21rocsparse_complex_numIfEilEEvT2_S3_S3_S3_21rocsparse_index_base_PKT0_PKT1_PKS3_S4_PS5_PS8_PS3_,comdat
.Lfunc_end90:
	.size	_ZN9rocsparseL35csr2bsr_block_dim_equals_one_kernelILj256E21rocsparse_complex_numIfEilEEvT2_S3_S3_S3_21rocsparse_index_base_PKT0_PKT1_PKS3_S4_PS5_PS8_PS3_, .Lfunc_end90-_ZN9rocsparseL35csr2bsr_block_dim_equals_one_kernelILj256E21rocsparse_complex_numIfEilEEvT2_S3_S3_S3_21rocsparse_index_base_PKT0_PKT1_PKS3_S4_PS5_PS8_PS3_
                                        ; -- End function
	.section	.AMDGPU.csdata,"",@progbits
; Kernel info:
; codeLenInByte = 320
; NumSgprs: 18
; NumVgprs: 9
; ScratchSize: 0
; MemoryBound: 0
; FloatMode: 240
; IeeeMode: 1
; LDSByteSize: 0 bytes/workgroup (compile time only)
; SGPRBlocks: 2
; VGPRBlocks: 1
; NumSGPRsForWavesPerEU: 18
; NumVGPRsForWavesPerEU: 9
; Occupancy: 16
; WaveLimiterHint : 0
; COMPUTE_PGM_RSRC2:SCRATCH_EN: 0
; COMPUTE_PGM_RSRC2:USER_SGPR: 15
; COMPUTE_PGM_RSRC2:TRAP_HANDLER: 0
; COMPUTE_PGM_RSRC2:TGID_X_EN: 1
; COMPUTE_PGM_RSRC2:TGID_Y_EN: 0
; COMPUTE_PGM_RSRC2:TGID_Z_EN: 0
; COMPUTE_PGM_RSRC2:TIDIG_COMP_CNT: 0
	.section	.text._ZN9rocsparseL42csr2bsr_wavefront_per_row_multipass_kernelILj256ELj16ELj4E21rocsparse_complex_numIfEilEEv20rocsparse_direction_T4_S4_S4_S4_S4_21rocsparse_index_base_PKT2_PKT3_PKS4_S5_PS6_PS9_PS4_,"axG",@progbits,_ZN9rocsparseL42csr2bsr_wavefront_per_row_multipass_kernelILj256ELj16ELj4E21rocsparse_complex_numIfEilEEv20rocsparse_direction_T4_S4_S4_S4_S4_21rocsparse_index_base_PKT2_PKT3_PKS4_S5_PS6_PS9_PS4_,comdat
	.globl	_ZN9rocsparseL42csr2bsr_wavefront_per_row_multipass_kernelILj256ELj16ELj4E21rocsparse_complex_numIfEilEEv20rocsparse_direction_T4_S4_S4_S4_S4_21rocsparse_index_base_PKT2_PKT3_PKS4_S5_PS6_PS9_PS4_ ; -- Begin function _ZN9rocsparseL42csr2bsr_wavefront_per_row_multipass_kernelILj256ELj16ELj4E21rocsparse_complex_numIfEilEEv20rocsparse_direction_T4_S4_S4_S4_S4_21rocsparse_index_base_PKT2_PKT3_PKS4_S5_PS6_PS9_PS4_
	.p2align	8
	.type	_ZN9rocsparseL42csr2bsr_wavefront_per_row_multipass_kernelILj256ELj16ELj4E21rocsparse_complex_numIfEilEEv20rocsparse_direction_T4_S4_S4_S4_S4_21rocsparse_index_base_PKT2_PKT3_PKS4_S5_PS6_PS9_PS4_,@function
_ZN9rocsparseL42csr2bsr_wavefront_per_row_multipass_kernelILj256ELj16ELj4E21rocsparse_complex_numIfEilEEv20rocsparse_direction_T4_S4_S4_S4_S4_21rocsparse_index_base_PKT2_PKT3_PKS4_S5_PS6_PS9_PS4_: ; @_ZN9rocsparseL42csr2bsr_wavefront_per_row_multipass_kernelILj256ELj16ELj4E21rocsparse_complex_numIfEilEEv20rocsparse_direction_T4_S4_S4_S4_S4_21rocsparse_index_base_PKT2_PKT3_PKS4_S5_PS6_PS9_PS4_
; %bb.0:
	s_load_b64 s[8:9], s[0:1], 0x28
	v_lshrrev_b32_e32 v19, 4, v0
	s_mov_b32 s10, s15
	s_ashr_i32 s11, s15, 31
	s_clause 0x1
	s_load_b64 s[14:15], s[0:1], 0x8
	s_load_b128 s[4:7], s[0:1], 0x18
	s_lshl_b64 s[2:3], s[10:11], 4
	v_mov_b32_e32 v2, 0
	v_or_b32_e32 v5, s2, v19
	v_bfe_u32 v1, v0, 2, 2
	s_clause 0x1
	s_load_b32 s16, s[0:1], 0x30
	s_load_b64 s[12:13], s[0:1], 0x40
	v_mov_b32_e32 v12, v2
	s_waitcnt lgkmcnt(0)
	v_mul_lo_u32 v6, v5, s9
	v_mad_u64_u32 v[3:4], null, v5, s8, v[1:2]
	s_mul_i32 s2, s3, s8
	s_delay_alu instid0(VALU_DEP_1) | instid1(SALU_CYCLE_1)
	v_add3_u32 v4, s2, v4, v6
	v_cmp_gt_i64_e64 s2, s[8:9], v[1:2]
	s_delay_alu instid0(VALU_DEP_2) | instskip(NEXT) | instid1(VALU_DEP_2)
	v_cmp_gt_i64_e32 vcc_lo, s[14:15], v[3:4]
	s_and_b32 s3, s2, vcc_lo
	s_delay_alu instid0(SALU_CYCLE_1)
	s_and_saveexec_b32 s11, s3
	s_cbranch_execz .LBB91_2
; %bb.1:
	v_lshlrev_b64 v[5:6], 2, v[3:4]
	s_delay_alu instid0(VALU_DEP_1) | instskip(NEXT) | instid1(VALU_DEP_2)
	v_add_co_u32 v5, vcc_lo, s12, v5
	v_add_co_ci_u32_e32 v6, vcc_lo, s13, v6, vcc_lo
	global_load_b32 v5, v[5:6], off
	s_waitcnt vmcnt(0)
	v_subrev_nc_u32_e32 v12, s16, v5
.LBB91_2:
	s_or_b32 exec_lo, exec_lo, s11
	s_and_saveexec_b32 s11, s3
	s_cbranch_execz .LBB91_4
; %bb.3:
	v_lshlrev_b64 v[2:3], 2, v[3:4]
	s_delay_alu instid0(VALU_DEP_1) | instskip(NEXT) | instid1(VALU_DEP_2)
	v_add_co_u32 v2, vcc_lo, s12, v2
	v_add_co_ci_u32_e32 v3, vcc_lo, s13, v3, vcc_lo
	global_load_b32 v2, v[2:3], off offset:4
	s_waitcnt vmcnt(0)
	v_subrev_nc_u32_e32 v2, s16, v2
.LBB91_4:
	s_or_b32 exec_lo, exec_lo, s11
	s_load_b32 s17, s[0:1], 0x50
	v_mov_b32_e32 v5, 0
	v_lshl_or_b32 v4, s10, 4, v19
	s_mov_b32 s3, exec_lo
	s_delay_alu instid0(VALU_DEP_2) | instskip(NEXT) | instid1(VALU_DEP_2)
	v_mov_b32_e32 v3, v5
	v_cmpx_gt_i64_e64 s[4:5], v[4:5]
	s_cbranch_execz .LBB91_6
; %bb.5:
	s_load_b64 s[4:5], s[0:1], 0x60
	v_lshlrev_b64 v[3:4], 2, v[4:5]
	s_waitcnt lgkmcnt(0)
	s_delay_alu instid0(VALU_DEP_1) | instskip(NEXT) | instid1(VALU_DEP_2)
	v_add_co_u32 v3, vcc_lo, s4, v3
	v_add_co_ci_u32_e32 v4, vcc_lo, s5, v4, vcc_lo
	global_load_b32 v3, v[3:4], off
	s_waitcnt vmcnt(0)
	v_subrev_nc_u32_e32 v3, s17, v3
.LBB91_6:
	s_or_b32 exec_lo, exec_lo, s3
	v_cmp_lt_i64_e64 s3, s[6:7], 1
	s_delay_alu instid0(VALU_DEP_1)
	s_and_b32 vcc_lo, exec_lo, s3
	s_cbranch_vccnz .LBB91_25
; %bb.7:
	v_mbcnt_lo_u32_b32 v15, -1, 0
	v_and_b32_e32 v5, 3, v0
	v_and_b32_e32 v4, 0x3f0, v0
	v_mad_u64_u32 v[9:10], null, v1, s8, 0
	s_delay_alu instid0(VALU_DEP_4) | instskip(NEXT) | instid1(VALU_DEP_4)
	v_xor_b32_e32 v0, 2, v15
	v_mad_u64_u32 v[7:8], null, v5, s8, 0
	s_delay_alu instid0(VALU_DEP_4) | instskip(SKIP_1) | instid1(VALU_DEP_4)
	v_lshl_or_b32 v20, v1, 2, v4
	v_xor_b32_e32 v6, 1, v15
	v_cmp_gt_i32_e32 vcc_lo, 32, v0
	s_clause 0x4
	s_load_b64 s[4:5], s[0:1], 0x68
	s_load_b64 s[14:15], s[0:1], 0x58
	;; [unrolled: 1-line block ×4, first 2 shown]
	s_load_b32 s0, s[0:1], 0x0
	s_mul_i32 s3, s8, s9
	v_dual_mov_b32 v30, 1 :: v_dual_cndmask_b32 v11, v15, v0
	v_mov_b32_e32 v0, v8
	v_or_b32_e32 v4, v20, v5
	v_cmp_gt_i32_e32 vcc_lo, 32, v6
	s_mov_b32 s1, 0
	s_mul_i32 s19, s8, s8
	v_mad_u64_u32 v[13:14], null, v5, s9, v[0:1]
	v_dual_cndmask_b32 v6, v15, v6 :: v_dual_lshlrev_b32 v21, 3, v4
	v_mov_b32_e32 v4, v10
	v_lshlrev_b32_e32 v22, 2, v11
	s_delay_alu instid0(VALU_DEP_3) | instskip(SKIP_1) | instid1(VALU_DEP_4)
	v_dual_mov_b32 v0, 0 :: v_dual_lshlrev_b32 v23, 2, v6
	v_mov_b32_e32 v8, v13
	v_mad_u64_u32 v[10:11], null, v1, s9, v[4:5]
	s_delay_alu instid0(VALU_DEP_3) | instskip(NEXT) | instid1(VALU_DEP_3)
	v_dual_mov_b32 v6, v0 :: v_dual_lshlrev_b32 v1, 3, v1
	v_lshlrev_b64 v[7:8], 3, v[7:8]
	s_waitcnt lgkmcnt(0)
	s_cmp_eq_u32 s0, 0
	s_mul_hi_u32 s0, s8, s8
	v_dual_mov_b32 v31, 0 :: v_dual_lshlrev_b32 v14, 2, v15
	s_delay_alu instid0(VALU_DEP_2) | instskip(SKIP_2) | instid1(VALU_DEP_3)
	v_add_co_u32 v4, vcc_lo, s14, v7
	v_add_co_ci_u32_e32 v11, vcc_lo, s15, v8, vcc_lo
	v_lshlrev_b64 v[7:8], 3, v[9:10]
	v_add_co_u32 v1, vcc_lo, v4, v1
	s_delay_alu instid0(VALU_DEP_3) | instskip(SKIP_1) | instid1(VALU_DEP_4)
	v_add_co_ci_u32_e32 v4, vcc_lo, 0, v11, vcc_lo
	v_lshlrev_b32_e32 v9, 3, v5
	v_add_co_u32 v7, vcc_lo, s14, v7
	v_add_co_ci_u32_e32 v8, vcc_lo, s15, v8, vcc_lo
	v_xor_b32_e32 v10, 8, v15
	s_delay_alu instid0(VALU_DEP_3) | instskip(NEXT) | instid1(VALU_DEP_3)
	v_add_co_u32 v7, vcc_lo, v7, v9
	v_add_co_ci_u32_e32 v8, vcc_lo, 0, v8, vcc_lo
	v_xor_b32_e32 v9, 4, v15
	s_cselect_b32 vcc_lo, -1, 0
	s_add_i32 s14, s0, s3
	v_cmp_gt_i32_e64 s0, 32, v10
	v_dual_cndmask_b32 v28, v4, v8 :: v_dual_cndmask_b32 v29, v1, v7
	v_mov_b32_e32 v7, v0
	v_or_b32_e32 v24, 12, v14
	s_delay_alu instid0(VALU_DEP_4)
	v_cndmask_b32_e64 v10, v15, v10, s0
	v_cmp_gt_i32_e64 s0, 32, v9
	v_or_b32_e32 v27, 60, v14
	s_add_i32 s18, s14, s3
	s_sub_i32 s21, 0, s8
	v_lshlrev_b32_e32 v25, 2, v10
	v_cndmask_b32_e64 v9, v15, v9, s0
	v_cmp_gt_u64_e64 s0, s[8:9], v[5:6]
	v_mov_b32_e32 v10, 0
	v_dual_mov_b32 v11, 0 :: v_dual_mov_b32 v6, 0
	s_delay_alu instid0(VALU_DEP_4) | instskip(NEXT) | instid1(VALU_DEP_4)
	v_lshlrev_b32_e32 v26, 2, v9
	s_and_b32 s20, s2, s0
	s_ashr_i32 s2, s9, 31
	s_branch .LBB91_10
.LBB91_8:                               ;   in Loop: Header=BB91_10 Depth=1
	s_or_b32 exec_lo, exec_lo, s3
	v_mov_b32_e32 v1, 1
.LBB91_9:                               ;   in Loop: Header=BB91_10 Depth=1
	s_or_b32 exec_lo, exec_lo, s0
	ds_bpermute_b32 v10, v25, v8
	ds_bpermute_b32 v11, v25, v9
	s_waitcnt lgkmcnt(0)
	s_waitcnt_vscnt null, 0x0
	buffer_gl0_inv
	buffer_gl0_inv
	v_add_nc_u32_e32 v3, v1, v3
	v_cmp_lt_i64_e32 vcc_lo, v[10:11], v[8:9]
	v_dual_cndmask_b32 v9, v9, v11 :: v_dual_cndmask_b32 v8, v8, v10
	ds_bpermute_b32 v11, v26, v9
	ds_bpermute_b32 v10, v26, v8
	s_waitcnt lgkmcnt(0)
	v_cmp_lt_i64_e32 vcc_lo, v[10:11], v[8:9]
	v_dual_cndmask_b32 v9, v9, v11 :: v_dual_cndmask_b32 v8, v8, v10
	ds_bpermute_b32 v11, v22, v9
	ds_bpermute_b32 v10, v22, v8
	s_waitcnt lgkmcnt(0)
	;; [unrolled: 5-line block ×3, first 2 shown]
	v_cmp_lt_i64_e32 vcc_lo, v[10:11], v[8:9]
	v_cndmask_b32_e32 v4, v8, v10, vcc_lo
	ds_bpermute_b32 v10, v27, v4
	s_waitcnt lgkmcnt(0)
	v_ashrrev_i32_e32 v11, 31, v10
	v_mov_b32_e32 v31, v10
	s_delay_alu instid0(VALU_DEP_2) | instskip(SKIP_1) | instid1(SALU_CYCLE_1)
	v_cmp_le_i64_e32 vcc_lo, s[6:7], v[10:11]
	s_or_b32 s1, vcc_lo, s1
	s_and_not1_b32 exec_lo, exec_lo, s1
	s_cbranch_execz .LBB91_25
.LBB91_10:                              ; =>This Loop Header: Depth=1
                                        ;     Child Loop BB91_13 Depth 2
	v_dual_mov_b32 v9, s7 :: v_dual_add_nc_u32 v12, v12, v5
	v_dual_mov_b32 v8, s6 :: v_dual_mov_b32 v1, v2
	s_mov_b32 s22, exec_lo
	ds_store_b8 v19, v0 offset:2048
	ds_store_b64 v21, v[6:7]
	s_waitcnt lgkmcnt(0)
	buffer_gl0_inv
	v_cmpx_lt_i32_e64 v12, v2
	s_cbranch_execz .LBB91_22
; %bb.11:                               ;   in Loop: Header=BB91_10 Depth=1
	v_mad_u64_u32 v[14:15], null, v10, s8, 0
	v_dual_mov_b32 v9, s7 :: v_dual_mov_b32 v8, s6
	v_mov_b32_e32 v4, v2
	s_mov_b32 s23, 0
	s_branch .LBB91_13
.LBB91_12:                              ;   in Loop: Header=BB91_13 Depth=2
	s_or_b32 exec_lo, exec_lo, s3
	v_add_nc_u32_e32 v12, 4, v12
	s_xor_b32 s3, vcc_lo, -1
	v_mov_b32_e32 v4, v1
	s_delay_alu instid0(VALU_DEP_2) | instskip(NEXT) | instid1(VALU_DEP_1)
	v_cmp_ge_i32_e64 s0, v12, v2
	s_or_b32 s0, s3, s0
	s_delay_alu instid0(SALU_CYCLE_1) | instskip(NEXT) | instid1(SALU_CYCLE_1)
	s_and_b32 s0, exec_lo, s0
	s_or_b32 s23, s0, s23
	s_delay_alu instid0(SALU_CYCLE_1)
	s_and_not1_b32 exec_lo, exec_lo, s23
	s_cbranch_execz .LBB91_21
.LBB91_13:                              ;   Parent Loop BB91_10 Depth=1
                                        ; =>  This Inner Loop Header: Depth=2
	v_ashrrev_i32_e32 v13, 31, v12
	s_mov_b32 s0, exec_lo
	s_delay_alu instid0(VALU_DEP_1) | instskip(NEXT) | instid1(VALU_DEP_1)
	v_lshlrev_b64 v[15:16], 3, v[12:13]
	v_add_co_u32 v17, vcc_lo, s10, v15
	s_delay_alu instid0(VALU_DEP_2) | instskip(SKIP_4) | instid1(VALU_DEP_1)
	v_add_co_ci_u32_e32 v18, vcc_lo, s11, v16, vcc_lo
	global_load_b64 v[17:18], v[17:18], off
	s_waitcnt vmcnt(0)
	v_sub_co_u32 v13, vcc_lo, v17, s16
	v_subrev_co_ci_u32_e32 v32, vcc_lo, 0, v18, vcc_lo
                                        ; implicit-def: $vgpr17_vgpr18
	v_or_b32_e32 v1, s9, v32
	s_delay_alu instid0(VALU_DEP_1)
	v_cmpx_ne_u64_e32 0, v[0:1]
	s_xor_b32 s24, exec_lo, s0
	s_cbranch_execz .LBB91_15
; %bb.14:                               ;   in Loop: Header=BB91_13 Depth=2
	s_add_u32 s14, s8, s2
	s_mov_b32 s3, s2
	s_addc_u32 s15, s9, s2
	s_delay_alu instid0(SALU_CYCLE_1) | instskip(NEXT) | instid1(SALU_CYCLE_1)
	s_xor_b64 s[14:15], s[14:15], s[2:3]
	v_cvt_f32_u32_e32 v1, s14
	v_cvt_f32_u32_e32 v17, s15
	s_sub_u32 s0, 0, s14
	s_subb_u32 s3, 0, s15
	s_delay_alu instid0(VALU_DEP_1) | instskip(NEXT) | instid1(VALU_DEP_1)
	v_fmac_f32_e32 v1, 0x4f800000, v17
	v_rcp_f32_e32 v1, v1
	s_waitcnt_depctr 0xfff
	v_mul_f32_e32 v1, 0x5f7ffffc, v1
	s_delay_alu instid0(VALU_DEP_1) | instskip(NEXT) | instid1(VALU_DEP_1)
	v_mul_f32_e32 v17, 0x2f800000, v1
	v_trunc_f32_e32 v17, v17
	s_delay_alu instid0(VALU_DEP_1) | instskip(SKIP_1) | instid1(VALU_DEP_2)
	v_fmac_f32_e32 v1, 0xcf800000, v17
	v_cvt_u32_f32_e32 v17, v17
	v_cvt_u32_f32_e32 v1, v1
	s_delay_alu instid0(VALU_DEP_2) | instskip(NEXT) | instid1(VALU_DEP_2)
	v_mul_lo_u32 v18, s0, v17
	v_mul_hi_u32 v33, s0, v1
	v_mul_lo_u32 v34, s3, v1
	s_delay_alu instid0(VALU_DEP_2) | instskip(SKIP_1) | instid1(VALU_DEP_2)
	v_add_nc_u32_e32 v18, v33, v18
	v_mul_lo_u32 v33, s0, v1
	v_add_nc_u32_e32 v18, v18, v34
	s_delay_alu instid0(VALU_DEP_2) | instskip(NEXT) | instid1(VALU_DEP_2)
	v_mul_hi_u32 v34, v1, v33
	v_mul_lo_u32 v35, v1, v18
	v_mul_hi_u32 v36, v1, v18
	v_mul_hi_u32 v37, v17, v33
	v_mul_lo_u32 v33, v17, v33
	v_mul_hi_u32 v38, v17, v18
	v_mul_lo_u32 v18, v17, v18
	v_add_co_u32 v34, vcc_lo, v34, v35
	v_add_co_ci_u32_e32 v35, vcc_lo, 0, v36, vcc_lo
	s_delay_alu instid0(VALU_DEP_2) | instskip(NEXT) | instid1(VALU_DEP_2)
	v_add_co_u32 v33, vcc_lo, v34, v33
	v_add_co_ci_u32_e32 v33, vcc_lo, v35, v37, vcc_lo
	v_add_co_ci_u32_e32 v34, vcc_lo, 0, v38, vcc_lo
	v_ashrrev_i32_e32 v37, 31, v32
	s_delay_alu instid0(VALU_DEP_3) | instskip(NEXT) | instid1(VALU_DEP_3)
	v_add_co_u32 v18, vcc_lo, v33, v18
	v_add_co_ci_u32_e32 v33, vcc_lo, 0, v34, vcc_lo
	s_delay_alu instid0(VALU_DEP_2) | instskip(NEXT) | instid1(VALU_DEP_2)
	v_add_co_u32 v1, vcc_lo, v1, v18
	v_add_co_ci_u32_e32 v17, vcc_lo, v17, v33, vcc_lo
	s_delay_alu instid0(VALU_DEP_2) | instskip(SKIP_1) | instid1(VALU_DEP_3)
	v_mul_hi_u32 v18, s0, v1
	v_mul_lo_u32 v34, s3, v1
	v_mul_lo_u32 v33, s0, v17
	s_delay_alu instid0(VALU_DEP_1) | instskip(SKIP_1) | instid1(VALU_DEP_2)
	v_add_nc_u32_e32 v18, v18, v33
	v_mul_lo_u32 v33, s0, v1
	v_add_nc_u32_e32 v18, v18, v34
	s_delay_alu instid0(VALU_DEP_2) | instskip(NEXT) | instid1(VALU_DEP_2)
	v_mul_hi_u32 v34, v1, v33
	v_mul_lo_u32 v35, v1, v18
	v_mul_hi_u32 v36, v1, v18
	v_mul_hi_u32 v38, v17, v33
	v_mul_lo_u32 v33, v17, v33
	v_mul_hi_u32 v39, v17, v18
	v_mul_lo_u32 v18, v17, v18
	v_add_co_u32 v34, vcc_lo, v34, v35
	v_add_co_ci_u32_e32 v35, vcc_lo, 0, v36, vcc_lo
	s_delay_alu instid0(VALU_DEP_2) | instskip(NEXT) | instid1(VALU_DEP_2)
	v_add_co_u32 v33, vcc_lo, v34, v33
	v_add_co_ci_u32_e32 v33, vcc_lo, v35, v38, vcc_lo
	v_add_co_ci_u32_e32 v34, vcc_lo, 0, v39, vcc_lo
	v_add_co_u32 v35, vcc_lo, v13, v37
	v_add_co_ci_u32_e32 v32, vcc_lo, v32, v37, vcc_lo
	s_delay_alu instid0(VALU_DEP_4) | instskip(NEXT) | instid1(VALU_DEP_4)
	v_add_co_u32 v18, vcc_lo, v33, v18
	v_add_co_ci_u32_e32 v33, vcc_lo, 0, v34, vcc_lo
	s_delay_alu instid0(VALU_DEP_4) | instskip(NEXT) | instid1(VALU_DEP_3)
	v_xor_b32_e32 v36, v35, v37
	v_add_co_u32 v1, vcc_lo, v1, v18
	s_delay_alu instid0(VALU_DEP_3) | instskip(SKIP_1) | instid1(VALU_DEP_3)
	v_add_co_ci_u32_e32 v38, vcc_lo, v17, v33, vcc_lo
	v_xor_b32_e32 v39, v32, v37
	v_mul_hi_u32 v40, v36, v1
	s_delay_alu instid0(VALU_DEP_3) | instskip(NEXT) | instid1(VALU_DEP_3)
	v_mad_u64_u32 v[17:18], null, v36, v38, 0
	v_mad_u64_u32 v[32:33], null, v39, v1, 0
	;; [unrolled: 1-line block ×3, first 2 shown]
	s_delay_alu instid0(VALU_DEP_3) | instskip(NEXT) | instid1(VALU_DEP_4)
	v_add_co_u32 v1, vcc_lo, v40, v17
	v_add_co_ci_u32_e32 v17, vcc_lo, 0, v18, vcc_lo
	s_delay_alu instid0(VALU_DEP_2) | instskip(NEXT) | instid1(VALU_DEP_2)
	v_add_co_u32 v1, vcc_lo, v1, v32
	v_add_co_ci_u32_e32 v1, vcc_lo, v17, v33, vcc_lo
	v_add_co_ci_u32_e32 v17, vcc_lo, 0, v35, vcc_lo
	s_delay_alu instid0(VALU_DEP_2) | instskip(NEXT) | instid1(VALU_DEP_2)
	v_add_co_u32 v1, vcc_lo, v1, v34
	v_add_co_ci_u32_e32 v32, vcc_lo, 0, v17, vcc_lo
	s_delay_alu instid0(VALU_DEP_2) | instskip(SKIP_1) | instid1(VALU_DEP_3)
	v_mul_lo_u32 v33, s15, v1
	v_mad_u64_u32 v[17:18], null, s14, v1, 0
	v_mul_lo_u32 v34, s14, v32
	s_delay_alu instid0(VALU_DEP_2) | instskip(NEXT) | instid1(VALU_DEP_2)
	v_sub_co_u32 v17, vcc_lo, v36, v17
	v_add3_u32 v18, v18, v34, v33
	s_delay_alu instid0(VALU_DEP_1) | instskip(NEXT) | instid1(VALU_DEP_1)
	v_sub_nc_u32_e32 v33, v39, v18
	v_subrev_co_ci_u32_e64 v33, s0, s15, v33, vcc_lo
	v_add_co_u32 v34, s0, v1, 2
	s_delay_alu instid0(VALU_DEP_1) | instskip(SKIP_3) | instid1(VALU_DEP_3)
	v_add_co_ci_u32_e64 v35, s0, 0, v32, s0
	v_sub_co_u32 v36, s0, v17, s14
	v_sub_co_ci_u32_e32 v18, vcc_lo, v39, v18, vcc_lo
	v_subrev_co_ci_u32_e64 v33, s0, 0, v33, s0
	v_cmp_le_u32_e32 vcc_lo, s14, v36
	s_delay_alu instid0(VALU_DEP_3) | instskip(SKIP_1) | instid1(VALU_DEP_4)
	v_cmp_eq_u32_e64 s0, s15, v18
	v_cndmask_b32_e64 v36, 0, -1, vcc_lo
	v_cmp_le_u32_e32 vcc_lo, s15, v33
	v_cndmask_b32_e64 v38, 0, -1, vcc_lo
	v_cmp_le_u32_e32 vcc_lo, s14, v17
	;; [unrolled: 2-line block ×3, first 2 shown]
	v_cndmask_b32_e64 v39, 0, -1, vcc_lo
	v_cmp_eq_u32_e32 vcc_lo, s15, v33
	s_delay_alu instid0(VALU_DEP_2) | instskip(SKIP_3) | instid1(VALU_DEP_3)
	v_cndmask_b32_e64 v17, v39, v17, s0
	v_cndmask_b32_e32 v33, v38, v36, vcc_lo
	v_add_co_u32 v36, vcc_lo, v1, 1
	v_add_co_ci_u32_e32 v38, vcc_lo, 0, v32, vcc_lo
	v_cmp_ne_u32_e32 vcc_lo, 0, v33
	s_delay_alu instid0(VALU_DEP_2) | instskip(SKIP_2) | instid1(VALU_DEP_3)
	v_dual_cndmask_b32 v33, v36, v34 :: v_dual_cndmask_b32 v18, v38, v35
	v_cmp_ne_u32_e32 vcc_lo, 0, v17
	v_xor_b32_e32 v34, s2, v37
	v_cndmask_b32_e32 v1, v1, v33, vcc_lo
	s_delay_alu instid0(VALU_DEP_4) | instskip(NEXT) | instid1(VALU_DEP_2)
	v_cndmask_b32_e32 v17, v32, v18, vcc_lo
	v_xor_b32_e32 v1, v1, v34
	s_delay_alu instid0(VALU_DEP_2) | instskip(NEXT) | instid1(VALU_DEP_2)
	v_xor_b32_e32 v18, v17, v34
	v_sub_co_u32 v17, vcc_lo, v1, v34
	s_delay_alu instid0(VALU_DEP_2)
	v_sub_co_ci_u32_e32 v18, vcc_lo, v18, v34, vcc_lo
.LBB91_15:                              ;   in Loop: Header=BB91_13 Depth=2
	s_and_not1_saveexec_b32 s0, s24
	s_cbranch_execz .LBB91_17
; %bb.16:                               ;   in Loop: Header=BB91_13 Depth=2
	v_cvt_f32_u32_e32 v1, s8
	s_delay_alu instid0(VALU_DEP_1) | instskip(SKIP_2) | instid1(VALU_DEP_1)
	v_rcp_iflag_f32_e32 v1, v1
	s_waitcnt_depctr 0xfff
	v_mul_f32_e32 v1, 0x4f7ffffe, v1
	v_cvt_u32_f32_e32 v1, v1
	s_delay_alu instid0(VALU_DEP_1) | instskip(NEXT) | instid1(VALU_DEP_1)
	v_mul_lo_u32 v17, s21, v1
	v_mul_hi_u32 v17, v1, v17
	s_delay_alu instid0(VALU_DEP_1) | instskip(NEXT) | instid1(VALU_DEP_1)
	v_add_nc_u32_e32 v1, v1, v17
	v_mul_hi_u32 v1, v13, v1
	s_delay_alu instid0(VALU_DEP_1) | instskip(NEXT) | instid1(VALU_DEP_1)
	v_mul_lo_u32 v17, v1, s8
	v_sub_nc_u32_e32 v17, v13, v17
	s_delay_alu instid0(VALU_DEP_1) | instskip(SKIP_1) | instid1(VALU_DEP_2)
	v_subrev_nc_u32_e32 v32, s8, v17
	v_cmp_le_u32_e32 vcc_lo, s8, v17
	v_dual_cndmask_b32 v17, v17, v32 :: v_dual_add_nc_u32 v18, 1, v1
	s_delay_alu instid0(VALU_DEP_1) | instskip(NEXT) | instid1(VALU_DEP_2)
	v_cndmask_b32_e32 v1, v1, v18, vcc_lo
	v_cmp_le_u32_e32 vcc_lo, s8, v17
	s_delay_alu instid0(VALU_DEP_2) | instskip(NEXT) | instid1(VALU_DEP_1)
	v_add_nc_u32_e32 v18, 1, v1
	v_dual_cndmask_b32 v17, v1, v18 :: v_dual_mov_b32 v18, v0
.LBB91_17:                              ;   in Loop: Header=BB91_13 Depth=2
	s_or_b32 exec_lo, exec_lo, s0
	s_delay_alu instid0(VALU_DEP_1)
	v_cmp_eq_u64_e32 vcc_lo, v[17:18], v[10:11]
	s_mov_b32 s3, exec_lo
	v_cmpx_ne_u64_e64 v[17:18], v[10:11]
	s_xor_b32 s3, exec_lo, s3
; %bb.18:                               ;   in Loop: Header=BB91_13 Depth=2
	v_cmp_lt_i64_e64 s0, v[17:18], v[8:9]
                                        ; implicit-def: $vgpr15_vgpr16
                                        ; implicit-def: $vgpr13
                                        ; implicit-def: $vgpr4
	s_delay_alu instid0(VALU_DEP_1)
	v_cndmask_b32_e64 v9, v9, v18, s0
	v_cndmask_b32_e64 v8, v8, v17, s0
; %bb.19:                               ;   in Loop: Header=BB91_13 Depth=2
	s_or_saveexec_b32 s3, s3
	v_mov_b32_e32 v1, v12
	s_xor_b32 exec_lo, exec_lo, s3
	s_cbranch_execz .LBB91_12
; %bb.20:                               ;   in Loop: Header=BB91_13 Depth=2
	v_add_co_u32 v15, s0, s12, v15
	s_delay_alu instid0(VALU_DEP_1)
	v_add_co_ci_u32_e64 v16, s0, s13, v16, s0
	v_sub_nc_u32_e32 v1, v13, v14
	global_load_b64 v[15:16], v[15:16], off
	v_add_lshl_u32 v13, v20, v1, 3
	v_mov_b32_e32 v1, v4
	ds_store_b8 v19, v30 offset:2048
	s_waitcnt vmcnt(0)
	ds_store_b64 v13, v[15:16]
	s_branch .LBB91_12
.LBB91_21:                              ;   in Loop: Header=BB91_10 Depth=1
	s_or_b32 exec_lo, exec_lo, s23
.LBB91_22:                              ;   in Loop: Header=BB91_10 Depth=1
	s_delay_alu instid0(SALU_CYCLE_1)
	s_or_b32 exec_lo, exec_lo, s22
	ds_bpermute_b32 v4, v22, v1
	s_waitcnt lgkmcnt(0)
	buffer_gl0_inv
	ds_load_u8 v10, v19 offset:2048
	v_min_i32_e32 v1, v4, v1
	ds_bpermute_b32 v4, v23, v1
	s_waitcnt lgkmcnt(0)
	v_min_i32_e32 v1, v4, v1
	ds_bpermute_b32 v12, v24, v1
	v_and_b32_e32 v1, 1, v10
	s_delay_alu instid0(VALU_DEP_1)
	v_cmp_eq_u32_e32 vcc_lo, 1, v1
	v_mov_b32_e32 v1, 0
	s_and_saveexec_b32 s0, vcc_lo
	s_cbranch_execz .LBB91_9
; %bb.23:                               ;   in Loop: Header=BB91_10 Depth=1
	v_ashrrev_i32_e32 v4, 31, v3
	v_add_nc_u32_e32 v10, s17, v31
	s_delay_alu instid0(VALU_DEP_2) | instskip(NEXT) | instid1(VALU_DEP_2)
	v_lshlrev_b64 v[13:14], 3, v[3:4]
	v_ashrrev_i32_e32 v11, 31, v10
	s_delay_alu instid0(VALU_DEP_2) | instskip(NEXT) | instid1(VALU_DEP_3)
	v_add_co_u32 v13, vcc_lo, s4, v13
	v_add_co_ci_u32_e32 v14, vcc_lo, s5, v14, vcc_lo
	global_store_b64 v[13:14], v[10:11], off
	s_and_saveexec_b32 s3, s20
	s_cbranch_execz .LBB91_8
; %bb.24:                               ;   in Loop: Header=BB91_10 Depth=1
	v_mul_lo_u32 v1, s18, v3
	v_mul_lo_u32 v4, s19, v4
	v_mad_u64_u32 v[10:11], null, s19, v3, 0
	ds_load_b64 v[13:14], v21
	v_add3_u32 v11, v11, v4, v1
	s_delay_alu instid0(VALU_DEP_1) | instskip(NEXT) | instid1(VALU_DEP_1)
	v_lshlrev_b64 v[10:11], 3, v[10:11]
	v_add_co_u32 v10, vcc_lo, v29, v10
	s_delay_alu instid0(VALU_DEP_2)
	v_add_co_ci_u32_e32 v11, vcc_lo, v28, v11, vcc_lo
	s_waitcnt lgkmcnt(0)
	global_store_b64 v[10:11], v[13:14], off
	s_branch .LBB91_8
.LBB91_25:
	s_endpgm
	.section	.rodata,"a",@progbits
	.p2align	6, 0x0
	.amdhsa_kernel _ZN9rocsparseL42csr2bsr_wavefront_per_row_multipass_kernelILj256ELj16ELj4E21rocsparse_complex_numIfEilEEv20rocsparse_direction_T4_S4_S4_S4_S4_21rocsparse_index_base_PKT2_PKT3_PKS4_S5_PS6_PS9_PS4_
		.amdhsa_group_segment_fixed_size 2064
		.amdhsa_private_segment_fixed_size 0
		.amdhsa_kernarg_size 112
		.amdhsa_user_sgpr_count 15
		.amdhsa_user_sgpr_dispatch_ptr 0
		.amdhsa_user_sgpr_queue_ptr 0
		.amdhsa_user_sgpr_kernarg_segment_ptr 1
		.amdhsa_user_sgpr_dispatch_id 0
		.amdhsa_user_sgpr_private_segment_size 0
		.amdhsa_wavefront_size32 1
		.amdhsa_uses_dynamic_stack 0
		.amdhsa_enable_private_segment 0
		.amdhsa_system_sgpr_workgroup_id_x 1
		.amdhsa_system_sgpr_workgroup_id_y 0
		.amdhsa_system_sgpr_workgroup_id_z 0
		.amdhsa_system_sgpr_workgroup_info 0
		.amdhsa_system_vgpr_workitem_id 0
		.amdhsa_next_free_vgpr 41
		.amdhsa_next_free_sgpr 25
		.amdhsa_reserve_vcc 1
		.amdhsa_float_round_mode_32 0
		.amdhsa_float_round_mode_16_64 0
		.amdhsa_float_denorm_mode_32 3
		.amdhsa_float_denorm_mode_16_64 3
		.amdhsa_dx10_clamp 1
		.amdhsa_ieee_mode 1
		.amdhsa_fp16_overflow 0
		.amdhsa_workgroup_processor_mode 1
		.amdhsa_memory_ordered 1
		.amdhsa_forward_progress 0
		.amdhsa_shared_vgpr_count 0
		.amdhsa_exception_fp_ieee_invalid_op 0
		.amdhsa_exception_fp_denorm_src 0
		.amdhsa_exception_fp_ieee_div_zero 0
		.amdhsa_exception_fp_ieee_overflow 0
		.amdhsa_exception_fp_ieee_underflow 0
		.amdhsa_exception_fp_ieee_inexact 0
		.amdhsa_exception_int_div_zero 0
	.end_amdhsa_kernel
	.section	.text._ZN9rocsparseL42csr2bsr_wavefront_per_row_multipass_kernelILj256ELj16ELj4E21rocsparse_complex_numIfEilEEv20rocsparse_direction_T4_S4_S4_S4_S4_21rocsparse_index_base_PKT2_PKT3_PKS4_S5_PS6_PS9_PS4_,"axG",@progbits,_ZN9rocsparseL42csr2bsr_wavefront_per_row_multipass_kernelILj256ELj16ELj4E21rocsparse_complex_numIfEilEEv20rocsparse_direction_T4_S4_S4_S4_S4_21rocsparse_index_base_PKT2_PKT3_PKS4_S5_PS6_PS9_PS4_,comdat
.Lfunc_end91:
	.size	_ZN9rocsparseL42csr2bsr_wavefront_per_row_multipass_kernelILj256ELj16ELj4E21rocsparse_complex_numIfEilEEv20rocsparse_direction_T4_S4_S4_S4_S4_21rocsparse_index_base_PKT2_PKT3_PKS4_S5_PS6_PS9_PS4_, .Lfunc_end91-_ZN9rocsparseL42csr2bsr_wavefront_per_row_multipass_kernelILj256ELj16ELj4E21rocsparse_complex_numIfEilEEv20rocsparse_direction_T4_S4_S4_S4_S4_21rocsparse_index_base_PKT2_PKT3_PKS4_S5_PS6_PS9_PS4_
                                        ; -- End function
	.section	.AMDGPU.csdata,"",@progbits
; Kernel info:
; codeLenInByte = 2548
; NumSgprs: 27
; NumVgprs: 41
; ScratchSize: 0
; MemoryBound: 0
; FloatMode: 240
; IeeeMode: 1
; LDSByteSize: 2064 bytes/workgroup (compile time only)
; SGPRBlocks: 3
; VGPRBlocks: 5
; NumSGPRsForWavesPerEU: 27
; NumVGPRsForWavesPerEU: 41
; Occupancy: 16
; WaveLimiterHint : 0
; COMPUTE_PGM_RSRC2:SCRATCH_EN: 0
; COMPUTE_PGM_RSRC2:USER_SGPR: 15
; COMPUTE_PGM_RSRC2:TRAP_HANDLER: 0
; COMPUTE_PGM_RSRC2:TGID_X_EN: 1
; COMPUTE_PGM_RSRC2:TGID_Y_EN: 0
; COMPUTE_PGM_RSRC2:TGID_Z_EN: 0
; COMPUTE_PGM_RSRC2:TIDIG_COMP_CNT: 0
	.section	.text._ZN9rocsparseL42csr2bsr_wavefront_per_row_multipass_kernelILj256ELj64ELj8E21rocsparse_complex_numIfEilEEv20rocsparse_direction_T4_S4_S4_S4_S4_21rocsparse_index_base_PKT2_PKT3_PKS4_S5_PS6_PS9_PS4_,"axG",@progbits,_ZN9rocsparseL42csr2bsr_wavefront_per_row_multipass_kernelILj256ELj64ELj8E21rocsparse_complex_numIfEilEEv20rocsparse_direction_T4_S4_S4_S4_S4_21rocsparse_index_base_PKT2_PKT3_PKS4_S5_PS6_PS9_PS4_,comdat
	.globl	_ZN9rocsparseL42csr2bsr_wavefront_per_row_multipass_kernelILj256ELj64ELj8E21rocsparse_complex_numIfEilEEv20rocsparse_direction_T4_S4_S4_S4_S4_21rocsparse_index_base_PKT2_PKT3_PKS4_S5_PS6_PS9_PS4_ ; -- Begin function _ZN9rocsparseL42csr2bsr_wavefront_per_row_multipass_kernelILj256ELj64ELj8E21rocsparse_complex_numIfEilEEv20rocsparse_direction_T4_S4_S4_S4_S4_21rocsparse_index_base_PKT2_PKT3_PKS4_S5_PS6_PS9_PS4_
	.p2align	8
	.type	_ZN9rocsparseL42csr2bsr_wavefront_per_row_multipass_kernelILj256ELj64ELj8E21rocsparse_complex_numIfEilEEv20rocsparse_direction_T4_S4_S4_S4_S4_21rocsparse_index_base_PKT2_PKT3_PKS4_S5_PS6_PS9_PS4_,@function
_ZN9rocsparseL42csr2bsr_wavefront_per_row_multipass_kernelILj256ELj64ELj8E21rocsparse_complex_numIfEilEEv20rocsparse_direction_T4_S4_S4_S4_S4_21rocsparse_index_base_PKT2_PKT3_PKS4_S5_PS6_PS9_PS4_: ; @_ZN9rocsparseL42csr2bsr_wavefront_per_row_multipass_kernelILj256ELj64ELj8E21rocsparse_complex_numIfEilEEv20rocsparse_direction_T4_S4_S4_S4_S4_21rocsparse_index_base_PKT2_PKT3_PKS4_S5_PS6_PS9_PS4_
; %bb.0:
	s_load_b64 s[8:9], s[0:1], 0x28
	v_lshrrev_b32_e32 v19, 6, v0
	s_mov_b32 s10, s15
	s_ashr_i32 s11, s15, 31
	s_clause 0x1
	s_load_b64 s[14:15], s[0:1], 0x8
	s_load_b128 s[4:7], s[0:1], 0x18
	s_lshl_b64 s[2:3], s[10:11], 2
	v_mov_b32_e32 v2, 0
	v_or_b32_e32 v5, s2, v19
	v_bfe_u32 v1, v0, 3, 3
	s_clause 0x1
	s_load_b32 s16, s[0:1], 0x30
	s_load_b64 s[12:13], s[0:1], 0x40
	v_mov_b32_e32 v12, v2
	s_waitcnt lgkmcnt(0)
	v_mul_lo_u32 v6, v5, s9
	v_mad_u64_u32 v[3:4], null, v5, s8, v[1:2]
	s_mul_i32 s2, s3, s8
	s_delay_alu instid0(VALU_DEP_1) | instid1(SALU_CYCLE_1)
	v_add3_u32 v4, s2, v4, v6
	v_cmp_gt_i64_e64 s2, s[8:9], v[1:2]
	s_delay_alu instid0(VALU_DEP_2) | instskip(NEXT) | instid1(VALU_DEP_2)
	v_cmp_gt_i64_e32 vcc_lo, s[14:15], v[3:4]
	s_and_b32 s3, s2, vcc_lo
	s_delay_alu instid0(SALU_CYCLE_1)
	s_and_saveexec_b32 s11, s3
	s_cbranch_execz .LBB92_2
; %bb.1:
	v_lshlrev_b64 v[5:6], 2, v[3:4]
	s_delay_alu instid0(VALU_DEP_1) | instskip(NEXT) | instid1(VALU_DEP_2)
	v_add_co_u32 v5, vcc_lo, s12, v5
	v_add_co_ci_u32_e32 v6, vcc_lo, s13, v6, vcc_lo
	global_load_b32 v5, v[5:6], off
	s_waitcnt vmcnt(0)
	v_subrev_nc_u32_e32 v12, s16, v5
.LBB92_2:
	s_or_b32 exec_lo, exec_lo, s11
	s_and_saveexec_b32 s11, s3
	s_cbranch_execz .LBB92_4
; %bb.3:
	v_lshlrev_b64 v[2:3], 2, v[3:4]
	s_delay_alu instid0(VALU_DEP_1) | instskip(NEXT) | instid1(VALU_DEP_2)
	v_add_co_u32 v2, vcc_lo, s12, v2
	v_add_co_ci_u32_e32 v3, vcc_lo, s13, v3, vcc_lo
	global_load_b32 v2, v[2:3], off offset:4
	s_waitcnt vmcnt(0)
	v_subrev_nc_u32_e32 v2, s16, v2
.LBB92_4:
	s_or_b32 exec_lo, exec_lo, s11
	s_load_b32 s17, s[0:1], 0x50
	v_mov_b32_e32 v5, 0
	v_lshl_or_b32 v4, s10, 2, v19
	s_mov_b32 s3, exec_lo
	s_delay_alu instid0(VALU_DEP_2) | instskip(NEXT) | instid1(VALU_DEP_2)
	v_mov_b32_e32 v3, v5
	v_cmpx_gt_i64_e64 s[4:5], v[4:5]
	s_cbranch_execz .LBB92_6
; %bb.5:
	s_load_b64 s[4:5], s[0:1], 0x60
	v_lshlrev_b64 v[3:4], 2, v[4:5]
	s_waitcnt lgkmcnt(0)
	s_delay_alu instid0(VALU_DEP_1) | instskip(NEXT) | instid1(VALU_DEP_2)
	v_add_co_u32 v3, vcc_lo, s4, v3
	v_add_co_ci_u32_e32 v4, vcc_lo, s5, v4, vcc_lo
	global_load_b32 v3, v[3:4], off
	s_waitcnt vmcnt(0)
	v_subrev_nc_u32_e32 v3, s17, v3
.LBB92_6:
	s_or_b32 exec_lo, exec_lo, s3
	v_cmp_lt_i64_e64 s3, s[6:7], 1
	s_delay_alu instid0(VALU_DEP_1)
	s_and_b32 vcc_lo, exec_lo, s3
	s_cbranch_vccnz .LBB92_25
; %bb.7:
	v_mbcnt_lo_u32_b32 v16, -1, 0
	v_mad_u64_u32 v[9:10], null, v1, s8, 0
	v_and_b32_e32 v5, 7, v0
	s_load_b64 s[4:5], s[0:1], 0x68
	s_delay_alu instid0(VALU_DEP_3)
	v_xor_b32_e32 v4, 4, v16
	s_clause 0x3
	s_load_b64 s[14:15], s[0:1], 0x58
	s_load_b64 s[10:11], s[0:1], 0x48
	s_load_b64 s[12:13], s[0:1], 0x38
	s_load_b32 s0, s[0:1], 0x0
	v_xor_b32_e32 v17, 1, v16
	s_mul_i32 s3, s8, s9
	s_mul_hi_u32 s1, s8, s8
	v_cmp_gt_i32_e32 vcc_lo, 32, v4
	v_lshl_or_b32 v25, v16, 2, 28
	v_bfrev_b32_e32 v29, 0.5
	v_mov_b32_e32 v32, 1
	s_mov_b32 s18, 0
	v_cndmask_b32_e32 v6, v16, v4, vcc_lo
	v_mov_b32_e32 v4, v10
	v_mad_u64_u32 v[7:8], null, v5, s8, 0
	v_lshlrev_b32_e32 v15, 3, v1
	s_mul_i32 s19, s8, s8
	s_delay_alu instid0(VALU_DEP_3) | instskip(SKIP_1) | instid1(VALU_DEP_3)
	v_mad_u64_u32 v[10:11], null, v1, s9, v[4:5]
	v_mov_b32_e32 v33, 0
	v_and_or_b32 v20, 0x3c0, v0, v15
	s_waitcnt lgkmcnt(0)
	s_cmp_eq_u32 s0, 0
	s_delay_alu instid0(VALU_DEP_1) | instskip(NEXT) | instid1(VALU_DEP_4)
	v_or_b32_e32 v0, v20, v5
	v_lshlrev_b64 v[9:10], 3, v[9:10]
	s_delay_alu instid0(VALU_DEP_2) | instskip(SKIP_1) | instid1(VALU_DEP_2)
	v_dual_mov_b32 v0, v8 :: v_dual_lshlrev_b32 v21, 3, v0
	v_xor_b32_e32 v8, 2, v16
	v_mad_u64_u32 v[13:14], null, v5, s9, v[0:1]
	v_mov_b32_e32 v0, 0
	s_delay_alu instid0(VALU_DEP_3) | instskip(SKIP_1) | instid1(VALU_DEP_4)
	v_cmp_gt_i32_e32 vcc_lo, 32, v8
	v_cndmask_b32_e32 v14, v16, v8, vcc_lo
	v_mov_b32_e32 v8, v13
	v_cmp_gt_i32_e32 vcc_lo, 32, v17
	s_delay_alu instid0(VALU_DEP_3) | instskip(NEXT) | instid1(VALU_DEP_3)
	v_lshlrev_b32_e32 v23, 2, v14
	v_lshlrev_b64 v[7:8], 3, v[7:8]
	v_dual_cndmask_b32 v1, v16, v17 :: v_dual_lshlrev_b32 v22, 2, v6
	v_mov_b32_e32 v6, v0
	s_delay_alu instid0(VALU_DEP_2) | instskip(NEXT) | instid1(VALU_DEP_4)
	v_lshlrev_b32_e32 v24, 2, v1
	v_add_co_u32 v1, s0, s14, v7
	s_delay_alu instid0(VALU_DEP_1) | instskip(NEXT) | instid1(VALU_DEP_4)
	v_add_co_ci_u32_e64 v4, s0, s15, v8, s0
	v_cmp_gt_u64_e32 vcc_lo, s[8:9], v[5:6]
	v_add_co_u32 v6, s0, s14, v9
	v_lshlrev_b32_e32 v8, 3, v5
	v_add_co_ci_u32_e64 v7, s0, s15, v10, s0
	v_add_co_u32 v1, s0, v1, v15
	s_delay_alu instid0(VALU_DEP_1) | instskip(NEXT) | instid1(VALU_DEP_4)
	v_add_co_ci_u32_e64 v4, s0, 0, v4, s0
	v_add_co_u32 v6, s0, v6, v8
	v_or_b32_e32 v8, 32, v16
	v_add_co_ci_u32_e64 v7, s0, 0, v7, s0
	s_cselect_b32 s0, -1, 0
	v_xor_b32_e32 v9, 16, v16
	s_add_i32 s14, s1, s3
	v_cmp_gt_i32_e64 s1, 32, v8
	v_xor_b32_e32 v10, 8, v16
	v_cndmask_b32_e64 v30, v4, v7, s0
	v_mov_b32_e32 v7, v0
	v_cndmask_b32_e64 v31, v1, v6, s0
	v_cndmask_b32_e64 v8, v16, v8, s1
	v_cmp_gt_i32_e64 s1, 32, v9
	v_mov_b32_e32 v6, 0
	s_and_b32 s20, s2, vcc_lo
	s_ashr_i32 s2, s9, 31
	v_lshlrev_b32_e32 v26, 2, v8
	v_cndmask_b32_e64 v9, v16, v9, s1
	v_cmp_gt_i32_e64 s1, 32, v10
	s_sub_i32 s21, 0, s8
	s_delay_alu instid0(VALU_DEP_2) | instskip(NEXT) | instid1(VALU_DEP_2)
	v_lshlrev_b32_e32 v27, 2, v9
	v_cndmask_b32_e64 v10, v16, v10, s1
	s_add_i32 s1, s14, s3
	s_delay_alu instid0(VALU_DEP_1)
	v_lshlrev_b32_e32 v28, 2, v10
	v_mov_b32_e32 v10, 0
	v_mov_b32_e32 v11, 0
	s_branch .LBB92_10
.LBB92_8:                               ;   in Loop: Header=BB92_10 Depth=1
	s_or_b32 exec_lo, exec_lo, s3
	v_mov_b32_e32 v1, 1
.LBB92_9:                               ;   in Loop: Header=BB92_10 Depth=1
	s_or_b32 exec_lo, exec_lo, s0
	ds_bpermute_b32 v10, v26, v8
	ds_bpermute_b32 v11, v26, v9
	s_waitcnt lgkmcnt(0)
	s_waitcnt_vscnt null, 0x0
	buffer_gl0_inv
	buffer_gl0_inv
	v_add_nc_u32_e32 v3, v1, v3
	v_cmp_lt_i64_e32 vcc_lo, v[10:11], v[8:9]
	v_dual_cndmask_b32 v9, v9, v11 :: v_dual_cndmask_b32 v8, v8, v10
	ds_bpermute_b32 v11, v27, v9
	ds_bpermute_b32 v10, v27, v8
	s_waitcnt lgkmcnt(0)
	v_cmp_lt_i64_e32 vcc_lo, v[10:11], v[8:9]
	v_dual_cndmask_b32 v9, v9, v11 :: v_dual_cndmask_b32 v8, v8, v10
	ds_bpermute_b32 v11, v28, v9
	ds_bpermute_b32 v10, v28, v8
	s_waitcnt lgkmcnt(0)
	;; [unrolled: 5-line block ×5, first 2 shown]
	v_cmp_lt_i64_e32 vcc_lo, v[10:11], v[8:9]
	v_cndmask_b32_e32 v4, v8, v10, vcc_lo
	ds_bpermute_b32 v10, v29, v4
	s_waitcnt lgkmcnt(0)
	v_ashrrev_i32_e32 v11, 31, v10
	v_mov_b32_e32 v33, v10
	s_delay_alu instid0(VALU_DEP_2) | instskip(SKIP_1) | instid1(SALU_CYCLE_1)
	v_cmp_le_i64_e32 vcc_lo, s[6:7], v[10:11]
	s_or_b32 s18, vcc_lo, s18
	s_and_not1_b32 exec_lo, exec_lo, s18
	s_cbranch_execz .LBB92_25
.LBB92_10:                              ; =>This Loop Header: Depth=1
                                        ;     Child Loop BB92_13 Depth 2
	v_dual_mov_b32 v9, s7 :: v_dual_add_nc_u32 v12, v12, v5
	v_dual_mov_b32 v8, s6 :: v_dual_mov_b32 v1, v2
	s_mov_b32 s22, exec_lo
	ds_store_b8 v19, v0 offset:2048
	ds_store_b64 v21, v[6:7]
	s_waitcnt lgkmcnt(0)
	buffer_gl0_inv
	v_cmpx_lt_i32_e64 v12, v2
	s_cbranch_execz .LBB92_22
; %bb.11:                               ;   in Loop: Header=BB92_10 Depth=1
	v_mad_u64_u32 v[14:15], null, v10, s8, 0
	v_dual_mov_b32 v9, s7 :: v_dual_mov_b32 v8, s6
	v_mov_b32_e32 v4, v2
	s_mov_b32 s23, 0
	s_branch .LBB92_13
.LBB92_12:                              ;   in Loop: Header=BB92_13 Depth=2
	s_or_b32 exec_lo, exec_lo, s3
	v_add_nc_u32_e32 v12, 8, v12
	s_xor_b32 s3, vcc_lo, -1
	v_mov_b32_e32 v4, v1
	s_delay_alu instid0(VALU_DEP_2) | instskip(NEXT) | instid1(VALU_DEP_1)
	v_cmp_ge_i32_e64 s0, v12, v2
	s_or_b32 s0, s3, s0
	s_delay_alu instid0(SALU_CYCLE_1) | instskip(NEXT) | instid1(SALU_CYCLE_1)
	s_and_b32 s0, exec_lo, s0
	s_or_b32 s23, s0, s23
	s_delay_alu instid0(SALU_CYCLE_1)
	s_and_not1_b32 exec_lo, exec_lo, s23
	s_cbranch_execz .LBB92_21
.LBB92_13:                              ;   Parent Loop BB92_10 Depth=1
                                        ; =>  This Inner Loop Header: Depth=2
	v_ashrrev_i32_e32 v13, 31, v12
	s_mov_b32 s0, exec_lo
	s_delay_alu instid0(VALU_DEP_1) | instskip(NEXT) | instid1(VALU_DEP_1)
	v_lshlrev_b64 v[15:16], 3, v[12:13]
	v_add_co_u32 v17, vcc_lo, s10, v15
	s_delay_alu instid0(VALU_DEP_2) | instskip(SKIP_4) | instid1(VALU_DEP_1)
	v_add_co_ci_u32_e32 v18, vcc_lo, s11, v16, vcc_lo
	global_load_b64 v[17:18], v[17:18], off
	s_waitcnt vmcnt(0)
	v_sub_co_u32 v13, vcc_lo, v17, s16
	v_subrev_co_ci_u32_e32 v34, vcc_lo, 0, v18, vcc_lo
                                        ; implicit-def: $vgpr17_vgpr18
	v_or_b32_e32 v1, s9, v34
	s_delay_alu instid0(VALU_DEP_1)
	v_cmpx_ne_u64_e32 0, v[0:1]
	s_xor_b32 s24, exec_lo, s0
	s_cbranch_execz .LBB92_15
; %bb.14:                               ;   in Loop: Header=BB92_13 Depth=2
	s_add_u32 s14, s8, s2
	s_mov_b32 s3, s2
	s_addc_u32 s15, s9, s2
	s_delay_alu instid0(SALU_CYCLE_1) | instskip(NEXT) | instid1(SALU_CYCLE_1)
	s_xor_b64 s[14:15], s[14:15], s[2:3]
	v_cvt_f32_u32_e32 v1, s14
	v_cvt_f32_u32_e32 v17, s15
	s_sub_u32 s0, 0, s14
	s_subb_u32 s3, 0, s15
	s_delay_alu instid0(VALU_DEP_1) | instskip(NEXT) | instid1(VALU_DEP_1)
	v_fmac_f32_e32 v1, 0x4f800000, v17
	v_rcp_f32_e32 v1, v1
	s_waitcnt_depctr 0xfff
	v_mul_f32_e32 v1, 0x5f7ffffc, v1
	s_delay_alu instid0(VALU_DEP_1) | instskip(NEXT) | instid1(VALU_DEP_1)
	v_mul_f32_e32 v17, 0x2f800000, v1
	v_trunc_f32_e32 v17, v17
	s_delay_alu instid0(VALU_DEP_1) | instskip(SKIP_1) | instid1(VALU_DEP_2)
	v_fmac_f32_e32 v1, 0xcf800000, v17
	v_cvt_u32_f32_e32 v17, v17
	v_cvt_u32_f32_e32 v1, v1
	s_delay_alu instid0(VALU_DEP_2) | instskip(NEXT) | instid1(VALU_DEP_2)
	v_mul_lo_u32 v18, s0, v17
	v_mul_hi_u32 v35, s0, v1
	v_mul_lo_u32 v36, s3, v1
	s_delay_alu instid0(VALU_DEP_2) | instskip(SKIP_1) | instid1(VALU_DEP_2)
	v_add_nc_u32_e32 v18, v35, v18
	v_mul_lo_u32 v35, s0, v1
	v_add_nc_u32_e32 v18, v18, v36
	s_delay_alu instid0(VALU_DEP_2) | instskip(NEXT) | instid1(VALU_DEP_2)
	v_mul_hi_u32 v36, v1, v35
	v_mul_lo_u32 v37, v1, v18
	v_mul_hi_u32 v38, v1, v18
	v_mul_hi_u32 v39, v17, v35
	v_mul_lo_u32 v35, v17, v35
	v_mul_hi_u32 v40, v17, v18
	v_mul_lo_u32 v18, v17, v18
	v_add_co_u32 v36, vcc_lo, v36, v37
	v_add_co_ci_u32_e32 v37, vcc_lo, 0, v38, vcc_lo
	s_delay_alu instid0(VALU_DEP_2) | instskip(NEXT) | instid1(VALU_DEP_2)
	v_add_co_u32 v35, vcc_lo, v36, v35
	v_add_co_ci_u32_e32 v35, vcc_lo, v37, v39, vcc_lo
	v_add_co_ci_u32_e32 v36, vcc_lo, 0, v40, vcc_lo
	v_ashrrev_i32_e32 v39, 31, v34
	s_delay_alu instid0(VALU_DEP_3) | instskip(NEXT) | instid1(VALU_DEP_3)
	v_add_co_u32 v18, vcc_lo, v35, v18
	v_add_co_ci_u32_e32 v35, vcc_lo, 0, v36, vcc_lo
	s_delay_alu instid0(VALU_DEP_2) | instskip(NEXT) | instid1(VALU_DEP_2)
	v_add_co_u32 v1, vcc_lo, v1, v18
	v_add_co_ci_u32_e32 v17, vcc_lo, v17, v35, vcc_lo
	s_delay_alu instid0(VALU_DEP_2) | instskip(SKIP_1) | instid1(VALU_DEP_3)
	v_mul_hi_u32 v18, s0, v1
	v_mul_lo_u32 v36, s3, v1
	v_mul_lo_u32 v35, s0, v17
	s_delay_alu instid0(VALU_DEP_1) | instskip(SKIP_1) | instid1(VALU_DEP_2)
	v_add_nc_u32_e32 v18, v18, v35
	v_mul_lo_u32 v35, s0, v1
	v_add_nc_u32_e32 v18, v18, v36
	s_delay_alu instid0(VALU_DEP_2) | instskip(NEXT) | instid1(VALU_DEP_2)
	v_mul_hi_u32 v36, v1, v35
	v_mul_lo_u32 v37, v1, v18
	v_mul_hi_u32 v38, v1, v18
	v_mul_hi_u32 v40, v17, v35
	v_mul_lo_u32 v35, v17, v35
	v_mul_hi_u32 v41, v17, v18
	v_mul_lo_u32 v18, v17, v18
	v_add_co_u32 v36, vcc_lo, v36, v37
	v_add_co_ci_u32_e32 v37, vcc_lo, 0, v38, vcc_lo
	s_delay_alu instid0(VALU_DEP_2) | instskip(NEXT) | instid1(VALU_DEP_2)
	v_add_co_u32 v35, vcc_lo, v36, v35
	v_add_co_ci_u32_e32 v35, vcc_lo, v37, v40, vcc_lo
	v_add_co_ci_u32_e32 v36, vcc_lo, 0, v41, vcc_lo
	v_add_co_u32 v37, vcc_lo, v13, v39
	v_add_co_ci_u32_e32 v34, vcc_lo, v34, v39, vcc_lo
	s_delay_alu instid0(VALU_DEP_4) | instskip(NEXT) | instid1(VALU_DEP_4)
	v_add_co_u32 v18, vcc_lo, v35, v18
	v_add_co_ci_u32_e32 v35, vcc_lo, 0, v36, vcc_lo
	s_delay_alu instid0(VALU_DEP_4) | instskip(NEXT) | instid1(VALU_DEP_3)
	v_xor_b32_e32 v38, v37, v39
	v_add_co_u32 v1, vcc_lo, v1, v18
	s_delay_alu instid0(VALU_DEP_3) | instskip(SKIP_1) | instid1(VALU_DEP_3)
	v_add_co_ci_u32_e32 v40, vcc_lo, v17, v35, vcc_lo
	v_xor_b32_e32 v41, v34, v39
	v_mul_hi_u32 v42, v38, v1
	s_delay_alu instid0(VALU_DEP_3) | instskip(NEXT) | instid1(VALU_DEP_3)
	v_mad_u64_u32 v[17:18], null, v38, v40, 0
	v_mad_u64_u32 v[34:35], null, v41, v1, 0
	;; [unrolled: 1-line block ×3, first 2 shown]
	s_delay_alu instid0(VALU_DEP_3) | instskip(NEXT) | instid1(VALU_DEP_4)
	v_add_co_u32 v1, vcc_lo, v42, v17
	v_add_co_ci_u32_e32 v17, vcc_lo, 0, v18, vcc_lo
	s_delay_alu instid0(VALU_DEP_2) | instskip(NEXT) | instid1(VALU_DEP_2)
	v_add_co_u32 v1, vcc_lo, v1, v34
	v_add_co_ci_u32_e32 v1, vcc_lo, v17, v35, vcc_lo
	v_add_co_ci_u32_e32 v17, vcc_lo, 0, v37, vcc_lo
	s_delay_alu instid0(VALU_DEP_2) | instskip(NEXT) | instid1(VALU_DEP_2)
	v_add_co_u32 v1, vcc_lo, v1, v36
	v_add_co_ci_u32_e32 v34, vcc_lo, 0, v17, vcc_lo
	s_delay_alu instid0(VALU_DEP_2) | instskip(SKIP_1) | instid1(VALU_DEP_3)
	v_mul_lo_u32 v35, s15, v1
	v_mad_u64_u32 v[17:18], null, s14, v1, 0
	v_mul_lo_u32 v36, s14, v34
	s_delay_alu instid0(VALU_DEP_2) | instskip(NEXT) | instid1(VALU_DEP_2)
	v_sub_co_u32 v17, vcc_lo, v38, v17
	v_add3_u32 v18, v18, v36, v35
	s_delay_alu instid0(VALU_DEP_1) | instskip(NEXT) | instid1(VALU_DEP_1)
	v_sub_nc_u32_e32 v35, v41, v18
	v_subrev_co_ci_u32_e64 v35, s0, s15, v35, vcc_lo
	v_add_co_u32 v36, s0, v1, 2
	s_delay_alu instid0(VALU_DEP_1) | instskip(SKIP_3) | instid1(VALU_DEP_3)
	v_add_co_ci_u32_e64 v37, s0, 0, v34, s0
	v_sub_co_u32 v38, s0, v17, s14
	v_sub_co_ci_u32_e32 v18, vcc_lo, v41, v18, vcc_lo
	v_subrev_co_ci_u32_e64 v35, s0, 0, v35, s0
	v_cmp_le_u32_e32 vcc_lo, s14, v38
	s_delay_alu instid0(VALU_DEP_3) | instskip(SKIP_1) | instid1(VALU_DEP_4)
	v_cmp_eq_u32_e64 s0, s15, v18
	v_cndmask_b32_e64 v38, 0, -1, vcc_lo
	v_cmp_le_u32_e32 vcc_lo, s15, v35
	v_cndmask_b32_e64 v40, 0, -1, vcc_lo
	v_cmp_le_u32_e32 vcc_lo, s14, v17
	;; [unrolled: 2-line block ×3, first 2 shown]
	v_cndmask_b32_e64 v41, 0, -1, vcc_lo
	v_cmp_eq_u32_e32 vcc_lo, s15, v35
	s_delay_alu instid0(VALU_DEP_2) | instskip(SKIP_3) | instid1(VALU_DEP_3)
	v_cndmask_b32_e64 v17, v41, v17, s0
	v_cndmask_b32_e32 v35, v40, v38, vcc_lo
	v_add_co_u32 v38, vcc_lo, v1, 1
	v_add_co_ci_u32_e32 v40, vcc_lo, 0, v34, vcc_lo
	v_cmp_ne_u32_e32 vcc_lo, 0, v35
	s_delay_alu instid0(VALU_DEP_2) | instskip(SKIP_2) | instid1(VALU_DEP_3)
	v_dual_cndmask_b32 v18, v40, v37 :: v_dual_cndmask_b32 v35, v38, v36
	v_cmp_ne_u32_e32 vcc_lo, 0, v17
	v_xor_b32_e32 v36, s2, v39
	v_cndmask_b32_e32 v1, v1, v35, vcc_lo
	s_delay_alu instid0(VALU_DEP_4) | instskip(NEXT) | instid1(VALU_DEP_2)
	v_cndmask_b32_e32 v17, v34, v18, vcc_lo
	v_xor_b32_e32 v1, v1, v36
	s_delay_alu instid0(VALU_DEP_2) | instskip(NEXT) | instid1(VALU_DEP_2)
	v_xor_b32_e32 v18, v17, v36
	v_sub_co_u32 v17, vcc_lo, v1, v36
	s_delay_alu instid0(VALU_DEP_2)
	v_sub_co_ci_u32_e32 v18, vcc_lo, v18, v36, vcc_lo
.LBB92_15:                              ;   in Loop: Header=BB92_13 Depth=2
	s_and_not1_saveexec_b32 s0, s24
	s_cbranch_execz .LBB92_17
; %bb.16:                               ;   in Loop: Header=BB92_13 Depth=2
	v_cvt_f32_u32_e32 v1, s8
	s_delay_alu instid0(VALU_DEP_1) | instskip(SKIP_2) | instid1(VALU_DEP_1)
	v_rcp_iflag_f32_e32 v1, v1
	s_waitcnt_depctr 0xfff
	v_mul_f32_e32 v1, 0x4f7ffffe, v1
	v_cvt_u32_f32_e32 v1, v1
	s_delay_alu instid0(VALU_DEP_1) | instskip(NEXT) | instid1(VALU_DEP_1)
	v_mul_lo_u32 v17, s21, v1
	v_mul_hi_u32 v17, v1, v17
	s_delay_alu instid0(VALU_DEP_1) | instskip(NEXT) | instid1(VALU_DEP_1)
	v_add_nc_u32_e32 v1, v1, v17
	v_mul_hi_u32 v1, v13, v1
	s_delay_alu instid0(VALU_DEP_1) | instskip(NEXT) | instid1(VALU_DEP_1)
	v_mul_lo_u32 v17, v1, s8
	v_sub_nc_u32_e32 v17, v13, v17
	s_delay_alu instid0(VALU_DEP_1) | instskip(SKIP_1) | instid1(VALU_DEP_2)
	v_subrev_nc_u32_e32 v34, s8, v17
	v_cmp_le_u32_e32 vcc_lo, s8, v17
	v_dual_cndmask_b32 v17, v17, v34 :: v_dual_add_nc_u32 v18, 1, v1
	s_delay_alu instid0(VALU_DEP_1) | instskip(NEXT) | instid1(VALU_DEP_2)
	v_cndmask_b32_e32 v1, v1, v18, vcc_lo
	v_cmp_le_u32_e32 vcc_lo, s8, v17
	s_delay_alu instid0(VALU_DEP_2) | instskip(NEXT) | instid1(VALU_DEP_1)
	v_add_nc_u32_e32 v18, 1, v1
	v_dual_cndmask_b32 v17, v1, v18 :: v_dual_mov_b32 v18, v0
.LBB92_17:                              ;   in Loop: Header=BB92_13 Depth=2
	s_or_b32 exec_lo, exec_lo, s0
	s_delay_alu instid0(VALU_DEP_1)
	v_cmp_eq_u64_e32 vcc_lo, v[17:18], v[10:11]
	s_mov_b32 s3, exec_lo
	v_cmpx_ne_u64_e64 v[17:18], v[10:11]
	s_xor_b32 s3, exec_lo, s3
; %bb.18:                               ;   in Loop: Header=BB92_13 Depth=2
	v_cmp_lt_i64_e64 s0, v[17:18], v[8:9]
                                        ; implicit-def: $vgpr15_vgpr16
                                        ; implicit-def: $vgpr13
                                        ; implicit-def: $vgpr4
	s_delay_alu instid0(VALU_DEP_1)
	v_cndmask_b32_e64 v9, v9, v18, s0
	v_cndmask_b32_e64 v8, v8, v17, s0
; %bb.19:                               ;   in Loop: Header=BB92_13 Depth=2
	s_or_saveexec_b32 s3, s3
	v_mov_b32_e32 v1, v12
	s_xor_b32 exec_lo, exec_lo, s3
	s_cbranch_execz .LBB92_12
; %bb.20:                               ;   in Loop: Header=BB92_13 Depth=2
	v_add_co_u32 v15, s0, s12, v15
	s_delay_alu instid0(VALU_DEP_1)
	v_add_co_ci_u32_e64 v16, s0, s13, v16, s0
	v_sub_nc_u32_e32 v1, v13, v14
	global_load_b64 v[15:16], v[15:16], off
	v_add_lshl_u32 v13, v20, v1, 3
	v_mov_b32_e32 v1, v4
	ds_store_b8 v19, v32 offset:2048
	s_waitcnt vmcnt(0)
	ds_store_b64 v13, v[15:16]
	s_branch .LBB92_12
.LBB92_21:                              ;   in Loop: Header=BB92_10 Depth=1
	s_or_b32 exec_lo, exec_lo, s23
.LBB92_22:                              ;   in Loop: Header=BB92_10 Depth=1
	s_delay_alu instid0(SALU_CYCLE_1)
	s_or_b32 exec_lo, exec_lo, s22
	ds_bpermute_b32 v4, v22, v1
	s_waitcnt lgkmcnt(0)
	buffer_gl0_inv
	ds_load_u8 v10, v19 offset:2048
	v_min_i32_e32 v1, v4, v1
	ds_bpermute_b32 v4, v23, v1
	s_waitcnt lgkmcnt(0)
	v_min_i32_e32 v1, v4, v1
	ds_bpermute_b32 v4, v24, v1
	s_waitcnt lgkmcnt(0)
	v_min_i32_e32 v1, v4, v1
	ds_bpermute_b32 v12, v25, v1
	v_and_b32_e32 v1, 1, v10
	s_delay_alu instid0(VALU_DEP_1)
	v_cmp_eq_u32_e32 vcc_lo, 1, v1
	v_mov_b32_e32 v1, 0
	s_and_saveexec_b32 s0, vcc_lo
	s_cbranch_execz .LBB92_9
; %bb.23:                               ;   in Loop: Header=BB92_10 Depth=1
	v_ashrrev_i32_e32 v4, 31, v3
	v_add_nc_u32_e32 v10, s17, v33
	s_delay_alu instid0(VALU_DEP_2) | instskip(NEXT) | instid1(VALU_DEP_2)
	v_lshlrev_b64 v[13:14], 3, v[3:4]
	v_ashrrev_i32_e32 v11, 31, v10
	s_delay_alu instid0(VALU_DEP_2) | instskip(NEXT) | instid1(VALU_DEP_3)
	v_add_co_u32 v13, vcc_lo, s4, v13
	v_add_co_ci_u32_e32 v14, vcc_lo, s5, v14, vcc_lo
	global_store_b64 v[13:14], v[10:11], off
	s_and_saveexec_b32 s3, s20
	s_cbranch_execz .LBB92_8
; %bb.24:                               ;   in Loop: Header=BB92_10 Depth=1
	v_mul_lo_u32 v1, s1, v3
	v_mul_lo_u32 v4, s19, v4
	v_mad_u64_u32 v[10:11], null, s19, v3, 0
	ds_load_b64 v[13:14], v21
	v_add3_u32 v11, v11, v4, v1
	s_delay_alu instid0(VALU_DEP_1) | instskip(NEXT) | instid1(VALU_DEP_1)
	v_lshlrev_b64 v[10:11], 3, v[10:11]
	v_add_co_u32 v10, vcc_lo, v31, v10
	s_delay_alu instid0(VALU_DEP_2)
	v_add_co_ci_u32_e32 v11, vcc_lo, v30, v11, vcc_lo
	s_waitcnt lgkmcnt(0)
	global_store_b64 v[10:11], v[13:14], off
	s_branch .LBB92_8
.LBB92_25:
	s_endpgm
	.section	.rodata,"a",@progbits
	.p2align	6, 0x0
	.amdhsa_kernel _ZN9rocsparseL42csr2bsr_wavefront_per_row_multipass_kernelILj256ELj64ELj8E21rocsparse_complex_numIfEilEEv20rocsparse_direction_T4_S4_S4_S4_S4_21rocsparse_index_base_PKT2_PKT3_PKS4_S5_PS6_PS9_PS4_
		.amdhsa_group_segment_fixed_size 2052
		.amdhsa_private_segment_fixed_size 0
		.amdhsa_kernarg_size 112
		.amdhsa_user_sgpr_count 15
		.amdhsa_user_sgpr_dispatch_ptr 0
		.amdhsa_user_sgpr_queue_ptr 0
		.amdhsa_user_sgpr_kernarg_segment_ptr 1
		.amdhsa_user_sgpr_dispatch_id 0
		.amdhsa_user_sgpr_private_segment_size 0
		.amdhsa_wavefront_size32 1
		.amdhsa_uses_dynamic_stack 0
		.amdhsa_enable_private_segment 0
		.amdhsa_system_sgpr_workgroup_id_x 1
		.amdhsa_system_sgpr_workgroup_id_y 0
		.amdhsa_system_sgpr_workgroup_id_z 0
		.amdhsa_system_sgpr_workgroup_info 0
		.amdhsa_system_vgpr_workitem_id 0
		.amdhsa_next_free_vgpr 43
		.amdhsa_next_free_sgpr 25
		.amdhsa_reserve_vcc 1
		.amdhsa_float_round_mode_32 0
		.amdhsa_float_round_mode_16_64 0
		.amdhsa_float_denorm_mode_32 3
		.amdhsa_float_denorm_mode_16_64 3
		.amdhsa_dx10_clamp 1
		.amdhsa_ieee_mode 1
		.amdhsa_fp16_overflow 0
		.amdhsa_workgroup_processor_mode 1
		.amdhsa_memory_ordered 1
		.amdhsa_forward_progress 0
		.amdhsa_shared_vgpr_count 0
		.amdhsa_exception_fp_ieee_invalid_op 0
		.amdhsa_exception_fp_denorm_src 0
		.amdhsa_exception_fp_ieee_div_zero 0
		.amdhsa_exception_fp_ieee_overflow 0
		.amdhsa_exception_fp_ieee_underflow 0
		.amdhsa_exception_fp_ieee_inexact 0
		.amdhsa_exception_int_div_zero 0
	.end_amdhsa_kernel
	.section	.text._ZN9rocsparseL42csr2bsr_wavefront_per_row_multipass_kernelILj256ELj64ELj8E21rocsparse_complex_numIfEilEEv20rocsparse_direction_T4_S4_S4_S4_S4_21rocsparse_index_base_PKT2_PKT3_PKS4_S5_PS6_PS9_PS4_,"axG",@progbits,_ZN9rocsparseL42csr2bsr_wavefront_per_row_multipass_kernelILj256ELj64ELj8E21rocsparse_complex_numIfEilEEv20rocsparse_direction_T4_S4_S4_S4_S4_21rocsparse_index_base_PKT2_PKT3_PKS4_S5_PS6_PS9_PS4_,comdat
.Lfunc_end92:
	.size	_ZN9rocsparseL42csr2bsr_wavefront_per_row_multipass_kernelILj256ELj64ELj8E21rocsparse_complex_numIfEilEEv20rocsparse_direction_T4_S4_S4_S4_S4_21rocsparse_index_base_PKT2_PKT3_PKS4_S5_PS6_PS9_PS4_, .Lfunc_end92-_ZN9rocsparseL42csr2bsr_wavefront_per_row_multipass_kernelILj256ELj64ELj8E21rocsparse_complex_numIfEilEEv20rocsparse_direction_T4_S4_S4_S4_S4_21rocsparse_index_base_PKT2_PKT3_PKS4_S5_PS6_PS9_PS4_
                                        ; -- End function
	.section	.AMDGPU.csdata,"",@progbits
; Kernel info:
; codeLenInByte = 2692
; NumSgprs: 27
; NumVgprs: 43
; ScratchSize: 0
; MemoryBound: 0
; FloatMode: 240
; IeeeMode: 1
; LDSByteSize: 2052 bytes/workgroup (compile time only)
; SGPRBlocks: 3
; VGPRBlocks: 5
; NumSGPRsForWavesPerEU: 27
; NumVGPRsForWavesPerEU: 43
; Occupancy: 16
; WaveLimiterHint : 0
; COMPUTE_PGM_RSRC2:SCRATCH_EN: 0
; COMPUTE_PGM_RSRC2:USER_SGPR: 15
; COMPUTE_PGM_RSRC2:TRAP_HANDLER: 0
; COMPUTE_PGM_RSRC2:TGID_X_EN: 1
; COMPUTE_PGM_RSRC2:TGID_Y_EN: 0
; COMPUTE_PGM_RSRC2:TGID_Z_EN: 0
; COMPUTE_PGM_RSRC2:TIDIG_COMP_CNT: 0
	.section	.text._ZN9rocsparseL42csr2bsr_wavefront_per_row_multipass_kernelILj256ELj32ELj8E21rocsparse_complex_numIfEilEEv20rocsparse_direction_T4_S4_S4_S4_S4_21rocsparse_index_base_PKT2_PKT3_PKS4_S5_PS6_PS9_PS4_,"axG",@progbits,_ZN9rocsparseL42csr2bsr_wavefront_per_row_multipass_kernelILj256ELj32ELj8E21rocsparse_complex_numIfEilEEv20rocsparse_direction_T4_S4_S4_S4_S4_21rocsparse_index_base_PKT2_PKT3_PKS4_S5_PS6_PS9_PS4_,comdat
	.globl	_ZN9rocsparseL42csr2bsr_wavefront_per_row_multipass_kernelILj256ELj32ELj8E21rocsparse_complex_numIfEilEEv20rocsparse_direction_T4_S4_S4_S4_S4_21rocsparse_index_base_PKT2_PKT3_PKS4_S5_PS6_PS9_PS4_ ; -- Begin function _ZN9rocsparseL42csr2bsr_wavefront_per_row_multipass_kernelILj256ELj32ELj8E21rocsparse_complex_numIfEilEEv20rocsparse_direction_T4_S4_S4_S4_S4_21rocsparse_index_base_PKT2_PKT3_PKS4_S5_PS6_PS9_PS4_
	.p2align	8
	.type	_ZN9rocsparseL42csr2bsr_wavefront_per_row_multipass_kernelILj256ELj32ELj8E21rocsparse_complex_numIfEilEEv20rocsparse_direction_T4_S4_S4_S4_S4_21rocsparse_index_base_PKT2_PKT3_PKS4_S5_PS6_PS9_PS4_,@function
_ZN9rocsparseL42csr2bsr_wavefront_per_row_multipass_kernelILj256ELj32ELj8E21rocsparse_complex_numIfEilEEv20rocsparse_direction_T4_S4_S4_S4_S4_21rocsparse_index_base_PKT2_PKT3_PKS4_S5_PS6_PS9_PS4_: ; @_ZN9rocsparseL42csr2bsr_wavefront_per_row_multipass_kernelILj256ELj32ELj8E21rocsparse_complex_numIfEilEEv20rocsparse_direction_T4_S4_S4_S4_S4_21rocsparse_index_base_PKT2_PKT3_PKS4_S5_PS6_PS9_PS4_
; %bb.0:
	s_load_b64 s[8:9], s[0:1], 0x28
	v_lshrrev_b32_e32 v24, 5, v0
	s_mov_b32 s10, s15
	s_ashr_i32 s11, s15, 31
	s_clause 0x1
	s_load_b64 s[14:15], s[0:1], 0x8
	s_load_b128 s[4:7], s[0:1], 0x18
	s_lshl_b64 s[2:3], s[10:11], 3
	v_mov_b32_e32 v2, 0
	v_or_b32_e32 v5, s2, v24
	v_bfe_u32 v1, v0, 2, 3
	s_clause 0x1
	s_load_b32 s18, s[0:1], 0x30
	s_load_b64 s[12:13], s[0:1], 0x40
	s_waitcnt lgkmcnt(0)
	v_mul_lo_u32 v6, v5, s9
	v_mad_u64_u32 v[3:4], null, v5, s8, v[1:2]
	s_mul_i32 s2, s3, s8
	s_delay_alu instid0(VALU_DEP_1) | instid1(SALU_CYCLE_1)
	v_add3_u32 v4, s2, v4, v6
	v_cmp_gt_i64_e64 s2, s[8:9], v[1:2]
	v_mov_b32_e32 v6, v2
	s_delay_alu instid0(VALU_DEP_3) | instskip(NEXT) | instid1(VALU_DEP_3)
	v_cmp_gt_i64_e32 vcc_lo, s[14:15], v[3:4]
	s_and_b32 s3, s2, vcc_lo
	s_delay_alu instid0(SALU_CYCLE_1)
	s_and_saveexec_b32 s11, s3
	s_cbranch_execz .LBB93_2
; %bb.1:
	v_lshlrev_b64 v[5:6], 2, v[3:4]
	s_delay_alu instid0(VALU_DEP_1) | instskip(NEXT) | instid1(VALU_DEP_2)
	v_add_co_u32 v5, vcc_lo, s12, v5
	v_add_co_ci_u32_e32 v6, vcc_lo, s13, v6, vcc_lo
	global_load_b32 v5, v[5:6], off
	s_waitcnt vmcnt(0)
	v_subrev_nc_u32_e32 v6, s18, v5
.LBB93_2:
	s_or_b32 exec_lo, exec_lo, s11
	s_and_saveexec_b32 s11, s3
	s_cbranch_execz .LBB93_4
; %bb.3:
	v_lshlrev_b64 v[2:3], 2, v[3:4]
	s_delay_alu instid0(VALU_DEP_1) | instskip(NEXT) | instid1(VALU_DEP_2)
	v_add_co_u32 v2, vcc_lo, s12, v2
	v_add_co_ci_u32_e32 v3, vcc_lo, s13, v3, vcc_lo
	global_load_b32 v2, v[2:3], off offset:4
	s_waitcnt vmcnt(0)
	v_subrev_nc_u32_e32 v2, s18, v2
.LBB93_4:
	s_or_b32 exec_lo, exec_lo, s11
	s_load_b32 s19, s[0:1], 0x50
	v_mov_b32_e32 v5, 0
	v_lshl_or_b32 v4, s10, 3, v24
	s_mov_b32 s3, exec_lo
	s_delay_alu instid0(VALU_DEP_2) | instskip(NEXT) | instid1(VALU_DEP_2)
	v_mov_b32_e32 v3, v5
	v_cmpx_gt_i64_e64 s[4:5], v[4:5]
	s_cbranch_execz .LBB93_6
; %bb.5:
	s_load_b64 s[4:5], s[0:1], 0x60
	v_lshlrev_b64 v[3:4], 2, v[4:5]
	s_waitcnt lgkmcnt(0)
	s_delay_alu instid0(VALU_DEP_1) | instskip(NEXT) | instid1(VALU_DEP_2)
	v_add_co_u32 v3, vcc_lo, s4, v3
	v_add_co_ci_u32_e32 v4, vcc_lo, s5, v4, vcc_lo
	global_load_b32 v3, v[3:4], off
	s_waitcnt vmcnt(0)
	v_subrev_nc_u32_e32 v3, s19, v3
.LBB93_6:
	s_or_b32 exec_lo, exec_lo, s3
	v_cmp_lt_i64_e64 s3, s[6:7], 1
	s_delay_alu instid0(VALU_DEP_1)
	s_and_b32 vcc_lo, exec_lo, s3
	s_cbranch_vccnz .LBB93_27
; %bb.7:
	v_mbcnt_lo_u32_b32 v10, -1, 0
	v_mad_u64_u32 v[7:8], null, v1, s8, 0
	s_mul_i32 s3, s8, s9
	s_mul_hi_u32 s4, s8, s8
	s_delay_alu instid0(VALU_DEP_2)
	v_xor_b32_e32 v9, 2, v10
	v_xor_b32_e32 v12, 1, v10
	s_add_i32 s10, s4, s3
	s_clause 0x1
	s_load_b64 s[4:5], s[0:1], 0x68
	s_load_b64 s[16:17], s[0:1], 0x58
	v_cmp_gt_i32_e32 vcc_lo, 32, v9
	v_dual_mov_b32 v4, v8 :: v_dual_lshlrev_b32 v11, 3, v1
	v_xor_b32_e32 v15, 4, v10
	s_clause 0x2
	s_load_b64 s[12:13], s[0:1], 0x48
	s_load_b64 s[14:15], s[0:1], 0x38
	s_load_b32 s0, s[0:1], 0x0
	v_dual_cndmask_b32 v13, v10, v9 :: v_dual_and_b32 v0, 3, v0
	v_cmp_gt_i32_e32 vcc_lo, 32, v12
	v_mov_b32_e32 v5, 0
	v_lshl_or_b32 v27, v24, 6, v11
	s_delay_alu instid0(VALU_DEP_4)
	v_lshlrev_b32_e32 v28, 2, v13
	s_add_i32 s20, s10, s3
	v_cndmask_b32_e32 v12, v10, v12, vcc_lo
	v_mad_u64_u32 v[8:9], null, v1, s9, v[4:5]
	v_xor_b32_e32 v1, 16, v10
	v_xor_b32_e32 v4, 8, v10
	v_or_b32_e32 v9, 4, v0
	s_mov_b32 s10, 0
	s_waitcnt lgkmcnt(0)
	v_add_co_u32 v25, s1, s16, v11
	v_cmp_gt_i32_e32 vcc_lo, 32, v1
	v_lshlrev_b64 v[7:8], 3, v[7:8]
	v_mad_u64_u32 v[13:14], null, v9, s8, 0
	v_lshl_or_b32 v30, v10, 2, 12
	v_cndmask_b32_e32 v1, v10, v1, vcc_lo
	v_cmp_gt_i32_e32 vcc_lo, 32, v4
	s_mov_b32 s11, s10
	v_add_co_ci_u32_e64 v26, null, s17, 0, s1
	v_mov_b32_e32 v38, 0
	v_cndmask_b32_e32 v4, v10, v4, vcc_lo
	v_add_co_u32 v31, vcc_lo, s16, v7
	v_add_co_ci_u32_e32 v32, vcc_lo, s17, v8, vcc_lo
	v_cmp_gt_i32_e32 vcc_lo, 32, v15
	v_lshlrev_b32_e32 v29, 2, v12
	v_mad_u64_u32 v[11:12], null, v0, s8, 0
	v_lshlrev_b32_e32 v34, 2, v4
	v_cndmask_b32_e32 v8, v10, v15, vcc_lo
	v_mov_b32_e32 v7, v14
	v_lshlrev_b32_e32 v33, 2, v1
	v_mov_b32_e32 v1, v5
	v_mov_b32_e32 v10, v5
	;; [unrolled: 1-line block ×3, first 2 shown]
	v_or_b32_e32 v12, v27, v0
	v_lshlrev_b32_e32 v35, 2, v8
	v_cmp_gt_u64_e32 vcc_lo, s[8:9], v[0:1]
	v_mov_b32_e32 v1, 0x7c
	v_mad_u64_u32 v[14:15], null, v0, s9, v[4:5]
	v_lshlrev_b32_e32 v36, 3, v12
	v_mad_u64_u32 v[15:16], null, v9, s9, v[7:8]
	v_cmp_gt_u64_e64 s1, s[8:9], v[9:10]
	v_dual_mov_b32 v7, s10 :: v_dual_mov_b32 v8, s11
	v_dual_mov_b32 v12, v14 :: v_dual_mov_b32 v37, 1
	s_cmp_eq_u32 s0, 0
	s_delay_alu instid0(VALU_DEP_4) | instskip(NEXT) | instid1(VALU_DEP_2)
	v_dual_mov_b32 v14, v15 :: v_dual_mov_b32 v15, 0
	v_lshlrev_b64 v[9:10], 3, v[11:12]
	v_mov_b32_e32 v16, 0
	s_mul_i32 s21, s8, s8
	s_delay_alu instid0(VALU_DEP_3)
	v_lshlrev_b64 v[11:12], 3, v[13:14]
	s_cselect_b32 s0, -1, 0
	s_and_b32 s22, s2, vcc_lo
	s_and_b32 s11, s2, s1
	s_ashr_i32 s2, s9, 31
	s_sub_i32 s23, 0, s8
	s_branch .LBB93_10
.LBB93_8:                               ;   in Loop: Header=BB93_10 Depth=1
	s_or_b32 exec_lo, exec_lo, s3
	v_mov_b32_e32 v4, 1
.LBB93_9:                               ;   in Loop: Header=BB93_10 Depth=1
	s_or_b32 exec_lo, exec_lo, s1
	ds_bpermute_b32 v15, v33, v13
	ds_bpermute_b32 v16, v33, v14
	v_add_nc_u32_e32 v3, v4, v3
	s_waitcnt lgkmcnt(0)
	s_waitcnt_vscnt null, 0x0
	buffer_gl0_inv
	buffer_gl0_inv
	v_cmp_lt_i64_e32 vcc_lo, v[15:16], v[13:14]
	v_dual_cndmask_b32 v14, v14, v16 :: v_dual_cndmask_b32 v13, v13, v15
	ds_bpermute_b32 v16, v34, v14
	ds_bpermute_b32 v15, v34, v13
	s_waitcnt lgkmcnt(0)
	v_cmp_lt_i64_e32 vcc_lo, v[15:16], v[13:14]
	v_dual_cndmask_b32 v14, v14, v16 :: v_dual_cndmask_b32 v13, v13, v15
	ds_bpermute_b32 v16, v35, v14
	ds_bpermute_b32 v15, v35, v13
	s_waitcnt lgkmcnt(0)
	;; [unrolled: 5-line block ×4, first 2 shown]
	v_cmp_lt_i64_e32 vcc_lo, v[15:16], v[13:14]
	v_cndmask_b32_e32 v13, v13, v15, vcc_lo
	ds_bpermute_b32 v15, v1, v13
	s_waitcnt lgkmcnt(0)
	v_mov_b32_e32 v38, v15
	v_ashrrev_i32_e32 v16, 31, v15
	s_delay_alu instid0(VALU_DEP_1) | instskip(SKIP_1) | instid1(SALU_CYCLE_1)
	v_cmp_le_i64_e32 vcc_lo, s[6:7], v[15:16]
	s_or_b32 s10, vcc_lo, s10
	s_and_not1_b32 exec_lo, exec_lo, s10
	s_cbranch_execz .LBB93_27
.LBB93_10:                              ; =>This Loop Header: Depth=1
                                        ;     Child Loop BB93_13 Depth 2
	v_dual_mov_b32 v14, s7 :: v_dual_add_nc_u32 v17, v6, v0
	v_dual_mov_b32 v13, s6 :: v_dual_mov_b32 v6, v2
	s_mov_b32 s24, exec_lo
	ds_store_b8 v24, v5 offset:4096
	ds_store_2addr_b64 v36, v[7:8], v[7:8] offset1:4
	s_waitcnt lgkmcnt(0)
	buffer_gl0_inv
	v_cmpx_lt_i32_e64 v17, v2
	s_cbranch_execz .LBB93_22
; %bb.11:                               ;   in Loop: Header=BB93_10 Depth=1
	v_mad_u64_u32 v[19:20], null, v15, s8, 0
	v_dual_mov_b32 v14, s7 :: v_dual_mov_b32 v13, s6
	v_mov_b32_e32 v4, v2
	s_mov_b32 s25, 0
	s_branch .LBB93_13
.LBB93_12:                              ;   in Loop: Header=BB93_13 Depth=2
	s_or_b32 exec_lo, exec_lo, s3
	s_delay_alu instid0(VALU_DEP_1) | instskip(SKIP_1) | instid1(VALU_DEP_1)
	v_dual_mov_b32 v4, v6 :: v_dual_add_nc_u32 v17, 4, v17
	s_xor_b32 s3, vcc_lo, -1
	v_cmp_ge_i32_e64 s1, v17, v2
	s_delay_alu instid0(VALU_DEP_1) | instskip(NEXT) | instid1(SALU_CYCLE_1)
	s_or_b32 s1, s3, s1
	s_and_b32 s1, exec_lo, s1
	s_delay_alu instid0(SALU_CYCLE_1) | instskip(NEXT) | instid1(SALU_CYCLE_1)
	s_or_b32 s25, s1, s25
	s_and_not1_b32 exec_lo, exec_lo, s25
	s_cbranch_execz .LBB93_21
.LBB93_13:                              ;   Parent Loop BB93_10 Depth=1
                                        ; =>  This Inner Loop Header: Depth=2
	v_ashrrev_i32_e32 v18, 31, v17
	s_mov_b32 s1, exec_lo
	s_delay_alu instid0(VALU_DEP_1) | instskip(NEXT) | instid1(VALU_DEP_1)
	v_lshlrev_b64 v[20:21], 3, v[17:18]
	v_add_co_u32 v22, vcc_lo, s12, v20
	s_delay_alu instid0(VALU_DEP_2) | instskip(SKIP_4) | instid1(VALU_DEP_1)
	v_add_co_ci_u32_e32 v23, vcc_lo, s13, v21, vcc_lo
	global_load_b64 v[22:23], v[22:23], off
	s_waitcnt vmcnt(0)
	v_sub_co_u32 v18, vcc_lo, v22, s18
	v_subrev_co_ci_u32_e32 v39, vcc_lo, 0, v23, vcc_lo
                                        ; implicit-def: $vgpr22_vgpr23
	v_or_b32_e32 v6, s9, v39
	s_delay_alu instid0(VALU_DEP_1)
	v_cmpx_ne_u64_e32 0, v[5:6]
	s_xor_b32 s26, exec_lo, s1
	s_cbranch_execz .LBB93_15
; %bb.14:                               ;   in Loop: Header=BB93_13 Depth=2
	s_add_u32 s16, s8, s2
	s_mov_b32 s3, s2
	s_addc_u32 s17, s9, s2
	s_delay_alu instid0(SALU_CYCLE_1) | instskip(NEXT) | instid1(SALU_CYCLE_1)
	s_xor_b64 s[16:17], s[16:17], s[2:3]
	v_cvt_f32_u32_e32 v6, s16
	v_cvt_f32_u32_e32 v22, s17
	s_sub_u32 s1, 0, s16
	s_subb_u32 s3, 0, s17
	s_delay_alu instid0(VALU_DEP_1) | instskip(NEXT) | instid1(VALU_DEP_1)
	v_fmac_f32_e32 v6, 0x4f800000, v22
	v_rcp_f32_e32 v6, v6
	s_waitcnt_depctr 0xfff
	v_mul_f32_e32 v6, 0x5f7ffffc, v6
	s_delay_alu instid0(VALU_DEP_1) | instskip(NEXT) | instid1(VALU_DEP_1)
	v_mul_f32_e32 v22, 0x2f800000, v6
	v_trunc_f32_e32 v22, v22
	s_delay_alu instid0(VALU_DEP_1) | instskip(SKIP_1) | instid1(VALU_DEP_2)
	v_fmac_f32_e32 v6, 0xcf800000, v22
	v_cvt_u32_f32_e32 v22, v22
	v_cvt_u32_f32_e32 v6, v6
	s_delay_alu instid0(VALU_DEP_2) | instskip(NEXT) | instid1(VALU_DEP_2)
	v_mul_lo_u32 v23, s1, v22
	v_mul_hi_u32 v40, s1, v6
	v_mul_lo_u32 v41, s3, v6
	s_delay_alu instid0(VALU_DEP_2) | instskip(SKIP_1) | instid1(VALU_DEP_2)
	v_add_nc_u32_e32 v23, v40, v23
	v_mul_lo_u32 v40, s1, v6
	v_add_nc_u32_e32 v23, v23, v41
	s_delay_alu instid0(VALU_DEP_2) | instskip(NEXT) | instid1(VALU_DEP_2)
	v_mul_hi_u32 v41, v6, v40
	v_mul_lo_u32 v42, v6, v23
	v_mul_hi_u32 v43, v6, v23
	v_mul_hi_u32 v44, v22, v40
	v_mul_lo_u32 v40, v22, v40
	v_mul_hi_u32 v45, v22, v23
	v_mul_lo_u32 v23, v22, v23
	v_add_co_u32 v41, vcc_lo, v41, v42
	v_add_co_ci_u32_e32 v42, vcc_lo, 0, v43, vcc_lo
	s_delay_alu instid0(VALU_DEP_2) | instskip(NEXT) | instid1(VALU_DEP_2)
	v_add_co_u32 v40, vcc_lo, v41, v40
	v_add_co_ci_u32_e32 v40, vcc_lo, v42, v44, vcc_lo
	v_add_co_ci_u32_e32 v41, vcc_lo, 0, v45, vcc_lo
	v_ashrrev_i32_e32 v44, 31, v39
	s_delay_alu instid0(VALU_DEP_3) | instskip(NEXT) | instid1(VALU_DEP_3)
	v_add_co_u32 v23, vcc_lo, v40, v23
	v_add_co_ci_u32_e32 v40, vcc_lo, 0, v41, vcc_lo
	s_delay_alu instid0(VALU_DEP_2) | instskip(NEXT) | instid1(VALU_DEP_2)
	v_add_co_u32 v6, vcc_lo, v6, v23
	v_add_co_ci_u32_e32 v22, vcc_lo, v22, v40, vcc_lo
	s_delay_alu instid0(VALU_DEP_2) | instskip(SKIP_1) | instid1(VALU_DEP_3)
	v_mul_hi_u32 v23, s1, v6
	v_mul_lo_u32 v41, s3, v6
	v_mul_lo_u32 v40, s1, v22
	s_delay_alu instid0(VALU_DEP_1) | instskip(SKIP_1) | instid1(VALU_DEP_2)
	v_add_nc_u32_e32 v23, v23, v40
	v_mul_lo_u32 v40, s1, v6
	v_add_nc_u32_e32 v23, v23, v41
	s_delay_alu instid0(VALU_DEP_2) | instskip(NEXT) | instid1(VALU_DEP_2)
	v_mul_hi_u32 v41, v6, v40
	v_mul_lo_u32 v42, v6, v23
	v_mul_hi_u32 v43, v6, v23
	v_mul_hi_u32 v45, v22, v40
	v_mul_lo_u32 v40, v22, v40
	v_mul_hi_u32 v46, v22, v23
	v_mul_lo_u32 v23, v22, v23
	v_add_co_u32 v41, vcc_lo, v41, v42
	v_add_co_ci_u32_e32 v42, vcc_lo, 0, v43, vcc_lo
	s_delay_alu instid0(VALU_DEP_2) | instskip(NEXT) | instid1(VALU_DEP_2)
	v_add_co_u32 v40, vcc_lo, v41, v40
	v_add_co_ci_u32_e32 v40, vcc_lo, v42, v45, vcc_lo
	v_add_co_ci_u32_e32 v41, vcc_lo, 0, v46, vcc_lo
	v_add_co_u32 v42, vcc_lo, v18, v44
	v_add_co_ci_u32_e32 v39, vcc_lo, v39, v44, vcc_lo
	s_delay_alu instid0(VALU_DEP_4) | instskip(NEXT) | instid1(VALU_DEP_4)
	v_add_co_u32 v23, vcc_lo, v40, v23
	v_add_co_ci_u32_e32 v40, vcc_lo, 0, v41, vcc_lo
	s_delay_alu instid0(VALU_DEP_4) | instskip(NEXT) | instid1(VALU_DEP_3)
	v_xor_b32_e32 v43, v42, v44
	v_add_co_u32 v6, vcc_lo, v6, v23
	s_delay_alu instid0(VALU_DEP_3) | instskip(SKIP_1) | instid1(VALU_DEP_3)
	v_add_co_ci_u32_e32 v45, vcc_lo, v22, v40, vcc_lo
	v_xor_b32_e32 v46, v39, v44
	v_mul_hi_u32 v47, v43, v6
	s_delay_alu instid0(VALU_DEP_3) | instskip(NEXT) | instid1(VALU_DEP_3)
	v_mad_u64_u32 v[22:23], null, v43, v45, 0
	v_mad_u64_u32 v[39:40], null, v46, v6, 0
	;; [unrolled: 1-line block ×3, first 2 shown]
	s_delay_alu instid0(VALU_DEP_3) | instskip(NEXT) | instid1(VALU_DEP_4)
	v_add_co_u32 v6, vcc_lo, v47, v22
	v_add_co_ci_u32_e32 v22, vcc_lo, 0, v23, vcc_lo
	s_delay_alu instid0(VALU_DEP_2) | instskip(NEXT) | instid1(VALU_DEP_2)
	v_add_co_u32 v6, vcc_lo, v6, v39
	v_add_co_ci_u32_e32 v6, vcc_lo, v22, v40, vcc_lo
	v_add_co_ci_u32_e32 v22, vcc_lo, 0, v42, vcc_lo
	s_delay_alu instid0(VALU_DEP_2) | instskip(NEXT) | instid1(VALU_DEP_2)
	v_add_co_u32 v6, vcc_lo, v6, v41
	v_add_co_ci_u32_e32 v39, vcc_lo, 0, v22, vcc_lo
	s_delay_alu instid0(VALU_DEP_2) | instskip(SKIP_1) | instid1(VALU_DEP_3)
	v_mul_lo_u32 v40, s17, v6
	v_mad_u64_u32 v[22:23], null, s16, v6, 0
	v_mul_lo_u32 v41, s16, v39
	s_delay_alu instid0(VALU_DEP_2) | instskip(NEXT) | instid1(VALU_DEP_2)
	v_sub_co_u32 v22, vcc_lo, v43, v22
	v_add3_u32 v23, v23, v41, v40
	s_delay_alu instid0(VALU_DEP_1) | instskip(NEXT) | instid1(VALU_DEP_1)
	v_sub_nc_u32_e32 v40, v46, v23
	v_subrev_co_ci_u32_e64 v40, s1, s17, v40, vcc_lo
	v_add_co_u32 v41, s1, v6, 2
	s_delay_alu instid0(VALU_DEP_1) | instskip(SKIP_3) | instid1(VALU_DEP_3)
	v_add_co_ci_u32_e64 v42, s1, 0, v39, s1
	v_sub_co_u32 v43, s1, v22, s16
	v_sub_co_ci_u32_e32 v23, vcc_lo, v46, v23, vcc_lo
	v_subrev_co_ci_u32_e64 v40, s1, 0, v40, s1
	v_cmp_le_u32_e32 vcc_lo, s16, v43
	s_delay_alu instid0(VALU_DEP_3) | instskip(SKIP_1) | instid1(VALU_DEP_4)
	v_cmp_eq_u32_e64 s1, s17, v23
	v_cndmask_b32_e64 v43, 0, -1, vcc_lo
	v_cmp_le_u32_e32 vcc_lo, s17, v40
	v_cndmask_b32_e64 v45, 0, -1, vcc_lo
	v_cmp_le_u32_e32 vcc_lo, s16, v22
	;; [unrolled: 2-line block ×3, first 2 shown]
	v_cndmask_b32_e64 v46, 0, -1, vcc_lo
	v_cmp_eq_u32_e32 vcc_lo, s17, v40
	s_delay_alu instid0(VALU_DEP_2) | instskip(SKIP_3) | instid1(VALU_DEP_3)
	v_cndmask_b32_e64 v22, v46, v22, s1
	v_cndmask_b32_e32 v40, v45, v43, vcc_lo
	v_add_co_u32 v43, vcc_lo, v6, 1
	v_add_co_ci_u32_e32 v45, vcc_lo, 0, v39, vcc_lo
	v_cmp_ne_u32_e32 vcc_lo, 0, v40
	s_delay_alu instid0(VALU_DEP_2) | instskip(SKIP_2) | instid1(VALU_DEP_3)
	v_dual_cndmask_b32 v23, v45, v42 :: v_dual_cndmask_b32 v40, v43, v41
	v_cmp_ne_u32_e32 vcc_lo, 0, v22
	v_xor_b32_e32 v41, s2, v44
	v_cndmask_b32_e32 v6, v6, v40, vcc_lo
	s_delay_alu instid0(VALU_DEP_4) | instskip(NEXT) | instid1(VALU_DEP_2)
	v_cndmask_b32_e32 v22, v39, v23, vcc_lo
	v_xor_b32_e32 v6, v6, v41
	s_delay_alu instid0(VALU_DEP_2) | instskip(NEXT) | instid1(VALU_DEP_2)
	v_xor_b32_e32 v23, v22, v41
	v_sub_co_u32 v22, vcc_lo, v6, v41
	s_delay_alu instid0(VALU_DEP_2)
	v_sub_co_ci_u32_e32 v23, vcc_lo, v23, v41, vcc_lo
.LBB93_15:                              ;   in Loop: Header=BB93_13 Depth=2
	s_and_not1_saveexec_b32 s1, s26
	s_cbranch_execz .LBB93_17
; %bb.16:                               ;   in Loop: Header=BB93_13 Depth=2
	v_cvt_f32_u32_e32 v6, s8
	s_delay_alu instid0(VALU_DEP_1) | instskip(SKIP_2) | instid1(VALU_DEP_1)
	v_rcp_iflag_f32_e32 v6, v6
	s_waitcnt_depctr 0xfff
	v_mul_f32_e32 v6, 0x4f7ffffe, v6
	v_cvt_u32_f32_e32 v6, v6
	s_delay_alu instid0(VALU_DEP_1) | instskip(NEXT) | instid1(VALU_DEP_1)
	v_mul_lo_u32 v22, s23, v6
	v_mul_hi_u32 v22, v6, v22
	s_delay_alu instid0(VALU_DEP_1) | instskip(NEXT) | instid1(VALU_DEP_1)
	v_add_nc_u32_e32 v6, v6, v22
	v_mul_hi_u32 v6, v18, v6
	s_delay_alu instid0(VALU_DEP_1) | instskip(NEXT) | instid1(VALU_DEP_1)
	v_mul_lo_u32 v22, v6, s8
	v_sub_nc_u32_e32 v22, v18, v22
	s_delay_alu instid0(VALU_DEP_1) | instskip(SKIP_1) | instid1(VALU_DEP_2)
	v_subrev_nc_u32_e32 v39, s8, v22
	v_cmp_le_u32_e32 vcc_lo, s8, v22
	v_dual_cndmask_b32 v22, v22, v39 :: v_dual_add_nc_u32 v23, 1, v6
	s_delay_alu instid0(VALU_DEP_1) | instskip(NEXT) | instid1(VALU_DEP_2)
	v_cndmask_b32_e32 v6, v6, v23, vcc_lo
	v_cmp_le_u32_e32 vcc_lo, s8, v22
	s_delay_alu instid0(VALU_DEP_2) | instskip(NEXT) | instid1(VALU_DEP_1)
	v_add_nc_u32_e32 v23, 1, v6
	v_dual_cndmask_b32 v22, v6, v23 :: v_dual_mov_b32 v23, v5
.LBB93_17:                              ;   in Loop: Header=BB93_13 Depth=2
	s_or_b32 exec_lo, exec_lo, s1
	s_delay_alu instid0(VALU_DEP_1)
	v_cmp_eq_u64_e32 vcc_lo, v[22:23], v[15:16]
	s_mov_b32 s3, exec_lo
	v_cmpx_ne_u64_e64 v[22:23], v[15:16]
	s_xor_b32 s3, exec_lo, s3
; %bb.18:                               ;   in Loop: Header=BB93_13 Depth=2
	v_cmp_lt_i64_e64 s1, v[22:23], v[13:14]
                                        ; implicit-def: $vgpr20_vgpr21
                                        ; implicit-def: $vgpr18
                                        ; implicit-def: $vgpr4
	s_delay_alu instid0(VALU_DEP_1)
	v_cndmask_b32_e64 v14, v14, v23, s1
	v_cndmask_b32_e64 v13, v13, v22, s1
; %bb.19:                               ;   in Loop: Header=BB93_13 Depth=2
	s_or_saveexec_b32 s3, s3
	v_mov_b32_e32 v6, v17
	s_xor_b32 exec_lo, exec_lo, s3
	s_cbranch_execz .LBB93_12
; %bb.20:                               ;   in Loop: Header=BB93_13 Depth=2
	v_add_co_u32 v20, s1, s14, v20
	s_delay_alu instid0(VALU_DEP_1)
	v_add_co_ci_u32_e64 v21, s1, s15, v21, s1
	v_sub_nc_u32_e32 v6, v18, v19
	global_load_b64 v[20:21], v[20:21], off
	v_add_lshl_u32 v18, v27, v6, 3
	v_mov_b32_e32 v6, v4
	ds_store_b8 v24, v37 offset:4096
	s_waitcnt vmcnt(0)
	ds_store_b64 v18, v[20:21]
	s_branch .LBB93_12
.LBB93_21:                              ;   in Loop: Header=BB93_10 Depth=1
	s_or_b32 exec_lo, exec_lo, s25
.LBB93_22:                              ;   in Loop: Header=BB93_10 Depth=1
	s_delay_alu instid0(SALU_CYCLE_1)
	s_or_b32 exec_lo, exec_lo, s24
	ds_bpermute_b32 v4, v28, v6
	s_waitcnt lgkmcnt(0)
	buffer_gl0_inv
	ds_load_u8 v15, v24 offset:4096
	v_min_i32_e32 v4, v4, v6
	ds_bpermute_b32 v6, v29, v4
	s_waitcnt lgkmcnt(0)
	v_min_i32_e32 v4, v6, v4
	ds_bpermute_b32 v6, v30, v4
	v_and_b32_e32 v4, 1, v15
	s_delay_alu instid0(VALU_DEP_1)
	v_cmp_eq_u32_e32 vcc_lo, 1, v4
	v_mov_b32_e32 v4, 0
	s_and_saveexec_b32 s1, vcc_lo
	s_cbranch_execz .LBB93_9
; %bb.23:                               ;   in Loop: Header=BB93_10 Depth=1
	v_ashrrev_i32_e32 v4, 31, v3
	v_mul_lo_u32 v17, s20, v3
	v_mad_u64_u32 v[15:16], null, s21, v3, 0
	v_add_nc_u32_e32 v19, s19, v38
	s_delay_alu instid0(VALU_DEP_4) | instskip(NEXT) | instid1(VALU_DEP_2)
	v_mul_lo_u32 v18, s21, v4
	v_ashrrev_i32_e32 v20, 31, v19
	s_delay_alu instid0(VALU_DEP_2) | instskip(SKIP_1) | instid1(VALU_DEP_2)
	v_add3_u32 v16, v16, v18, v17
	v_lshlrev_b64 v[17:18], 3, v[3:4]
	v_lshlrev_b64 v[21:22], 3, v[15:16]
	s_delay_alu instid0(VALU_DEP_2) | instskip(NEXT) | instid1(VALU_DEP_3)
	v_add_co_u32 v38, vcc_lo, s4, v17
	v_add_co_ci_u32_e32 v39, vcc_lo, s5, v18, vcc_lo
	s_delay_alu instid0(VALU_DEP_3) | instskip(NEXT) | instid1(VALU_DEP_4)
	v_add_co_u32 v4, vcc_lo, v25, v21
	v_add_co_ci_u32_e32 v15, vcc_lo, v26, v22, vcc_lo
	v_add_co_u32 v16, vcc_lo, v31, v21
	v_add_co_ci_u32_e32 v17, vcc_lo, v32, v22, vcc_lo
	v_lshlrev_b32_e32 v18, 3, v0
	global_store_b64 v[38:39], v[19:20], off
	s_and_saveexec_b32 s3, s22
	s_cbranch_execz .LBB93_25
; %bb.24:                               ;   in Loop: Header=BB93_10 Depth=1
	ds_load_b64 v[19:20], v36
	v_add_co_u32 v21, vcc_lo, v4, v9
	v_add_co_ci_u32_e32 v22, vcc_lo, v15, v10, vcc_lo
	v_add_co_u32 v23, vcc_lo, v16, v18
	v_add_co_ci_u32_e32 v38, vcc_lo, 0, v17, vcc_lo
	s_delay_alu instid0(VALU_DEP_2) | instskip(NEXT) | instid1(VALU_DEP_2)
	v_cndmask_b32_e64 v21, v21, v23, s0
	v_cndmask_b32_e64 v22, v22, v38, s0
	s_waitcnt lgkmcnt(0)
	global_store_b64 v[21:22], v[19:20], off
.LBB93_25:                              ;   in Loop: Header=BB93_10 Depth=1
	s_or_b32 exec_lo, exec_lo, s3
	s_and_saveexec_b32 s3, s11
	s_cbranch_execz .LBB93_8
; %bb.26:                               ;   in Loop: Header=BB93_10 Depth=1
	v_add_co_u32 v18, vcc_lo, v16, v18
	v_add_co_ci_u32_e32 v19, vcc_lo, 0, v17, vcc_lo
	ds_load_b64 v[16:17], v36 offset:32
	v_add_co_u32 v18, vcc_lo, v18, 32
	v_add_co_ci_u32_e32 v19, vcc_lo, 0, v19, vcc_lo
	v_add_co_u32 v4, vcc_lo, v4, v11
	v_add_co_ci_u32_e32 v15, vcc_lo, v15, v12, vcc_lo
	s_delay_alu instid0(VALU_DEP_2) | instskip(NEXT) | instid1(VALU_DEP_2)
	v_cndmask_b32_e64 v18, v4, v18, s0
	v_cndmask_b32_e64 v19, v15, v19, s0
	s_waitcnt lgkmcnt(0)
	global_store_b64 v[18:19], v[16:17], off
	s_branch .LBB93_8
.LBB93_27:
	s_endpgm
	.section	.rodata,"a",@progbits
	.p2align	6, 0x0
	.amdhsa_kernel _ZN9rocsparseL42csr2bsr_wavefront_per_row_multipass_kernelILj256ELj32ELj8E21rocsparse_complex_numIfEilEEv20rocsparse_direction_T4_S4_S4_S4_S4_21rocsparse_index_base_PKT2_PKT3_PKS4_S5_PS6_PS9_PS4_
		.amdhsa_group_segment_fixed_size 4104
		.amdhsa_private_segment_fixed_size 0
		.amdhsa_kernarg_size 112
		.amdhsa_user_sgpr_count 15
		.amdhsa_user_sgpr_dispatch_ptr 0
		.amdhsa_user_sgpr_queue_ptr 0
		.amdhsa_user_sgpr_kernarg_segment_ptr 1
		.amdhsa_user_sgpr_dispatch_id 0
		.amdhsa_user_sgpr_private_segment_size 0
		.amdhsa_wavefront_size32 1
		.amdhsa_uses_dynamic_stack 0
		.amdhsa_enable_private_segment 0
		.amdhsa_system_sgpr_workgroup_id_x 1
		.amdhsa_system_sgpr_workgroup_id_y 0
		.amdhsa_system_sgpr_workgroup_id_z 0
		.amdhsa_system_sgpr_workgroup_info 0
		.amdhsa_system_vgpr_workitem_id 0
		.amdhsa_next_free_vgpr 48
		.amdhsa_next_free_sgpr 27
		.amdhsa_reserve_vcc 1
		.amdhsa_float_round_mode_32 0
		.amdhsa_float_round_mode_16_64 0
		.amdhsa_float_denorm_mode_32 3
		.amdhsa_float_denorm_mode_16_64 3
		.amdhsa_dx10_clamp 1
		.amdhsa_ieee_mode 1
		.amdhsa_fp16_overflow 0
		.amdhsa_workgroup_processor_mode 1
		.amdhsa_memory_ordered 1
		.amdhsa_forward_progress 0
		.amdhsa_shared_vgpr_count 0
		.amdhsa_exception_fp_ieee_invalid_op 0
		.amdhsa_exception_fp_denorm_src 0
		.amdhsa_exception_fp_ieee_div_zero 0
		.amdhsa_exception_fp_ieee_overflow 0
		.amdhsa_exception_fp_ieee_underflow 0
		.amdhsa_exception_fp_ieee_inexact 0
		.amdhsa_exception_int_div_zero 0
	.end_amdhsa_kernel
	.section	.text._ZN9rocsparseL42csr2bsr_wavefront_per_row_multipass_kernelILj256ELj32ELj8E21rocsparse_complex_numIfEilEEv20rocsparse_direction_T4_S4_S4_S4_S4_21rocsparse_index_base_PKT2_PKT3_PKS4_S5_PS6_PS9_PS4_,"axG",@progbits,_ZN9rocsparseL42csr2bsr_wavefront_per_row_multipass_kernelILj256ELj32ELj8E21rocsparse_complex_numIfEilEEv20rocsparse_direction_T4_S4_S4_S4_S4_21rocsparse_index_base_PKT2_PKT3_PKS4_S5_PS6_PS9_PS4_,comdat
.Lfunc_end93:
	.size	_ZN9rocsparseL42csr2bsr_wavefront_per_row_multipass_kernelILj256ELj32ELj8E21rocsparse_complex_numIfEilEEv20rocsparse_direction_T4_S4_S4_S4_S4_21rocsparse_index_base_PKT2_PKT3_PKS4_S5_PS6_PS9_PS4_, .Lfunc_end93-_ZN9rocsparseL42csr2bsr_wavefront_per_row_multipass_kernelILj256ELj32ELj8E21rocsparse_complex_numIfEilEEv20rocsparse_direction_T4_S4_S4_S4_S4_21rocsparse_index_base_PKT2_PKT3_PKS4_S5_PS6_PS9_PS4_
                                        ; -- End function
	.section	.AMDGPU.csdata,"",@progbits
; Kernel info:
; codeLenInByte = 2728
; NumSgprs: 29
; NumVgprs: 48
; ScratchSize: 0
; MemoryBound: 0
; FloatMode: 240
; IeeeMode: 1
; LDSByteSize: 4104 bytes/workgroup (compile time only)
; SGPRBlocks: 3
; VGPRBlocks: 5
; NumSGPRsForWavesPerEU: 29
; NumVGPRsForWavesPerEU: 48
; Occupancy: 16
; WaveLimiterHint : 0
; COMPUTE_PGM_RSRC2:SCRATCH_EN: 0
; COMPUTE_PGM_RSRC2:USER_SGPR: 15
; COMPUTE_PGM_RSRC2:TRAP_HANDLER: 0
; COMPUTE_PGM_RSRC2:TGID_X_EN: 1
; COMPUTE_PGM_RSRC2:TGID_Y_EN: 0
; COMPUTE_PGM_RSRC2:TGID_Z_EN: 0
; COMPUTE_PGM_RSRC2:TIDIG_COMP_CNT: 0
	.section	.text._ZN9rocsparseL42csr2bsr_wavefront_per_row_multipass_kernelILj256ELj64ELj16E21rocsparse_complex_numIfEilEEv20rocsparse_direction_T4_S4_S4_S4_S4_21rocsparse_index_base_PKT2_PKT3_PKS4_S5_PS6_PS9_PS4_,"axG",@progbits,_ZN9rocsparseL42csr2bsr_wavefront_per_row_multipass_kernelILj256ELj64ELj16E21rocsparse_complex_numIfEilEEv20rocsparse_direction_T4_S4_S4_S4_S4_21rocsparse_index_base_PKT2_PKT3_PKS4_S5_PS6_PS9_PS4_,comdat
	.globl	_ZN9rocsparseL42csr2bsr_wavefront_per_row_multipass_kernelILj256ELj64ELj16E21rocsparse_complex_numIfEilEEv20rocsparse_direction_T4_S4_S4_S4_S4_21rocsparse_index_base_PKT2_PKT3_PKS4_S5_PS6_PS9_PS4_ ; -- Begin function _ZN9rocsparseL42csr2bsr_wavefront_per_row_multipass_kernelILj256ELj64ELj16E21rocsparse_complex_numIfEilEEv20rocsparse_direction_T4_S4_S4_S4_S4_21rocsparse_index_base_PKT2_PKT3_PKS4_S5_PS6_PS9_PS4_
	.p2align	8
	.type	_ZN9rocsparseL42csr2bsr_wavefront_per_row_multipass_kernelILj256ELj64ELj16E21rocsparse_complex_numIfEilEEv20rocsparse_direction_T4_S4_S4_S4_S4_21rocsparse_index_base_PKT2_PKT3_PKS4_S5_PS6_PS9_PS4_,@function
_ZN9rocsparseL42csr2bsr_wavefront_per_row_multipass_kernelILj256ELj64ELj16E21rocsparse_complex_numIfEilEEv20rocsparse_direction_T4_S4_S4_S4_S4_21rocsparse_index_base_PKT2_PKT3_PKS4_S5_PS6_PS9_PS4_: ; @_ZN9rocsparseL42csr2bsr_wavefront_per_row_multipass_kernelILj256ELj64ELj16E21rocsparse_complex_numIfEilEEv20rocsparse_direction_T4_S4_S4_S4_S4_21rocsparse_index_base_PKT2_PKT3_PKS4_S5_PS6_PS9_PS4_
; %bb.0:
	s_load_b64 s[8:9], s[0:1], 0x28
	v_lshrrev_b32_e32 v28, 6, v0
	s_mov_b32 s10, s15
	s_ashr_i32 s11, s15, 31
	s_clause 0x1
	s_load_b64 s[14:15], s[0:1], 0x8
	s_load_b128 s[4:7], s[0:1], 0x18
	s_lshl_b64 s[2:3], s[10:11], 2
	v_mov_b32_e32 v2, 0
	v_or_b32_e32 v5, s2, v28
	v_bfe_u32 v1, v0, 2, 4
	s_clause 0x1
	s_load_b32 s18, s[0:1], 0x30
	s_load_b64 s[12:13], s[0:1], 0x40
	s_waitcnt lgkmcnt(0)
	v_mul_lo_u32 v6, v5, s9
	v_mad_u64_u32 v[3:4], null, v5, s8, v[1:2]
	s_mul_i32 s2, s3, s8
	s_delay_alu instid0(VALU_DEP_1) | instid1(SALU_CYCLE_1)
	v_add3_u32 v4, s2, v4, v6
	v_cmp_gt_i64_e64 s2, s[8:9], v[1:2]
	v_mov_b32_e32 v6, v2
	s_delay_alu instid0(VALU_DEP_3) | instskip(NEXT) | instid1(VALU_DEP_3)
	v_cmp_gt_i64_e32 vcc_lo, s[14:15], v[3:4]
	s_and_b32 s3, s2, vcc_lo
	s_delay_alu instid0(SALU_CYCLE_1)
	s_and_saveexec_b32 s11, s3
	s_cbranch_execz .LBB94_2
; %bb.1:
	v_lshlrev_b64 v[5:6], 2, v[3:4]
	s_delay_alu instid0(VALU_DEP_1) | instskip(NEXT) | instid1(VALU_DEP_2)
	v_add_co_u32 v5, vcc_lo, s12, v5
	v_add_co_ci_u32_e32 v6, vcc_lo, s13, v6, vcc_lo
	global_load_b32 v5, v[5:6], off
	s_waitcnt vmcnt(0)
	v_subrev_nc_u32_e32 v6, s18, v5
.LBB94_2:
	s_or_b32 exec_lo, exec_lo, s11
	s_and_saveexec_b32 s11, s3
	s_cbranch_execz .LBB94_4
; %bb.3:
	v_lshlrev_b64 v[2:3], 2, v[3:4]
	s_delay_alu instid0(VALU_DEP_1) | instskip(NEXT) | instid1(VALU_DEP_2)
	v_add_co_u32 v2, vcc_lo, s12, v2
	v_add_co_ci_u32_e32 v3, vcc_lo, s13, v3, vcc_lo
	global_load_b32 v2, v[2:3], off offset:4
	s_waitcnt vmcnt(0)
	v_subrev_nc_u32_e32 v2, s18, v2
.LBB94_4:
	s_or_b32 exec_lo, exec_lo, s11
	s_load_b32 s19, s[0:1], 0x50
	v_mov_b32_e32 v5, 0
	v_lshl_or_b32 v4, s10, 2, v28
	s_mov_b32 s3, exec_lo
	s_delay_alu instid0(VALU_DEP_2) | instskip(NEXT) | instid1(VALU_DEP_2)
	v_mov_b32_e32 v3, v5
	v_cmpx_gt_i64_e64 s[4:5], v[4:5]
	s_cbranch_execz .LBB94_6
; %bb.5:
	s_load_b64 s[4:5], s[0:1], 0x60
	v_lshlrev_b64 v[3:4], 2, v[4:5]
	s_waitcnt lgkmcnt(0)
	s_delay_alu instid0(VALU_DEP_1) | instskip(NEXT) | instid1(VALU_DEP_2)
	v_add_co_u32 v3, vcc_lo, s4, v3
	v_add_co_ci_u32_e32 v4, vcc_lo, s5, v4, vcc_lo
	global_load_b32 v3, v[3:4], off
	s_waitcnt vmcnt(0)
	v_subrev_nc_u32_e32 v3, s19, v3
.LBB94_6:
	s_or_b32 exec_lo, exec_lo, s3
	v_cmp_lt_i64_e64 s3, s[6:7], 1
	s_delay_alu instid0(VALU_DEP_1)
	s_and_b32 vcc_lo, exec_lo, s3
	s_cbranch_vccnz .LBB94_31
; %bb.7:
	v_mbcnt_lo_u32_b32 v11, -1, 0
	v_mad_u64_u32 v[7:8], null, v1, s8, 0
	s_load_b64 s[4:5], s[0:1], 0x58
	v_dual_mov_b32 v5, 0 :: v_dual_lshlrev_b32 v10, 3, v1
	s_delay_alu instid0(VALU_DEP_3)
	v_xor_b32_e32 v12, 2, v11
	v_xor_b32_e32 v13, 1, v11
	s_mul_i32 s3, s8, s9
	s_mul_hi_u32 s10, s8, s8
	v_lshl_or_b32 v34, v11, 2, 12
	v_cmp_gt_i32_e32 vcc_lo, 32, v12
	v_mov_b32_e32 v4, v8
	s_add_i32 s12, s10, s3
	s_clause 0x3
	s_load_b64 s[10:11], s[0:1], 0x68
	s_load_b64 s[14:15], s[0:1], 0x48
	;; [unrolled: 1-line block ×3, first 2 shown]
	s_load_b32 s0, s[0:1], 0x0
	s_add_i32 s20, s12, s3
	v_mad_u64_u32 v[8:9], null, v1, s9, v[4:5]
	v_cndmask_b32_e32 v9, v11, v12, vcc_lo
	v_lshlrev_b32_e32 v4, 8, v28
	v_cmp_gt_i32_e32 vcc_lo, 32, v13
	s_mov_b32 s12, 0
	s_waitcnt lgkmcnt(0)
	v_add_co_u32 v29, s1, s4, v10
	v_lshlrev_b64 v[7:8], 3, v[7:8]
	v_lshl_or_b32 v31, v1, 4, v4
	v_or_b32_e32 v1, 32, v11
	v_cndmask_b32_e32 v10, v11, v13, vcc_lo
	v_xor_b32_e32 v4, 16, v11
	v_lshlrev_b32_e32 v32, 2, v9
	v_add_co_u32 v35, vcc_lo, s4, v7
	v_add_co_ci_u32_e32 v36, vcc_lo, s5, v8, vcc_lo
	v_cmp_gt_i32_e32 vcc_lo, 32, v1
	v_xor_b32_e32 v7, 8, v11
	v_xor_b32_e32 v8, 4, v11
	s_mov_b32 s13, s12
	v_dual_mov_b32 v12, v5 :: v_dual_cndmask_b32 v1, v11, v1
	v_cmp_gt_i32_e32 vcc_lo, 32, v4
	v_mov_b32_e32 v16, v5
	v_add_co_ci_u32_e64 v30, null, s5, 0, s1
	s_delay_alu instid0(VALU_DEP_4)
	v_dual_cndmask_b32 v4, v11, v4 :: v_dual_lshlrev_b32 v37, 2, v1
	v_cmp_gt_i32_e32 vcc_lo, 32, v7
	v_and_b32_e32 v0, 3, v0
	v_bfrev_b32_e32 v41, 0.5
	s_cmp_eq_u32 s0, 0
	s_mul_i32 s21, s8, s8
	v_cndmask_b32_e32 v7, v11, v7, vcc_lo
	v_cmp_gt_i32_e32 vcc_lo, 32, v8
	v_or_b32_e32 v1, v31, v0
	v_or_b32_e32 v15, 12, v0
	s_cselect_b32 s0, -1, 0
	v_lshlrev_b32_e32 v39, 2, v7
	v_or_b32_e32 v7, 4, v0
	v_dual_cndmask_b32 v8, v11, v8 :: v_dual_lshlrev_b32 v33, 2, v10
	v_mad_u64_u32 v[9:10], null, v0, s8, 0
	v_or_b32_e32 v11, 8, v0
	s_delay_alu instid0(VALU_DEP_4) | instskip(SKIP_1) | instid1(VALU_DEP_3)
	v_mad_u64_u32 v[13:14], null, v7, s8, 0
	v_dual_mov_b32 v1, v5 :: v_dual_lshlrev_b32 v42, 3, v1
	v_mad_u64_u32 v[17:18], null, v11, s8, 0
	v_mad_u64_u32 v[21:22], null, v15, s8, 0
	v_lshlrev_b32_e32 v38, 2, v4
	s_delay_alu instid0(VALU_DEP_4) | instskip(SKIP_4) | instid1(VALU_DEP_4)
	v_cmp_gt_u64_e32 vcc_lo, s[8:9], v[0:1]
	v_mov_b32_e32 v1, v10
	v_mov_b32_e32 v4, v14
	v_dual_mov_b32 v43, 0 :: v_dual_lshlrev_b32 v40, 2, v8
	v_mov_b32_e32 v8, v5
	v_mad_u64_u32 v[19:20], null, v0, s9, v[1:2]
	v_mov_b32_e32 v1, v18
	v_mad_u64_u32 v[23:24], null, v7, s9, v[4:5]
	v_mov_b32_e32 v4, v22
	v_cmp_gt_u64_e64 s3, s[8:9], v[11:12]
	s_delay_alu instid0(VALU_DEP_4) | instskip(SKIP_1) | instid1(VALU_DEP_4)
	v_mad_u64_u32 v[24:25], null, v11, s9, v[1:2]
	v_mov_b32_e32 v10, v19
	v_mad_u64_u32 v[25:26], null, v15, s9, v[4:5]
	v_mov_b32_e32 v14, v23
	v_cmp_gt_u64_e64 s4, s[8:9], v[15:16]
	v_dual_mov_b32 v1, 1 :: v_dual_mov_b32 v18, v24
	v_cmp_gt_u64_e64 s1, s[8:9], v[7:8]
	v_dual_mov_b32 v19, 0 :: v_dual_mov_b32 v22, v25
	v_mov_b32_e32 v7, s12
	v_lshlrev_b64 v[9:10], 3, v[9:10]
	v_lshlrev_b64 v[11:12], 3, v[13:14]
	;; [unrolled: 1-line block ×4, first 2 shown]
	v_mov_b32_e32 v20, 0
	v_mov_b32_e32 v8, s13
	s_and_b32 s22, s2, vcc_lo
	s_and_b32 s23, s2, s1
	s_and_b32 s24, s2, s3
	;; [unrolled: 1-line block ×3, first 2 shown]
	s_ashr_i32 s2, s9, 31
	s_sub_i32 s25, 0, s8
	s_branch .LBB94_10
.LBB94_8:                               ;   in Loop: Header=BB94_10 Depth=1
	s_or_b32 exec_lo, exec_lo, s3
	v_mov_b32_e32 v4, 1
.LBB94_9:                               ;   in Loop: Header=BB94_10 Depth=1
	s_or_b32 exec_lo, exec_lo, s1
	ds_bpermute_b32 v19, v37, v17
	ds_bpermute_b32 v20, v37, v18
	v_add_nc_u32_e32 v3, v4, v3
	s_waitcnt lgkmcnt(0)
	s_waitcnt_vscnt null, 0x0
	buffer_gl0_inv
	buffer_gl0_inv
	v_cmp_lt_i64_e32 vcc_lo, v[19:20], v[17:18]
	v_dual_cndmask_b32 v18, v18, v20 :: v_dual_cndmask_b32 v17, v17, v19
	ds_bpermute_b32 v20, v38, v18
	ds_bpermute_b32 v19, v38, v17
	s_waitcnt lgkmcnt(0)
	v_cmp_lt_i64_e32 vcc_lo, v[19:20], v[17:18]
	v_dual_cndmask_b32 v18, v18, v20 :: v_dual_cndmask_b32 v17, v17, v19
	ds_bpermute_b32 v20, v39, v18
	ds_bpermute_b32 v19, v39, v17
	s_waitcnt lgkmcnt(0)
	;; [unrolled: 5-line block ×5, first 2 shown]
	v_cmp_lt_i64_e32 vcc_lo, v[19:20], v[17:18]
	v_cndmask_b32_e32 v17, v17, v19, vcc_lo
	ds_bpermute_b32 v19, v41, v17
	s_waitcnt lgkmcnt(0)
	v_ashrrev_i32_e32 v20, 31, v19
	v_mov_b32_e32 v43, v19
	s_delay_alu instid0(VALU_DEP_2) | instskip(SKIP_1) | instid1(SALU_CYCLE_1)
	v_cmp_le_i64_e32 vcc_lo, s[6:7], v[19:20]
	s_or_b32 s12, vcc_lo, s12
	s_and_not1_b32 exec_lo, exec_lo, s12
	s_cbranch_execz .LBB94_31
.LBB94_10:                              ; =>This Loop Header: Depth=1
                                        ;     Child Loop BB94_13 Depth 2
	v_dual_mov_b32 v18, s7 :: v_dual_add_nc_u32 v21, v6, v0
	v_dual_mov_b32 v17, s6 :: v_dual_mov_b32 v6, v2
	s_mov_b32 s26, exec_lo
	ds_store_b8 v28, v5 offset:8192
	ds_store_2addr_b64 v42, v[7:8], v[7:8] offset1:4
	ds_store_2addr_b64 v42, v[7:8], v[7:8] offset0:8 offset1:12
	s_waitcnt lgkmcnt(0)
	buffer_gl0_inv
	v_cmpx_lt_i32_e64 v21, v2
	s_cbranch_execz .LBB94_22
; %bb.11:                               ;   in Loop: Header=BB94_10 Depth=1
	v_mad_u64_u32 v[23:24], null, v19, s8, 0
	v_dual_mov_b32 v18, s7 :: v_dual_mov_b32 v17, s6
	v_mov_b32_e32 v4, v2
	s_mov_b32 s27, 0
	s_branch .LBB94_13
.LBB94_12:                              ;   in Loop: Header=BB94_13 Depth=2
	s_or_b32 exec_lo, exec_lo, s3
	s_delay_alu instid0(VALU_DEP_1) | instskip(SKIP_1) | instid1(VALU_DEP_1)
	v_dual_mov_b32 v4, v6 :: v_dual_add_nc_u32 v21, 4, v21
	s_xor_b32 s3, vcc_lo, -1
	v_cmp_ge_i32_e64 s1, v21, v2
	s_delay_alu instid0(VALU_DEP_1) | instskip(NEXT) | instid1(SALU_CYCLE_1)
	s_or_b32 s1, s3, s1
	s_and_b32 s1, exec_lo, s1
	s_delay_alu instid0(SALU_CYCLE_1) | instskip(NEXT) | instid1(SALU_CYCLE_1)
	s_or_b32 s27, s1, s27
	s_and_not1_b32 exec_lo, exec_lo, s27
	s_cbranch_execz .LBB94_21
.LBB94_13:                              ;   Parent Loop BB94_10 Depth=1
                                        ; =>  This Inner Loop Header: Depth=2
	v_ashrrev_i32_e32 v22, 31, v21
	s_mov_b32 s1, exec_lo
	s_delay_alu instid0(VALU_DEP_1) | instskip(NEXT) | instid1(VALU_DEP_1)
	v_lshlrev_b64 v[24:25], 3, v[21:22]
	v_add_co_u32 v26, vcc_lo, s14, v24
	s_delay_alu instid0(VALU_DEP_2) | instskip(SKIP_4) | instid1(VALU_DEP_1)
	v_add_co_ci_u32_e32 v27, vcc_lo, s15, v25, vcc_lo
	global_load_b64 v[26:27], v[26:27], off
	s_waitcnt vmcnt(0)
	v_sub_co_u32 v22, vcc_lo, v26, s18
	v_subrev_co_ci_u32_e32 v44, vcc_lo, 0, v27, vcc_lo
                                        ; implicit-def: $vgpr26_vgpr27
	v_or_b32_e32 v6, s9, v44
	s_delay_alu instid0(VALU_DEP_1)
	v_cmpx_ne_u64_e32 0, v[5:6]
	s_xor_b32 s28, exec_lo, s1
	s_cbranch_execz .LBB94_15
; %bb.14:                               ;   in Loop: Header=BB94_13 Depth=2
	s_add_u32 s4, s8, s2
	s_mov_b32 s3, s2
	s_addc_u32 s5, s9, s2
	s_delay_alu instid0(SALU_CYCLE_1) | instskip(NEXT) | instid1(SALU_CYCLE_1)
	s_xor_b64 s[4:5], s[4:5], s[2:3]
	v_cvt_f32_u32_e32 v6, s4
	v_cvt_f32_u32_e32 v26, s5
	s_sub_u32 s1, 0, s4
	s_subb_u32 s3, 0, s5
	s_delay_alu instid0(VALU_DEP_1) | instskip(NEXT) | instid1(VALU_DEP_1)
	v_fmac_f32_e32 v6, 0x4f800000, v26
	v_rcp_f32_e32 v6, v6
	s_waitcnt_depctr 0xfff
	v_mul_f32_e32 v6, 0x5f7ffffc, v6
	s_delay_alu instid0(VALU_DEP_1) | instskip(NEXT) | instid1(VALU_DEP_1)
	v_mul_f32_e32 v26, 0x2f800000, v6
	v_trunc_f32_e32 v26, v26
	s_delay_alu instid0(VALU_DEP_1) | instskip(SKIP_1) | instid1(VALU_DEP_2)
	v_fmac_f32_e32 v6, 0xcf800000, v26
	v_cvt_u32_f32_e32 v26, v26
	v_cvt_u32_f32_e32 v6, v6
	s_delay_alu instid0(VALU_DEP_2) | instskip(NEXT) | instid1(VALU_DEP_2)
	v_mul_lo_u32 v27, s1, v26
	v_mul_hi_u32 v45, s1, v6
	v_mul_lo_u32 v46, s3, v6
	s_delay_alu instid0(VALU_DEP_2) | instskip(SKIP_1) | instid1(VALU_DEP_2)
	v_add_nc_u32_e32 v27, v45, v27
	v_mul_lo_u32 v45, s1, v6
	v_add_nc_u32_e32 v27, v27, v46
	s_delay_alu instid0(VALU_DEP_2) | instskip(NEXT) | instid1(VALU_DEP_2)
	v_mul_hi_u32 v46, v6, v45
	v_mul_lo_u32 v47, v6, v27
	v_mul_hi_u32 v48, v6, v27
	v_mul_hi_u32 v49, v26, v45
	v_mul_lo_u32 v45, v26, v45
	v_mul_hi_u32 v50, v26, v27
	v_mul_lo_u32 v27, v26, v27
	v_add_co_u32 v46, vcc_lo, v46, v47
	v_add_co_ci_u32_e32 v47, vcc_lo, 0, v48, vcc_lo
	s_delay_alu instid0(VALU_DEP_2) | instskip(NEXT) | instid1(VALU_DEP_2)
	v_add_co_u32 v45, vcc_lo, v46, v45
	v_add_co_ci_u32_e32 v45, vcc_lo, v47, v49, vcc_lo
	v_add_co_ci_u32_e32 v46, vcc_lo, 0, v50, vcc_lo
	v_ashrrev_i32_e32 v49, 31, v44
	s_delay_alu instid0(VALU_DEP_3) | instskip(NEXT) | instid1(VALU_DEP_3)
	v_add_co_u32 v27, vcc_lo, v45, v27
	v_add_co_ci_u32_e32 v45, vcc_lo, 0, v46, vcc_lo
	s_delay_alu instid0(VALU_DEP_2) | instskip(NEXT) | instid1(VALU_DEP_2)
	v_add_co_u32 v6, vcc_lo, v6, v27
	v_add_co_ci_u32_e32 v26, vcc_lo, v26, v45, vcc_lo
	s_delay_alu instid0(VALU_DEP_2) | instskip(SKIP_1) | instid1(VALU_DEP_3)
	v_mul_hi_u32 v27, s1, v6
	v_mul_lo_u32 v46, s3, v6
	v_mul_lo_u32 v45, s1, v26
	s_delay_alu instid0(VALU_DEP_1) | instskip(SKIP_1) | instid1(VALU_DEP_2)
	v_add_nc_u32_e32 v27, v27, v45
	v_mul_lo_u32 v45, s1, v6
	v_add_nc_u32_e32 v27, v27, v46
	s_delay_alu instid0(VALU_DEP_2) | instskip(NEXT) | instid1(VALU_DEP_2)
	v_mul_hi_u32 v46, v6, v45
	v_mul_lo_u32 v47, v6, v27
	v_mul_hi_u32 v48, v6, v27
	v_mul_hi_u32 v50, v26, v45
	v_mul_lo_u32 v45, v26, v45
	v_mul_hi_u32 v51, v26, v27
	v_mul_lo_u32 v27, v26, v27
	v_add_co_u32 v46, vcc_lo, v46, v47
	v_add_co_ci_u32_e32 v47, vcc_lo, 0, v48, vcc_lo
	s_delay_alu instid0(VALU_DEP_2) | instskip(NEXT) | instid1(VALU_DEP_2)
	v_add_co_u32 v45, vcc_lo, v46, v45
	v_add_co_ci_u32_e32 v45, vcc_lo, v47, v50, vcc_lo
	v_add_co_ci_u32_e32 v46, vcc_lo, 0, v51, vcc_lo
	v_add_co_u32 v47, vcc_lo, v22, v49
	v_add_co_ci_u32_e32 v44, vcc_lo, v44, v49, vcc_lo
	s_delay_alu instid0(VALU_DEP_4) | instskip(NEXT) | instid1(VALU_DEP_4)
	v_add_co_u32 v27, vcc_lo, v45, v27
	v_add_co_ci_u32_e32 v45, vcc_lo, 0, v46, vcc_lo
	s_delay_alu instid0(VALU_DEP_4) | instskip(NEXT) | instid1(VALU_DEP_3)
	v_xor_b32_e32 v48, v47, v49
	v_add_co_u32 v6, vcc_lo, v6, v27
	s_delay_alu instid0(VALU_DEP_3) | instskip(SKIP_1) | instid1(VALU_DEP_3)
	v_add_co_ci_u32_e32 v50, vcc_lo, v26, v45, vcc_lo
	v_xor_b32_e32 v51, v44, v49
	v_mul_hi_u32 v52, v48, v6
	s_delay_alu instid0(VALU_DEP_3) | instskip(NEXT) | instid1(VALU_DEP_3)
	v_mad_u64_u32 v[26:27], null, v48, v50, 0
	v_mad_u64_u32 v[44:45], null, v51, v6, 0
	;; [unrolled: 1-line block ×3, first 2 shown]
	s_delay_alu instid0(VALU_DEP_3) | instskip(NEXT) | instid1(VALU_DEP_4)
	v_add_co_u32 v6, vcc_lo, v52, v26
	v_add_co_ci_u32_e32 v26, vcc_lo, 0, v27, vcc_lo
	s_delay_alu instid0(VALU_DEP_2) | instskip(NEXT) | instid1(VALU_DEP_2)
	v_add_co_u32 v6, vcc_lo, v6, v44
	v_add_co_ci_u32_e32 v6, vcc_lo, v26, v45, vcc_lo
	v_add_co_ci_u32_e32 v26, vcc_lo, 0, v47, vcc_lo
	s_delay_alu instid0(VALU_DEP_2) | instskip(NEXT) | instid1(VALU_DEP_2)
	v_add_co_u32 v6, vcc_lo, v6, v46
	v_add_co_ci_u32_e32 v44, vcc_lo, 0, v26, vcc_lo
	s_delay_alu instid0(VALU_DEP_2) | instskip(SKIP_1) | instid1(VALU_DEP_3)
	v_mul_lo_u32 v45, s5, v6
	v_mad_u64_u32 v[26:27], null, s4, v6, 0
	v_mul_lo_u32 v46, s4, v44
	s_delay_alu instid0(VALU_DEP_2) | instskip(NEXT) | instid1(VALU_DEP_2)
	v_sub_co_u32 v26, vcc_lo, v48, v26
	v_add3_u32 v27, v27, v46, v45
	s_delay_alu instid0(VALU_DEP_1) | instskip(NEXT) | instid1(VALU_DEP_1)
	v_sub_nc_u32_e32 v45, v51, v27
	v_subrev_co_ci_u32_e64 v45, s1, s5, v45, vcc_lo
	v_add_co_u32 v46, s1, v6, 2
	s_delay_alu instid0(VALU_DEP_1) | instskip(SKIP_3) | instid1(VALU_DEP_3)
	v_add_co_ci_u32_e64 v47, s1, 0, v44, s1
	v_sub_co_u32 v48, s1, v26, s4
	v_sub_co_ci_u32_e32 v27, vcc_lo, v51, v27, vcc_lo
	v_subrev_co_ci_u32_e64 v45, s1, 0, v45, s1
	v_cmp_le_u32_e32 vcc_lo, s4, v48
	s_delay_alu instid0(VALU_DEP_3) | instskip(SKIP_1) | instid1(VALU_DEP_4)
	v_cmp_eq_u32_e64 s1, s5, v27
	v_cndmask_b32_e64 v48, 0, -1, vcc_lo
	v_cmp_le_u32_e32 vcc_lo, s5, v45
	v_cndmask_b32_e64 v50, 0, -1, vcc_lo
	v_cmp_le_u32_e32 vcc_lo, s4, v26
	;; [unrolled: 2-line block ×3, first 2 shown]
	v_cndmask_b32_e64 v51, 0, -1, vcc_lo
	v_cmp_eq_u32_e32 vcc_lo, s5, v45
	s_delay_alu instid0(VALU_DEP_2) | instskip(SKIP_3) | instid1(VALU_DEP_3)
	v_cndmask_b32_e64 v26, v51, v26, s1
	v_cndmask_b32_e32 v45, v50, v48, vcc_lo
	v_add_co_u32 v48, vcc_lo, v6, 1
	v_add_co_ci_u32_e32 v50, vcc_lo, 0, v44, vcc_lo
	v_cmp_ne_u32_e32 vcc_lo, 0, v45
	s_delay_alu instid0(VALU_DEP_2) | instskip(NEXT) | instid1(VALU_DEP_4)
	v_cndmask_b32_e32 v27, v50, v47, vcc_lo
	v_cndmask_b32_e32 v45, v48, v46, vcc_lo
	v_cmp_ne_u32_e32 vcc_lo, 0, v26
	v_xor_b32_e32 v46, s2, v49
	s_delay_alu instid0(VALU_DEP_3) | instskip(SKIP_1) | instid1(VALU_DEP_2)
	v_cndmask_b32_e32 v6, v6, v45, vcc_lo
	v_cndmask_b32_e32 v26, v44, v27, vcc_lo
	v_xor_b32_e32 v6, v6, v46
	s_delay_alu instid0(VALU_DEP_2) | instskip(NEXT) | instid1(VALU_DEP_2)
	v_xor_b32_e32 v27, v26, v46
	v_sub_co_u32 v26, vcc_lo, v6, v46
	s_delay_alu instid0(VALU_DEP_2)
	v_sub_co_ci_u32_e32 v27, vcc_lo, v27, v46, vcc_lo
.LBB94_15:                              ;   in Loop: Header=BB94_13 Depth=2
	s_and_not1_saveexec_b32 s1, s28
	s_cbranch_execz .LBB94_17
; %bb.16:                               ;   in Loop: Header=BB94_13 Depth=2
	v_cvt_f32_u32_e32 v6, s8
	s_delay_alu instid0(VALU_DEP_1) | instskip(SKIP_2) | instid1(VALU_DEP_1)
	v_rcp_iflag_f32_e32 v6, v6
	s_waitcnt_depctr 0xfff
	v_mul_f32_e32 v6, 0x4f7ffffe, v6
	v_cvt_u32_f32_e32 v6, v6
	s_delay_alu instid0(VALU_DEP_1) | instskip(NEXT) | instid1(VALU_DEP_1)
	v_mul_lo_u32 v26, s25, v6
	v_mul_hi_u32 v26, v6, v26
	s_delay_alu instid0(VALU_DEP_1) | instskip(NEXT) | instid1(VALU_DEP_1)
	v_add_nc_u32_e32 v6, v6, v26
	v_mul_hi_u32 v6, v22, v6
	s_delay_alu instid0(VALU_DEP_1) | instskip(NEXT) | instid1(VALU_DEP_1)
	v_mul_lo_u32 v26, v6, s8
	v_sub_nc_u32_e32 v26, v22, v26
	s_delay_alu instid0(VALU_DEP_1) | instskip(SKIP_1) | instid1(VALU_DEP_2)
	v_subrev_nc_u32_e32 v44, s8, v26
	v_cmp_le_u32_e32 vcc_lo, s8, v26
	v_dual_cndmask_b32 v26, v26, v44 :: v_dual_add_nc_u32 v27, 1, v6
	s_delay_alu instid0(VALU_DEP_1) | instskip(NEXT) | instid1(VALU_DEP_2)
	v_cndmask_b32_e32 v6, v6, v27, vcc_lo
	v_cmp_le_u32_e32 vcc_lo, s8, v26
	s_delay_alu instid0(VALU_DEP_2) | instskip(NEXT) | instid1(VALU_DEP_1)
	v_add_nc_u32_e32 v27, 1, v6
	v_dual_cndmask_b32 v26, v6, v27 :: v_dual_mov_b32 v27, v5
.LBB94_17:                              ;   in Loop: Header=BB94_13 Depth=2
	s_or_b32 exec_lo, exec_lo, s1
	s_delay_alu instid0(VALU_DEP_1)
	v_cmp_eq_u64_e32 vcc_lo, v[26:27], v[19:20]
	s_mov_b32 s3, exec_lo
	v_cmpx_ne_u64_e64 v[26:27], v[19:20]
	s_xor_b32 s3, exec_lo, s3
; %bb.18:                               ;   in Loop: Header=BB94_13 Depth=2
	v_cmp_lt_i64_e64 s1, v[26:27], v[17:18]
                                        ; implicit-def: $vgpr24_vgpr25
                                        ; implicit-def: $vgpr22
                                        ; implicit-def: $vgpr4
	s_delay_alu instid0(VALU_DEP_1)
	v_cndmask_b32_e64 v18, v18, v27, s1
	v_cndmask_b32_e64 v17, v17, v26, s1
; %bb.19:                               ;   in Loop: Header=BB94_13 Depth=2
	s_or_saveexec_b32 s3, s3
	v_mov_b32_e32 v6, v21
	s_xor_b32 exec_lo, exec_lo, s3
	s_cbranch_execz .LBB94_12
; %bb.20:                               ;   in Loop: Header=BB94_13 Depth=2
	v_add_co_u32 v24, s1, s16, v24
	s_delay_alu instid0(VALU_DEP_1)
	v_add_co_ci_u32_e64 v25, s1, s17, v25, s1
	v_sub_nc_u32_e32 v6, v22, v23
	global_load_b64 v[24:25], v[24:25], off
	v_add_lshl_u32 v22, v31, v6, 3
	v_mov_b32_e32 v6, v4
	ds_store_b8 v28, v1 offset:8192
	s_waitcnt vmcnt(0)
	ds_store_b64 v22, v[24:25]
	s_branch .LBB94_12
.LBB94_21:                              ;   in Loop: Header=BB94_10 Depth=1
	s_or_b32 exec_lo, exec_lo, s27
.LBB94_22:                              ;   in Loop: Header=BB94_10 Depth=1
	s_delay_alu instid0(SALU_CYCLE_1)
	s_or_b32 exec_lo, exec_lo, s26
	ds_bpermute_b32 v4, v32, v6
	s_waitcnt lgkmcnt(0)
	buffer_gl0_inv
	ds_load_u8 v19, v28 offset:8192
	v_min_i32_e32 v4, v4, v6
	ds_bpermute_b32 v6, v33, v4
	s_waitcnt lgkmcnt(0)
	v_min_i32_e32 v4, v6, v4
	ds_bpermute_b32 v6, v34, v4
	v_and_b32_e32 v4, 1, v19
	s_delay_alu instid0(VALU_DEP_1)
	v_cmp_eq_u32_e32 vcc_lo, 1, v4
	v_mov_b32_e32 v4, 0
	s_and_saveexec_b32 s1, vcc_lo
	s_cbranch_execz .LBB94_9
; %bb.23:                               ;   in Loop: Header=BB94_10 Depth=1
	v_ashrrev_i32_e32 v4, 31, v3
	v_mul_lo_u32 v21, s20, v3
	v_mad_u64_u32 v[19:20], null, s21, v3, 0
	v_add_nc_u32_e32 v23, s19, v43
	s_delay_alu instid0(VALU_DEP_4) | instskip(NEXT) | instid1(VALU_DEP_2)
	v_mul_lo_u32 v22, s21, v4
	v_ashrrev_i32_e32 v24, 31, v23
	s_delay_alu instid0(VALU_DEP_2) | instskip(SKIP_1) | instid1(VALU_DEP_2)
	v_add3_u32 v20, v20, v22, v21
	v_lshlrev_b64 v[21:22], 3, v[3:4]
	v_lshlrev_b64 v[25:26], 3, v[19:20]
	s_delay_alu instid0(VALU_DEP_2) | instskip(NEXT) | instid1(VALU_DEP_3)
	v_add_co_u32 v43, vcc_lo, s10, v21
	v_add_co_ci_u32_e32 v44, vcc_lo, s11, v22, vcc_lo
	s_delay_alu instid0(VALU_DEP_3) | instskip(NEXT) | instid1(VALU_DEP_4)
	v_add_co_u32 v4, vcc_lo, v29, v25
	v_add_co_ci_u32_e32 v19, vcc_lo, v30, v26, vcc_lo
	v_add_co_u32 v20, vcc_lo, v35, v25
	v_add_co_ci_u32_e32 v21, vcc_lo, v36, v26, vcc_lo
	v_lshlrev_b32_e32 v22, 3, v0
	global_store_b64 v[43:44], v[23:24], off
	s_and_saveexec_b32 s3, s22
	s_cbranch_execnz .LBB94_27
; %bb.24:                               ;   in Loop: Header=BB94_10 Depth=1
	s_or_b32 exec_lo, exec_lo, s3
	s_and_saveexec_b32 s3, s23
	s_cbranch_execnz .LBB94_28
.LBB94_25:                              ;   in Loop: Header=BB94_10 Depth=1
	s_or_b32 exec_lo, exec_lo, s3
	s_and_saveexec_b32 s3, s24
	s_cbranch_execnz .LBB94_29
.LBB94_26:                              ;   in Loop: Header=BB94_10 Depth=1
	s_or_b32 exec_lo, exec_lo, s3
	s_and_saveexec_b32 s3, s13
	s_cbranch_execz .LBB94_8
	s_branch .LBB94_30
.LBB94_27:                              ;   in Loop: Header=BB94_10 Depth=1
	ds_load_b64 v[23:24], v42
	v_add_co_u32 v25, vcc_lo, v4, v9
	v_add_co_ci_u32_e32 v26, vcc_lo, v19, v10, vcc_lo
	v_add_co_u32 v27, vcc_lo, v20, v22
	v_add_co_ci_u32_e32 v43, vcc_lo, 0, v21, vcc_lo
	s_delay_alu instid0(VALU_DEP_2) | instskip(NEXT) | instid1(VALU_DEP_2)
	v_cndmask_b32_e64 v25, v25, v27, s0
	v_cndmask_b32_e64 v26, v26, v43, s0
	s_waitcnt lgkmcnt(0)
	global_store_b64 v[25:26], v[23:24], off
	s_or_b32 exec_lo, exec_lo, s3
	s_and_saveexec_b32 s3, s23
	s_cbranch_execz .LBB94_25
.LBB94_28:                              ;   in Loop: Header=BB94_10 Depth=1
	v_add_co_u32 v25, vcc_lo, v20, v22
	ds_load_b64 v[23:24], v42 offset:32
	v_add_co_ci_u32_e32 v26, vcc_lo, 0, v21, vcc_lo
	v_add_co_u32 v25, vcc_lo, v25, 32
	s_delay_alu instid0(VALU_DEP_2) | instskip(SKIP_2) | instid1(VALU_DEP_2)
	v_add_co_ci_u32_e32 v26, vcc_lo, 0, v26, vcc_lo
	v_add_co_u32 v27, vcc_lo, v4, v11
	v_add_co_ci_u32_e32 v43, vcc_lo, v19, v12, vcc_lo
	v_cndmask_b32_e64 v25, v27, v25, s0
	s_delay_alu instid0(VALU_DEP_2)
	v_cndmask_b32_e64 v26, v43, v26, s0
	s_waitcnt lgkmcnt(0)
	global_store_b64 v[25:26], v[23:24], off
	s_or_b32 exec_lo, exec_lo, s3
	s_and_saveexec_b32 s3, s24
	s_cbranch_execz .LBB94_26
.LBB94_29:                              ;   in Loop: Header=BB94_10 Depth=1
	v_add_co_u32 v25, vcc_lo, v20, v22
	ds_load_b64 v[23:24], v42 offset:64
	v_add_co_ci_u32_e32 v26, vcc_lo, 0, v21, vcc_lo
	v_add_co_u32 v25, vcc_lo, v25, 64
	s_delay_alu instid0(VALU_DEP_2) | instskip(SKIP_2) | instid1(VALU_DEP_2)
	v_add_co_ci_u32_e32 v26, vcc_lo, 0, v26, vcc_lo
	v_add_co_u32 v27, vcc_lo, v4, v13
	v_add_co_ci_u32_e32 v43, vcc_lo, v19, v14, vcc_lo
	v_cndmask_b32_e64 v25, v27, v25, s0
	s_delay_alu instid0(VALU_DEP_2)
	v_cndmask_b32_e64 v26, v43, v26, s0
	s_waitcnt lgkmcnt(0)
	global_store_b64 v[25:26], v[23:24], off
	s_or_b32 exec_lo, exec_lo, s3
	s_and_saveexec_b32 s3, s13
	s_cbranch_execz .LBB94_8
.LBB94_30:                              ;   in Loop: Header=BB94_10 Depth=1
	v_add_co_u32 v22, vcc_lo, v20, v22
	v_add_co_ci_u32_e32 v23, vcc_lo, 0, v21, vcc_lo
	ds_load_b64 v[20:21], v42 offset:96
	v_add_co_u32 v22, vcc_lo, 0x60, v22
	v_add_co_ci_u32_e32 v23, vcc_lo, 0, v23, vcc_lo
	v_add_co_u32 v4, vcc_lo, v4, v15
	v_add_co_ci_u32_e32 v19, vcc_lo, v19, v16, vcc_lo
	s_delay_alu instid0(VALU_DEP_2) | instskip(NEXT) | instid1(VALU_DEP_2)
	v_cndmask_b32_e64 v22, v4, v22, s0
	v_cndmask_b32_e64 v23, v19, v23, s0
	s_waitcnt lgkmcnt(0)
	global_store_b64 v[22:23], v[20:21], off
	s_branch .LBB94_8
.LBB94_31:
	s_endpgm
	.section	.rodata,"a",@progbits
	.p2align	6, 0x0
	.amdhsa_kernel _ZN9rocsparseL42csr2bsr_wavefront_per_row_multipass_kernelILj256ELj64ELj16E21rocsparse_complex_numIfEilEEv20rocsparse_direction_T4_S4_S4_S4_S4_21rocsparse_index_base_PKT2_PKT3_PKS4_S5_PS6_PS9_PS4_
		.amdhsa_group_segment_fixed_size 8196
		.amdhsa_private_segment_fixed_size 0
		.amdhsa_kernarg_size 112
		.amdhsa_user_sgpr_count 15
		.amdhsa_user_sgpr_dispatch_ptr 0
		.amdhsa_user_sgpr_queue_ptr 0
		.amdhsa_user_sgpr_kernarg_segment_ptr 1
		.amdhsa_user_sgpr_dispatch_id 0
		.amdhsa_user_sgpr_private_segment_size 0
		.amdhsa_wavefront_size32 1
		.amdhsa_uses_dynamic_stack 0
		.amdhsa_enable_private_segment 0
		.amdhsa_system_sgpr_workgroup_id_x 1
		.amdhsa_system_sgpr_workgroup_id_y 0
		.amdhsa_system_sgpr_workgroup_id_z 0
		.amdhsa_system_sgpr_workgroup_info 0
		.amdhsa_system_vgpr_workitem_id 0
		.amdhsa_next_free_vgpr 53
		.amdhsa_next_free_sgpr 29
		.amdhsa_reserve_vcc 1
		.amdhsa_float_round_mode_32 0
		.amdhsa_float_round_mode_16_64 0
		.amdhsa_float_denorm_mode_32 3
		.amdhsa_float_denorm_mode_16_64 3
		.amdhsa_dx10_clamp 1
		.amdhsa_ieee_mode 1
		.amdhsa_fp16_overflow 0
		.amdhsa_workgroup_processor_mode 1
		.amdhsa_memory_ordered 1
		.amdhsa_forward_progress 0
		.amdhsa_shared_vgpr_count 0
		.amdhsa_exception_fp_ieee_invalid_op 0
		.amdhsa_exception_fp_denorm_src 0
		.amdhsa_exception_fp_ieee_div_zero 0
		.amdhsa_exception_fp_ieee_overflow 0
		.amdhsa_exception_fp_ieee_underflow 0
		.amdhsa_exception_fp_ieee_inexact 0
		.amdhsa_exception_int_div_zero 0
	.end_amdhsa_kernel
	.section	.text._ZN9rocsparseL42csr2bsr_wavefront_per_row_multipass_kernelILj256ELj64ELj16E21rocsparse_complex_numIfEilEEv20rocsparse_direction_T4_S4_S4_S4_S4_21rocsparse_index_base_PKT2_PKT3_PKS4_S5_PS6_PS9_PS4_,"axG",@progbits,_ZN9rocsparseL42csr2bsr_wavefront_per_row_multipass_kernelILj256ELj64ELj16E21rocsparse_complex_numIfEilEEv20rocsparse_direction_T4_S4_S4_S4_S4_21rocsparse_index_base_PKT2_PKT3_PKS4_S5_PS6_PS9_PS4_,comdat
.Lfunc_end94:
	.size	_ZN9rocsparseL42csr2bsr_wavefront_per_row_multipass_kernelILj256ELj64ELj16E21rocsparse_complex_numIfEilEEv20rocsparse_direction_T4_S4_S4_S4_S4_21rocsparse_index_base_PKT2_PKT3_PKS4_S5_PS6_PS9_PS4_, .Lfunc_end94-_ZN9rocsparseL42csr2bsr_wavefront_per_row_multipass_kernelILj256ELj64ELj16E21rocsparse_complex_numIfEilEEv20rocsparse_direction_T4_S4_S4_S4_S4_21rocsparse_index_base_PKT2_PKT3_PKS4_S5_PS6_PS9_PS4_
                                        ; -- End function
	.section	.AMDGPU.csdata,"",@progbits
; Kernel info:
; codeLenInByte = 3116
; NumSgprs: 31
; NumVgprs: 53
; ScratchSize: 0
; MemoryBound: 0
; FloatMode: 240
; IeeeMode: 1
; LDSByteSize: 8196 bytes/workgroup (compile time only)
; SGPRBlocks: 3
; VGPRBlocks: 6
; NumSGPRsForWavesPerEU: 31
; NumVGPRsForWavesPerEU: 53
; Occupancy: 16
; WaveLimiterHint : 0
; COMPUTE_PGM_RSRC2:SCRATCH_EN: 0
; COMPUTE_PGM_RSRC2:USER_SGPR: 15
; COMPUTE_PGM_RSRC2:TRAP_HANDLER: 0
; COMPUTE_PGM_RSRC2:TGID_X_EN: 1
; COMPUTE_PGM_RSRC2:TGID_Y_EN: 0
; COMPUTE_PGM_RSRC2:TGID_Z_EN: 0
; COMPUTE_PGM_RSRC2:TIDIG_COMP_CNT: 0
	.section	.text._ZN9rocsparseL42csr2bsr_wavefront_per_row_multipass_kernelILj256ELj32ELj16E21rocsparse_complex_numIfEilEEv20rocsparse_direction_T4_S4_S4_S4_S4_21rocsparse_index_base_PKT2_PKT3_PKS4_S5_PS6_PS9_PS4_,"axG",@progbits,_ZN9rocsparseL42csr2bsr_wavefront_per_row_multipass_kernelILj256ELj32ELj16E21rocsparse_complex_numIfEilEEv20rocsparse_direction_T4_S4_S4_S4_S4_21rocsparse_index_base_PKT2_PKT3_PKS4_S5_PS6_PS9_PS4_,comdat
	.globl	_ZN9rocsparseL42csr2bsr_wavefront_per_row_multipass_kernelILj256ELj32ELj16E21rocsparse_complex_numIfEilEEv20rocsparse_direction_T4_S4_S4_S4_S4_21rocsparse_index_base_PKT2_PKT3_PKS4_S5_PS6_PS9_PS4_ ; -- Begin function _ZN9rocsparseL42csr2bsr_wavefront_per_row_multipass_kernelILj256ELj32ELj16E21rocsparse_complex_numIfEilEEv20rocsparse_direction_T4_S4_S4_S4_S4_21rocsparse_index_base_PKT2_PKT3_PKS4_S5_PS6_PS9_PS4_
	.p2align	8
	.type	_ZN9rocsparseL42csr2bsr_wavefront_per_row_multipass_kernelILj256ELj32ELj16E21rocsparse_complex_numIfEilEEv20rocsparse_direction_T4_S4_S4_S4_S4_21rocsparse_index_base_PKT2_PKT3_PKS4_S5_PS6_PS9_PS4_,@function
_ZN9rocsparseL42csr2bsr_wavefront_per_row_multipass_kernelILj256ELj32ELj16E21rocsparse_complex_numIfEilEEv20rocsparse_direction_T4_S4_S4_S4_S4_21rocsparse_index_base_PKT2_PKT3_PKS4_S5_PS6_PS9_PS4_: ; @_ZN9rocsparseL42csr2bsr_wavefront_per_row_multipass_kernelILj256ELj32ELj16E21rocsparse_complex_numIfEilEEv20rocsparse_direction_T4_S4_S4_S4_S4_21rocsparse_index_base_PKT2_PKT3_PKS4_S5_PS6_PS9_PS4_
; %bb.0:
	s_load_b64 s[12:13], s[0:1], 0x28
	v_lshrrev_b32_e32 v34, 5, v0
	s_mov_b32 s4, s15
	s_ashr_i32 s5, s15, 31
	s_clause 0x1
	s_load_b64 s[14:15], s[0:1], 0x8
	s_load_b128 s[8:11], s[0:1], 0x18
	s_lshl_b64 s[2:3], s[4:5], 3
	v_mov_b32_e32 v2, 0
	v_or_b32_e32 v5, s2, v34
	v_bfe_u32 v1, v0, 1, 4
	s_clause 0x1
	s_load_b32 s22, s[0:1], 0x30
	s_load_b64 s[6:7], s[0:1], 0x40
	s_waitcnt lgkmcnt(0)
	v_mul_lo_u32 v6, v5, s13
	v_mad_u64_u32 v[3:4], null, v5, s12, v[1:2]
	s_mul_i32 s2, s3, s12
	s_delay_alu instid0(VALU_DEP_1) | instid1(SALU_CYCLE_1)
	v_add3_u32 v4, s2, v4, v6
	v_cmp_gt_i64_e64 s2, s[12:13], v[1:2]
	v_mov_b32_e32 v6, v2
	s_delay_alu instid0(VALU_DEP_3) | instskip(NEXT) | instid1(VALU_DEP_3)
	v_cmp_gt_i64_e32 vcc_lo, s[14:15], v[3:4]
	s_and_b32 s3, s2, vcc_lo
	s_delay_alu instid0(SALU_CYCLE_1)
	s_and_saveexec_b32 s5, s3
	s_cbranch_execz .LBB95_2
; %bb.1:
	v_lshlrev_b64 v[5:6], 2, v[3:4]
	s_delay_alu instid0(VALU_DEP_1) | instskip(NEXT) | instid1(VALU_DEP_2)
	v_add_co_u32 v5, vcc_lo, s6, v5
	v_add_co_ci_u32_e32 v6, vcc_lo, s7, v6, vcc_lo
	global_load_b32 v5, v[5:6], off
	s_waitcnt vmcnt(0)
	v_subrev_nc_u32_e32 v6, s22, v5
.LBB95_2:
	s_or_b32 exec_lo, exec_lo, s5
	s_and_saveexec_b32 s5, s3
	s_cbranch_execz .LBB95_4
; %bb.3:
	v_lshlrev_b64 v[2:3], 2, v[3:4]
	s_delay_alu instid0(VALU_DEP_1) | instskip(NEXT) | instid1(VALU_DEP_2)
	v_add_co_u32 v2, vcc_lo, s6, v2
	v_add_co_ci_u32_e32 v3, vcc_lo, s7, v3, vcc_lo
	global_load_b32 v2, v[2:3], off offset:4
	s_waitcnt vmcnt(0)
	v_subrev_nc_u32_e32 v2, s22, v2
.LBB95_4:
	s_or_b32 exec_lo, exec_lo, s5
	s_load_b32 s23, s[0:1], 0x50
	v_mov_b32_e32 v5, 0
	v_lshl_or_b32 v4, s4, 3, v34
	s_mov_b32 s3, exec_lo
	s_delay_alu instid0(VALU_DEP_2) | instskip(NEXT) | instid1(VALU_DEP_2)
	v_mov_b32_e32 v3, v5
	v_cmpx_gt_i64_e64 s[8:9], v[4:5]
	s_cbranch_execz .LBB95_6
; %bb.5:
	s_load_b64 s[4:5], s[0:1], 0x60
	v_lshlrev_b64 v[3:4], 2, v[4:5]
	s_waitcnt lgkmcnt(0)
	s_delay_alu instid0(VALU_DEP_1) | instskip(NEXT) | instid1(VALU_DEP_2)
	v_add_co_u32 v3, vcc_lo, s4, v3
	v_add_co_ci_u32_e32 v4, vcc_lo, s5, v4, vcc_lo
	global_load_b32 v3, v[3:4], off
	s_waitcnt vmcnt(0)
	v_subrev_nc_u32_e32 v3, s23, v3
.LBB95_6:
	s_or_b32 exec_lo, exec_lo, s3
	v_cmp_lt_i64_e64 s3, s[10:11], 1
	s_delay_alu instid0(VALU_DEP_1)
	s_and_b32 vcc_lo, exec_lo, s3
	s_cbranch_vccnz .LBB95_39
; %bb.7:
	v_mad_u64_u32 v[7:8], null, v1, s12, 0
	s_mul_i32 s3, s12, s13
	s_mul_hi_u32 s4, s12, s12
	v_mbcnt_lo_u32_b32 v10, -1, 0
	s_add_i32 s6, s4, s3
	s_clause 0x4
	s_load_b64 s[4:5], s[0:1], 0x58
	s_load_b64 s[14:15], s[0:1], 0x68
	;; [unrolled: 1-line block ×4, first 2 shown]
	s_load_b32 s0, s[0:1], 0x0
	v_mov_b32_e32 v4, v8
	v_lshl_or_b32 v39, v10, 2, 4
	s_add_i32 s9, s6, s3
	s_mov_b32 s20, 0
	s_mul_i32 s24, s12, s12
	v_mad_u64_u32 v[8:9], null, v1, s13, v[4:5]
	v_lshlrev_b32_e32 v9, 3, v1
	v_xor_b32_e32 v4, 1, v10
	s_mov_b32 s21, s20
	s_mov_b32 s31, s20
	v_mov_b32_e32 v46, 0x7c
	s_delay_alu instid0(VALU_DEP_2)
	v_cmp_gt_i32_e32 vcc_lo, 32, v4
	v_lshlrev_b64 v[7:8], 3, v[7:8]
	v_mov_b32_e32 v5, 0
	s_waitcnt lgkmcnt(0)
	v_add_co_u32 v35, s1, s4, v9
	v_cndmask_b32_e32 v4, v10, v4, vcc_lo
	s_delay_alu instid0(VALU_DEP_4) | instskip(SKIP_2) | instid1(VALU_DEP_4)
	v_add_co_u32 v40, vcc_lo, s4, v7
	v_xor_b32_e32 v7, 4, v10
	v_add_co_ci_u32_e32 v41, vcc_lo, s5, v8, vcc_lo
	v_lshlrev_b32_e32 v38, 2, v4
	v_xor_b32_e32 v4, 8, v10
	v_lshlrev_b32_e32 v11, 8, v34
	v_xor_b32_e32 v8, 2, v10
	v_add_co_ci_u32_e64 v36, null, s5, 0, s1
	v_mov_b32_e32 v14, v5
	s_delay_alu instid0(VALU_DEP_4) | instskip(SKIP_4) | instid1(VALU_DEP_2)
	v_lshl_or_b32 v37, v1, 4, v11
	v_xor_b32_e32 v1, 16, v10
	v_mov_b32_e32 v26, v5
	s_cmp_eq_u32 s0, 0
	s_cselect_b32 s0, -1, 0
	v_cmp_gt_i32_e32 vcc_lo, 32, v1
	v_and_b32_e32 v0, 1, v0
	s_sub_i32 s30, 0, s12
	v_cndmask_b32_e32 v1, v10, v1, vcc_lo
	v_cmp_gt_i32_e32 vcc_lo, 32, v4
	s_delay_alu instid0(VALU_DEP_3)
	v_or_b32_e32 v9, 4, v0
	v_or_b32_e32 v13, 6, v0
	;; [unrolled: 1-line block ×3, first 2 shown]
	v_lshlrev_b32_e32 v42, 2, v1
	v_cndmask_b32_e32 v4, v10, v4, vcc_lo
	v_cmp_gt_i32_e32 vcc_lo, 32, v7
	v_or_b32_e32 v1, v37, v0
	v_mad_u64_u32 v[15:16], null, v9, s12, 0
	v_mad_u64_u32 v[17:18], null, v13, s12, 0
	v_cndmask_b32_e32 v7, v10, v7, vcc_lo
	v_cmp_gt_i32_e32 vcc_lo, 32, v8
	v_lshlrev_b32_e32 v47, 3, v1
	v_mov_b32_e32 v1, v5
	v_lshlrev_b32_e32 v43, 2, v4
	v_lshlrev_b32_e32 v44, 2, v7
	v_or_b32_e32 v7, 2, v0
	v_cndmask_b32_e32 v8, v10, v8, vcc_lo
	v_cmp_gt_u64_e32 vcc_lo, s[12:13], v[0:1]
	v_mov_b32_e32 v4, v16
	v_cmp_gt_u64_e64 s4, s[12:13], v[13:14]
	v_mad_u64_u32 v[11:12], null, v7, s12, 0
	v_dual_mov_b32 v8, v5 :: v_dual_lshlrev_b32 v45, 2, v8
	v_mad_u64_u32 v[29:30], null, v25, s12, 0
	v_mul_lo_u32 v20, v0, s13
	v_mul_lo_u32 v19, v0, s12
	v_mov_b32_e32 v1, v12
	v_cmp_gt_u64_e64 s1, s[12:13], v[7:8]
	v_cmp_gt_u64_e64 s8, s[12:13], v[25:26]
	s_and_b32 s25, s2, vcc_lo
	s_and_b32 s28, s2, s4
	v_mad_u64_u32 v[21:22], null, v7, s13, v[1:2]
	v_mov_b32_e32 v1, v18
	v_mad_u64_u32 v[22:23], null, v9, s13, v[4:5]
	v_or_b32_e32 v7, 8, v0
	s_and_b32 s26, s2, s1
	s_delay_alu instid0(VALU_DEP_3)
	v_mad_u64_u32 v[23:24], null, v13, s13, v[1:2]
	v_mov_b32_e32 v12, v21
	v_or_b32_e32 v13, 12, v0
	v_mov_b32_e32 v16, v22
	v_mad_u64_u32 v[21:22], null, v7, s12, 0
	v_mov_b32_e32 v10, v5
	v_mov_b32_e32 v18, v23
	v_mad_u64_u32 v[27:28], null, v13, s12, 0
	v_cmp_gt_u64_e64 s5, s[12:13], v[7:8]
	s_and_b32 s8, s2, s8
	v_mov_b32_e32 v1, v22
	v_cmp_gt_u64_e64 s3, s[12:13], v[9:10]
	v_or_b32_e32 v9, 10, v0
	s_delay_alu instid0(VALU_DEP_4) | instskip(NEXT) | instid1(VALU_DEP_3)
	s_and_b32 s29, s2, s5
	v_mad_u64_u32 v[31:32], null, v7, s13, v[1:2]
	s_delay_alu instid0(VALU_DEP_2)
	v_mad_u64_u32 v[23:24], null, v9, s12, 0
	v_mov_b32_e32 v1, v28
	v_cmp_gt_u64_e64 s6, s[12:13], v[9:10]
	v_cmp_gt_u64_e64 s7, s[12:13], v[13:14]
	s_and_b32 s27, s2, s3
	v_mov_b32_e32 v22, v31
	v_mad_u64_u32 v[32:33], null, v13, s13, v[1:2]
	v_mov_b32_e32 v4, v24
	v_lshlrev_b64 v[13:14], 3, v[17:18]
	v_mov_b32_e32 v1, 1
	s_and_b32 s6, s2, s6
	s_and_b32 s7, s2, s7
	v_mad_u64_u32 v[7:8], null, v9, s13, v[4:5]
	v_mov_b32_e32 v4, v30
	v_mov_b32_e32 v28, v32
	s_ashr_i32 s2, s13, 31
	s_delay_alu instid0(VALU_DEP_2) | instskip(NEXT) | instid1(VALU_DEP_4)
	v_mad_u64_u32 v[48:49], null, v25, s13, v[4:5]
	v_dual_mov_b32 v24, v7 :: v_dual_mov_b32 v25, 0
	v_lshlrev_b64 v[7:8], 3, v[19:20]
	v_lshlrev_b64 v[9:10], 3, v[11:12]
	;; [unrolled: 1-line block ×4, first 2 shown]
	v_mov_b32_e32 v30, v48
	v_lshlrev_b64 v[17:18], 3, v[23:24]
	v_lshlrev_b64 v[19:20], 3, v[27:28]
	v_mov_b32_e32 v26, 0
	v_mov_b32_e32 v48, 0
	v_lshlrev_b64 v[21:22], 3, v[29:30]
	s_branch .LBB95_10
.LBB95_8:                               ;   in Loop: Header=BB95_10 Depth=1
	s_or_b32 exec_lo, exec_lo, s3
	v_mov_b32_e32 v4, 1
.LBB95_9:                               ;   in Loop: Header=BB95_10 Depth=1
	s_or_b32 exec_lo, exec_lo, s1
	ds_bpermute_b32 v25, v42, v23
	ds_bpermute_b32 v26, v42, v24
	v_add_nc_u32_e32 v3, v4, v3
	s_waitcnt lgkmcnt(0)
	s_waitcnt_vscnt null, 0x0
	buffer_gl0_inv
	buffer_gl0_inv
	v_cmp_lt_i64_e32 vcc_lo, v[25:26], v[23:24]
	v_dual_cndmask_b32 v24, v24, v26 :: v_dual_cndmask_b32 v23, v23, v25
	ds_bpermute_b32 v26, v43, v24
	ds_bpermute_b32 v25, v43, v23
	s_waitcnt lgkmcnt(0)
	v_cmp_lt_i64_e32 vcc_lo, v[25:26], v[23:24]
	v_dual_cndmask_b32 v24, v24, v26 :: v_dual_cndmask_b32 v23, v23, v25
	ds_bpermute_b32 v26, v44, v24
	ds_bpermute_b32 v25, v44, v23
	s_waitcnt lgkmcnt(0)
	;; [unrolled: 5-line block ×4, first 2 shown]
	v_cmp_lt_i64_e32 vcc_lo, v[25:26], v[23:24]
	v_cndmask_b32_e32 v23, v23, v25, vcc_lo
	ds_bpermute_b32 v25, v46, v23
	s_waitcnt lgkmcnt(0)
	v_mov_b32_e32 v48, v25
	v_ashrrev_i32_e32 v26, 31, v25
	s_delay_alu instid0(VALU_DEP_1) | instskip(SKIP_1) | instid1(SALU_CYCLE_1)
	v_cmp_le_i64_e32 vcc_lo, s[10:11], v[25:26]
	s_or_b32 s31, vcc_lo, s31
	s_and_not1_b32 exec_lo, exec_lo, s31
	s_cbranch_execz .LBB95_39
.LBB95_10:                              ; =>This Loop Header: Depth=1
                                        ;     Child Loop BB95_13 Depth 2
	v_dual_mov_b32 v24, s11 :: v_dual_add_nc_u32 v27, v6, v0
	v_dual_mov_b32 v29, s21 :: v_dual_mov_b32 v28, s20
	v_dual_mov_b32 v23, s10 :: v_dual_mov_b32 v6, v2
	s_mov_b32 s33, exec_lo
	ds_store_b8 v34, v5 offset:16384
	ds_store_2addr_b64 v47, v[28:29], v[28:29] offset1:2
	ds_store_2addr_b64 v47, v[28:29], v[28:29] offset0:4 offset1:6
	ds_store_2addr_b64 v47, v[28:29], v[28:29] offset0:8 offset1:10
	;; [unrolled: 1-line block ×3, first 2 shown]
	s_waitcnt lgkmcnt(0)
	buffer_gl0_inv
	v_cmpx_lt_i32_e64 v27, v2
	s_cbranch_execz .LBB95_22
; %bb.11:                               ;   in Loop: Header=BB95_10 Depth=1
	v_mad_u64_u32 v[29:30], null, v25, s12, 0
	v_dual_mov_b32 v24, s11 :: v_dual_mov_b32 v23, s10
	v_mov_b32_e32 v4, v2
	s_mov_b32 s34, 0
	s_branch .LBB95_13
.LBB95_12:                              ;   in Loop: Header=BB95_13 Depth=2
	s_or_b32 exec_lo, exec_lo, s3
	s_delay_alu instid0(VALU_DEP_1) | instskip(SKIP_1) | instid1(VALU_DEP_1)
	v_dual_mov_b32 v4, v6 :: v_dual_add_nc_u32 v27, 2, v27
	s_xor_b32 s3, vcc_lo, -1
	v_cmp_ge_i32_e64 s1, v27, v2
	s_delay_alu instid0(VALU_DEP_1) | instskip(NEXT) | instid1(SALU_CYCLE_1)
	s_or_b32 s1, s3, s1
	s_and_b32 s1, exec_lo, s1
	s_delay_alu instid0(SALU_CYCLE_1) | instskip(NEXT) | instid1(SALU_CYCLE_1)
	s_or_b32 s34, s1, s34
	s_and_not1_b32 exec_lo, exec_lo, s34
	s_cbranch_execz .LBB95_21
.LBB95_13:                              ;   Parent Loop BB95_10 Depth=1
                                        ; =>  This Inner Loop Header: Depth=2
	v_ashrrev_i32_e32 v28, 31, v27
	s_mov_b32 s1, exec_lo
	s_delay_alu instid0(VALU_DEP_1) | instskip(NEXT) | instid1(VALU_DEP_1)
	v_lshlrev_b64 v[30:31], 3, v[27:28]
	v_add_co_u32 v32, vcc_lo, s16, v30
	s_delay_alu instid0(VALU_DEP_2) | instskip(SKIP_4) | instid1(VALU_DEP_1)
	v_add_co_ci_u32_e32 v33, vcc_lo, s17, v31, vcc_lo
	global_load_b64 v[32:33], v[32:33], off
	s_waitcnt vmcnt(0)
	v_sub_co_u32 v28, vcc_lo, v32, s22
	v_subrev_co_ci_u32_e32 v49, vcc_lo, 0, v33, vcc_lo
                                        ; implicit-def: $vgpr32_vgpr33
	v_or_b32_e32 v6, s13, v49
	s_delay_alu instid0(VALU_DEP_1)
	v_cmpx_ne_u64_e32 0, v[5:6]
	s_xor_b32 s35, exec_lo, s1
	s_cbranch_execz .LBB95_15
; %bb.14:                               ;   in Loop: Header=BB95_13 Depth=2
	s_add_u32 s4, s12, s2
	s_mov_b32 s3, s2
	s_addc_u32 s5, s13, s2
	s_delay_alu instid0(SALU_CYCLE_1) | instskip(NEXT) | instid1(SALU_CYCLE_1)
	s_xor_b64 s[4:5], s[4:5], s[2:3]
	v_cvt_f32_u32_e32 v6, s4
	v_cvt_f32_u32_e32 v32, s5
	s_sub_u32 s1, 0, s4
	s_subb_u32 s3, 0, s5
	s_delay_alu instid0(VALU_DEP_1) | instskip(NEXT) | instid1(VALU_DEP_1)
	v_fmac_f32_e32 v6, 0x4f800000, v32
	v_rcp_f32_e32 v6, v6
	s_waitcnt_depctr 0xfff
	v_mul_f32_e32 v6, 0x5f7ffffc, v6
	s_delay_alu instid0(VALU_DEP_1) | instskip(NEXT) | instid1(VALU_DEP_1)
	v_mul_f32_e32 v32, 0x2f800000, v6
	v_trunc_f32_e32 v32, v32
	s_delay_alu instid0(VALU_DEP_1) | instskip(SKIP_1) | instid1(VALU_DEP_2)
	v_fmac_f32_e32 v6, 0xcf800000, v32
	v_cvt_u32_f32_e32 v32, v32
	v_cvt_u32_f32_e32 v6, v6
	s_delay_alu instid0(VALU_DEP_2) | instskip(NEXT) | instid1(VALU_DEP_2)
	v_mul_lo_u32 v33, s1, v32
	v_mul_hi_u32 v50, s1, v6
	v_mul_lo_u32 v51, s3, v6
	s_delay_alu instid0(VALU_DEP_2) | instskip(SKIP_1) | instid1(VALU_DEP_2)
	v_add_nc_u32_e32 v33, v50, v33
	v_mul_lo_u32 v50, s1, v6
	v_add_nc_u32_e32 v33, v33, v51
	s_delay_alu instid0(VALU_DEP_2) | instskip(NEXT) | instid1(VALU_DEP_2)
	v_mul_hi_u32 v51, v6, v50
	v_mul_lo_u32 v52, v6, v33
	v_mul_hi_u32 v53, v6, v33
	v_mul_hi_u32 v54, v32, v50
	v_mul_lo_u32 v50, v32, v50
	v_mul_hi_u32 v55, v32, v33
	v_mul_lo_u32 v33, v32, v33
	v_add_co_u32 v51, vcc_lo, v51, v52
	v_add_co_ci_u32_e32 v52, vcc_lo, 0, v53, vcc_lo
	s_delay_alu instid0(VALU_DEP_2) | instskip(NEXT) | instid1(VALU_DEP_2)
	v_add_co_u32 v50, vcc_lo, v51, v50
	v_add_co_ci_u32_e32 v50, vcc_lo, v52, v54, vcc_lo
	v_add_co_ci_u32_e32 v51, vcc_lo, 0, v55, vcc_lo
	v_ashrrev_i32_e32 v54, 31, v49
	s_delay_alu instid0(VALU_DEP_3) | instskip(NEXT) | instid1(VALU_DEP_3)
	v_add_co_u32 v33, vcc_lo, v50, v33
	v_add_co_ci_u32_e32 v50, vcc_lo, 0, v51, vcc_lo
	s_delay_alu instid0(VALU_DEP_2) | instskip(NEXT) | instid1(VALU_DEP_2)
	v_add_co_u32 v6, vcc_lo, v6, v33
	v_add_co_ci_u32_e32 v32, vcc_lo, v32, v50, vcc_lo
	s_delay_alu instid0(VALU_DEP_2) | instskip(SKIP_1) | instid1(VALU_DEP_3)
	v_mul_hi_u32 v33, s1, v6
	v_mul_lo_u32 v51, s3, v6
	v_mul_lo_u32 v50, s1, v32
	s_delay_alu instid0(VALU_DEP_1) | instskip(SKIP_1) | instid1(VALU_DEP_2)
	v_add_nc_u32_e32 v33, v33, v50
	v_mul_lo_u32 v50, s1, v6
	v_add_nc_u32_e32 v33, v33, v51
	s_delay_alu instid0(VALU_DEP_2) | instskip(NEXT) | instid1(VALU_DEP_2)
	v_mul_hi_u32 v51, v6, v50
	v_mul_lo_u32 v52, v6, v33
	v_mul_hi_u32 v53, v6, v33
	v_mul_hi_u32 v55, v32, v50
	v_mul_lo_u32 v50, v32, v50
	v_mul_hi_u32 v56, v32, v33
	v_mul_lo_u32 v33, v32, v33
	v_add_co_u32 v51, vcc_lo, v51, v52
	v_add_co_ci_u32_e32 v52, vcc_lo, 0, v53, vcc_lo
	s_delay_alu instid0(VALU_DEP_2) | instskip(NEXT) | instid1(VALU_DEP_2)
	v_add_co_u32 v50, vcc_lo, v51, v50
	v_add_co_ci_u32_e32 v50, vcc_lo, v52, v55, vcc_lo
	v_add_co_ci_u32_e32 v51, vcc_lo, 0, v56, vcc_lo
	v_add_co_u32 v52, vcc_lo, v28, v54
	v_add_co_ci_u32_e32 v49, vcc_lo, v49, v54, vcc_lo
	s_delay_alu instid0(VALU_DEP_4) | instskip(NEXT) | instid1(VALU_DEP_4)
	v_add_co_u32 v33, vcc_lo, v50, v33
	v_add_co_ci_u32_e32 v50, vcc_lo, 0, v51, vcc_lo
	s_delay_alu instid0(VALU_DEP_4) | instskip(NEXT) | instid1(VALU_DEP_3)
	v_xor_b32_e32 v53, v52, v54
	v_add_co_u32 v6, vcc_lo, v6, v33
	s_delay_alu instid0(VALU_DEP_3) | instskip(SKIP_1) | instid1(VALU_DEP_3)
	v_add_co_ci_u32_e32 v55, vcc_lo, v32, v50, vcc_lo
	v_xor_b32_e32 v56, v49, v54
	v_mul_hi_u32 v57, v53, v6
	s_delay_alu instid0(VALU_DEP_3) | instskip(NEXT) | instid1(VALU_DEP_3)
	v_mad_u64_u32 v[32:33], null, v53, v55, 0
	v_mad_u64_u32 v[49:50], null, v56, v6, 0
	;; [unrolled: 1-line block ×3, first 2 shown]
	s_delay_alu instid0(VALU_DEP_3) | instskip(NEXT) | instid1(VALU_DEP_4)
	v_add_co_u32 v6, vcc_lo, v57, v32
	v_add_co_ci_u32_e32 v32, vcc_lo, 0, v33, vcc_lo
	s_delay_alu instid0(VALU_DEP_2) | instskip(NEXT) | instid1(VALU_DEP_2)
	v_add_co_u32 v6, vcc_lo, v6, v49
	v_add_co_ci_u32_e32 v6, vcc_lo, v32, v50, vcc_lo
	v_add_co_ci_u32_e32 v32, vcc_lo, 0, v52, vcc_lo
	s_delay_alu instid0(VALU_DEP_2) | instskip(NEXT) | instid1(VALU_DEP_2)
	v_add_co_u32 v6, vcc_lo, v6, v51
	v_add_co_ci_u32_e32 v49, vcc_lo, 0, v32, vcc_lo
	s_delay_alu instid0(VALU_DEP_2) | instskip(SKIP_1) | instid1(VALU_DEP_3)
	v_mul_lo_u32 v50, s5, v6
	v_mad_u64_u32 v[32:33], null, s4, v6, 0
	v_mul_lo_u32 v51, s4, v49
	s_delay_alu instid0(VALU_DEP_2) | instskip(NEXT) | instid1(VALU_DEP_2)
	v_sub_co_u32 v32, vcc_lo, v53, v32
	v_add3_u32 v33, v33, v51, v50
	s_delay_alu instid0(VALU_DEP_1) | instskip(NEXT) | instid1(VALU_DEP_1)
	v_sub_nc_u32_e32 v50, v56, v33
	v_subrev_co_ci_u32_e64 v50, s1, s5, v50, vcc_lo
	v_add_co_u32 v51, s1, v6, 2
	s_delay_alu instid0(VALU_DEP_1) | instskip(SKIP_3) | instid1(VALU_DEP_3)
	v_add_co_ci_u32_e64 v52, s1, 0, v49, s1
	v_sub_co_u32 v53, s1, v32, s4
	v_sub_co_ci_u32_e32 v33, vcc_lo, v56, v33, vcc_lo
	v_subrev_co_ci_u32_e64 v50, s1, 0, v50, s1
	v_cmp_le_u32_e32 vcc_lo, s4, v53
	s_delay_alu instid0(VALU_DEP_3) | instskip(SKIP_1) | instid1(VALU_DEP_4)
	v_cmp_eq_u32_e64 s1, s5, v33
	v_cndmask_b32_e64 v53, 0, -1, vcc_lo
	v_cmp_le_u32_e32 vcc_lo, s5, v50
	v_cndmask_b32_e64 v55, 0, -1, vcc_lo
	v_cmp_le_u32_e32 vcc_lo, s4, v32
	;; [unrolled: 2-line block ×3, first 2 shown]
	v_cndmask_b32_e64 v56, 0, -1, vcc_lo
	v_cmp_eq_u32_e32 vcc_lo, s5, v50
	s_delay_alu instid0(VALU_DEP_2) | instskip(SKIP_3) | instid1(VALU_DEP_3)
	v_cndmask_b32_e64 v32, v56, v32, s1
	v_cndmask_b32_e32 v50, v55, v53, vcc_lo
	v_add_co_u32 v53, vcc_lo, v6, 1
	v_add_co_ci_u32_e32 v55, vcc_lo, 0, v49, vcc_lo
	v_cmp_ne_u32_e32 vcc_lo, 0, v50
	s_delay_alu instid0(VALU_DEP_2) | instskip(SKIP_2) | instid1(VALU_DEP_3)
	v_dual_cndmask_b32 v33, v55, v52 :: v_dual_cndmask_b32 v50, v53, v51
	v_cmp_ne_u32_e32 vcc_lo, 0, v32
	v_xor_b32_e32 v51, s2, v54
	v_cndmask_b32_e32 v6, v6, v50, vcc_lo
	s_delay_alu instid0(VALU_DEP_4) | instskip(NEXT) | instid1(VALU_DEP_2)
	v_cndmask_b32_e32 v32, v49, v33, vcc_lo
	v_xor_b32_e32 v6, v6, v51
	s_delay_alu instid0(VALU_DEP_2) | instskip(NEXT) | instid1(VALU_DEP_2)
	v_xor_b32_e32 v33, v32, v51
	v_sub_co_u32 v32, vcc_lo, v6, v51
	s_delay_alu instid0(VALU_DEP_2)
	v_sub_co_ci_u32_e32 v33, vcc_lo, v33, v51, vcc_lo
.LBB95_15:                              ;   in Loop: Header=BB95_13 Depth=2
	s_and_not1_saveexec_b32 s1, s35
	s_cbranch_execz .LBB95_17
; %bb.16:                               ;   in Loop: Header=BB95_13 Depth=2
	v_cvt_f32_u32_e32 v6, s12
	s_delay_alu instid0(VALU_DEP_1) | instskip(SKIP_2) | instid1(VALU_DEP_1)
	v_rcp_iflag_f32_e32 v6, v6
	s_waitcnt_depctr 0xfff
	v_mul_f32_e32 v6, 0x4f7ffffe, v6
	v_cvt_u32_f32_e32 v6, v6
	s_delay_alu instid0(VALU_DEP_1) | instskip(NEXT) | instid1(VALU_DEP_1)
	v_mul_lo_u32 v32, s30, v6
	v_mul_hi_u32 v32, v6, v32
	s_delay_alu instid0(VALU_DEP_1) | instskip(NEXT) | instid1(VALU_DEP_1)
	v_add_nc_u32_e32 v6, v6, v32
	v_mul_hi_u32 v6, v28, v6
	s_delay_alu instid0(VALU_DEP_1) | instskip(NEXT) | instid1(VALU_DEP_1)
	v_mul_lo_u32 v32, v6, s12
	v_sub_nc_u32_e32 v32, v28, v32
	s_delay_alu instid0(VALU_DEP_1) | instskip(SKIP_1) | instid1(VALU_DEP_2)
	v_subrev_nc_u32_e32 v49, s12, v32
	v_cmp_le_u32_e32 vcc_lo, s12, v32
	v_dual_cndmask_b32 v32, v32, v49 :: v_dual_add_nc_u32 v33, 1, v6
	s_delay_alu instid0(VALU_DEP_1) | instskip(NEXT) | instid1(VALU_DEP_2)
	v_cndmask_b32_e32 v6, v6, v33, vcc_lo
	v_cmp_le_u32_e32 vcc_lo, s12, v32
	s_delay_alu instid0(VALU_DEP_2) | instskip(NEXT) | instid1(VALU_DEP_1)
	v_add_nc_u32_e32 v33, 1, v6
	v_dual_cndmask_b32 v32, v6, v33 :: v_dual_mov_b32 v33, v5
.LBB95_17:                              ;   in Loop: Header=BB95_13 Depth=2
	s_or_b32 exec_lo, exec_lo, s1
	s_delay_alu instid0(VALU_DEP_1)
	v_cmp_eq_u64_e32 vcc_lo, v[32:33], v[25:26]
	s_mov_b32 s3, exec_lo
	v_cmpx_ne_u64_e64 v[32:33], v[25:26]
	s_xor_b32 s3, exec_lo, s3
; %bb.18:                               ;   in Loop: Header=BB95_13 Depth=2
	v_cmp_lt_i64_e64 s1, v[32:33], v[23:24]
                                        ; implicit-def: $vgpr30_vgpr31
                                        ; implicit-def: $vgpr28
                                        ; implicit-def: $vgpr4
	s_delay_alu instid0(VALU_DEP_1)
	v_cndmask_b32_e64 v24, v24, v33, s1
	v_cndmask_b32_e64 v23, v23, v32, s1
; %bb.19:                               ;   in Loop: Header=BB95_13 Depth=2
	s_or_saveexec_b32 s3, s3
	v_mov_b32_e32 v6, v27
	s_xor_b32 exec_lo, exec_lo, s3
	s_cbranch_execz .LBB95_12
; %bb.20:                               ;   in Loop: Header=BB95_13 Depth=2
	v_add_co_u32 v30, s1, s18, v30
	s_delay_alu instid0(VALU_DEP_1)
	v_add_co_ci_u32_e64 v31, s1, s19, v31, s1
	v_sub_nc_u32_e32 v6, v28, v29
	global_load_b64 v[30:31], v[30:31], off
	v_add_lshl_u32 v28, v37, v6, 3
	v_mov_b32_e32 v6, v4
	ds_store_b8 v34, v1 offset:16384
	s_waitcnt vmcnt(0)
	ds_store_b64 v28, v[30:31]
	s_branch .LBB95_12
.LBB95_21:                              ;   in Loop: Header=BB95_10 Depth=1
	s_or_b32 exec_lo, exec_lo, s34
.LBB95_22:                              ;   in Loop: Header=BB95_10 Depth=1
	s_delay_alu instid0(SALU_CYCLE_1)
	s_or_b32 exec_lo, exec_lo, s33
	ds_bpermute_b32 v4, v38, v6
	s_waitcnt lgkmcnt(0)
	buffer_gl0_inv
	ds_load_u8 v25, v34 offset:16384
	v_min_i32_e32 v4, v4, v6
	ds_bpermute_b32 v6, v39, v4
	s_waitcnt lgkmcnt(1)
	v_and_b32_e32 v4, 1, v25
	s_delay_alu instid0(VALU_DEP_1)
	v_cmp_eq_u32_e32 vcc_lo, 1, v4
	v_mov_b32_e32 v4, 0
	s_and_saveexec_b32 s1, vcc_lo
	s_cbranch_execz .LBB95_9
; %bb.23:                               ;   in Loop: Header=BB95_10 Depth=1
	v_ashrrev_i32_e32 v4, 31, v3
	v_mul_lo_u32 v27, s9, v3
	v_mad_u64_u32 v[25:26], null, s24, v3, 0
	v_add_nc_u32_e32 v29, s23, v48
	s_delay_alu instid0(VALU_DEP_4) | instskip(NEXT) | instid1(VALU_DEP_2)
	v_mul_lo_u32 v28, s24, v4
	v_ashrrev_i32_e32 v30, 31, v29
	s_delay_alu instid0(VALU_DEP_2) | instskip(SKIP_1) | instid1(VALU_DEP_2)
	v_add3_u32 v26, v26, v28, v27
	v_lshlrev_b64 v[27:28], 3, v[3:4]
	v_lshlrev_b64 v[31:32], 3, v[25:26]
	s_delay_alu instid0(VALU_DEP_2) | instskip(NEXT) | instid1(VALU_DEP_3)
	v_add_co_u32 v48, vcc_lo, s14, v27
	v_add_co_ci_u32_e32 v49, vcc_lo, s15, v28, vcc_lo
	s_delay_alu instid0(VALU_DEP_3) | instskip(NEXT) | instid1(VALU_DEP_4)
	v_add_co_u32 v4, vcc_lo, v35, v31
	v_add_co_ci_u32_e32 v25, vcc_lo, v36, v32, vcc_lo
	v_add_co_u32 v26, vcc_lo, v40, v31
	v_add_co_ci_u32_e32 v27, vcc_lo, v41, v32, vcc_lo
	v_lshlrev_b32_e32 v28, 3, v0
	global_store_b64 v[48:49], v[29:30], off
	s_and_saveexec_b32 s3, s25
	s_cbranch_execnz .LBB95_31
; %bb.24:                               ;   in Loop: Header=BB95_10 Depth=1
	s_or_b32 exec_lo, exec_lo, s3
	s_and_saveexec_b32 s3, s26
	s_cbranch_execnz .LBB95_32
.LBB95_25:                              ;   in Loop: Header=BB95_10 Depth=1
	s_or_b32 exec_lo, exec_lo, s3
	s_and_saveexec_b32 s3, s27
	s_cbranch_execnz .LBB95_33
.LBB95_26:                              ;   in Loop: Header=BB95_10 Depth=1
	s_or_b32 exec_lo, exec_lo, s3
	s_and_saveexec_b32 s3, s28
	s_cbranch_execnz .LBB95_34
.LBB95_27:                              ;   in Loop: Header=BB95_10 Depth=1
	s_or_b32 exec_lo, exec_lo, s3
	s_and_saveexec_b32 s3, s29
	s_cbranch_execnz .LBB95_35
.LBB95_28:                              ;   in Loop: Header=BB95_10 Depth=1
	s_or_b32 exec_lo, exec_lo, s3
	s_and_saveexec_b32 s3, s6
	s_cbranch_execnz .LBB95_36
.LBB95_29:                              ;   in Loop: Header=BB95_10 Depth=1
	s_or_b32 exec_lo, exec_lo, s3
	s_and_saveexec_b32 s3, s7
	s_cbranch_execnz .LBB95_37
.LBB95_30:                              ;   in Loop: Header=BB95_10 Depth=1
	s_or_b32 exec_lo, exec_lo, s3
	s_and_saveexec_b32 s3, s8
	s_cbranch_execz .LBB95_8
	s_branch .LBB95_38
.LBB95_31:                              ;   in Loop: Header=BB95_10 Depth=1
	ds_load_b64 v[29:30], v47
	v_add_co_u32 v31, vcc_lo, v4, v7
	v_add_co_ci_u32_e32 v32, vcc_lo, v25, v8, vcc_lo
	v_add_co_u32 v33, vcc_lo, v26, v28
	v_add_co_ci_u32_e32 v48, vcc_lo, 0, v27, vcc_lo
	s_delay_alu instid0(VALU_DEP_2) | instskip(NEXT) | instid1(VALU_DEP_2)
	v_cndmask_b32_e64 v31, v31, v33, s0
	v_cndmask_b32_e64 v32, v32, v48, s0
	s_waitcnt lgkmcnt(0)
	global_store_b64 v[31:32], v[29:30], off
	s_or_b32 exec_lo, exec_lo, s3
	s_and_saveexec_b32 s3, s26
	s_cbranch_execz .LBB95_25
.LBB95_32:                              ;   in Loop: Header=BB95_10 Depth=1
	v_add_co_u32 v31, vcc_lo, v26, v28
	ds_load_b64 v[29:30], v47 offset:16
	v_add_co_ci_u32_e32 v32, vcc_lo, 0, v27, vcc_lo
	v_add_co_u32 v31, vcc_lo, v31, 16
	s_delay_alu instid0(VALU_DEP_2) | instskip(SKIP_2) | instid1(VALU_DEP_2)
	v_add_co_ci_u32_e32 v32, vcc_lo, 0, v32, vcc_lo
	v_add_co_u32 v33, vcc_lo, v4, v9
	v_add_co_ci_u32_e32 v48, vcc_lo, v25, v10, vcc_lo
	v_cndmask_b32_e64 v31, v33, v31, s0
	s_delay_alu instid0(VALU_DEP_2)
	v_cndmask_b32_e64 v32, v48, v32, s0
	s_waitcnt lgkmcnt(0)
	global_store_b64 v[31:32], v[29:30], off
	s_or_b32 exec_lo, exec_lo, s3
	s_and_saveexec_b32 s3, s27
	s_cbranch_execz .LBB95_26
.LBB95_33:                              ;   in Loop: Header=BB95_10 Depth=1
	v_add_co_u32 v31, vcc_lo, v26, v28
	ds_load_b64 v[29:30], v47 offset:32
	v_add_co_ci_u32_e32 v32, vcc_lo, 0, v27, vcc_lo
	v_add_co_u32 v31, vcc_lo, v31, 32
	s_delay_alu instid0(VALU_DEP_2) | instskip(SKIP_2) | instid1(VALU_DEP_2)
	v_add_co_ci_u32_e32 v32, vcc_lo, 0, v32, vcc_lo
	v_add_co_u32 v33, vcc_lo, v4, v11
	v_add_co_ci_u32_e32 v48, vcc_lo, v25, v12, vcc_lo
	v_cndmask_b32_e64 v31, v33, v31, s0
	s_delay_alu instid0(VALU_DEP_2)
	v_cndmask_b32_e64 v32, v48, v32, s0
	s_waitcnt lgkmcnt(0)
	global_store_b64 v[31:32], v[29:30], off
	s_or_b32 exec_lo, exec_lo, s3
	s_and_saveexec_b32 s3, s28
	s_cbranch_execz .LBB95_27
.LBB95_34:                              ;   in Loop: Header=BB95_10 Depth=1
	v_add_co_u32 v31, vcc_lo, v26, v28
	ds_load_b64 v[29:30], v47 offset:48
	v_add_co_ci_u32_e32 v32, vcc_lo, 0, v27, vcc_lo
	v_add_co_u32 v31, vcc_lo, v31, 48
	s_delay_alu instid0(VALU_DEP_2) | instskip(SKIP_2) | instid1(VALU_DEP_2)
	v_add_co_ci_u32_e32 v32, vcc_lo, 0, v32, vcc_lo
	v_add_co_u32 v33, vcc_lo, v4, v13
	v_add_co_ci_u32_e32 v48, vcc_lo, v25, v14, vcc_lo
	v_cndmask_b32_e64 v31, v33, v31, s0
	s_delay_alu instid0(VALU_DEP_2)
	v_cndmask_b32_e64 v32, v48, v32, s0
	s_waitcnt lgkmcnt(0)
	global_store_b64 v[31:32], v[29:30], off
	s_or_b32 exec_lo, exec_lo, s3
	s_and_saveexec_b32 s3, s29
	s_cbranch_execz .LBB95_28
.LBB95_35:                              ;   in Loop: Header=BB95_10 Depth=1
	v_add_co_u32 v31, vcc_lo, v26, v28
	ds_load_b64 v[29:30], v47 offset:64
	v_add_co_ci_u32_e32 v32, vcc_lo, 0, v27, vcc_lo
	v_add_co_u32 v31, vcc_lo, v31, 64
	s_delay_alu instid0(VALU_DEP_2) | instskip(SKIP_2) | instid1(VALU_DEP_2)
	v_add_co_ci_u32_e32 v32, vcc_lo, 0, v32, vcc_lo
	v_add_co_u32 v33, vcc_lo, v4, v15
	v_add_co_ci_u32_e32 v48, vcc_lo, v25, v16, vcc_lo
	v_cndmask_b32_e64 v31, v33, v31, s0
	s_delay_alu instid0(VALU_DEP_2)
	v_cndmask_b32_e64 v32, v48, v32, s0
	s_waitcnt lgkmcnt(0)
	global_store_b64 v[31:32], v[29:30], off
	s_or_b32 exec_lo, exec_lo, s3
	s_and_saveexec_b32 s3, s6
	s_cbranch_execz .LBB95_29
.LBB95_36:                              ;   in Loop: Header=BB95_10 Depth=1
	v_add_co_u32 v31, vcc_lo, v26, v28
	ds_load_b64 v[29:30], v47 offset:80
	v_add_co_ci_u32_e32 v32, vcc_lo, 0, v27, vcc_lo
	v_add_co_u32 v31, vcc_lo, 0x50, v31
	s_delay_alu instid0(VALU_DEP_2) | instskip(SKIP_2) | instid1(VALU_DEP_2)
	v_add_co_ci_u32_e32 v32, vcc_lo, 0, v32, vcc_lo
	v_add_co_u32 v33, vcc_lo, v4, v17
	v_add_co_ci_u32_e32 v48, vcc_lo, v25, v18, vcc_lo
	v_cndmask_b32_e64 v31, v33, v31, s0
	s_delay_alu instid0(VALU_DEP_2)
	v_cndmask_b32_e64 v32, v48, v32, s0
	s_waitcnt lgkmcnt(0)
	global_store_b64 v[31:32], v[29:30], off
	s_or_b32 exec_lo, exec_lo, s3
	s_and_saveexec_b32 s3, s7
	s_cbranch_execz .LBB95_30
.LBB95_37:                              ;   in Loop: Header=BB95_10 Depth=1
	v_add_co_u32 v31, vcc_lo, v26, v28
	ds_load_b64 v[29:30], v47 offset:96
	v_add_co_ci_u32_e32 v32, vcc_lo, 0, v27, vcc_lo
	v_add_co_u32 v31, vcc_lo, 0x60, v31
	s_delay_alu instid0(VALU_DEP_2) | instskip(SKIP_2) | instid1(VALU_DEP_2)
	v_add_co_ci_u32_e32 v32, vcc_lo, 0, v32, vcc_lo
	v_add_co_u32 v33, vcc_lo, v4, v19
	v_add_co_ci_u32_e32 v48, vcc_lo, v25, v20, vcc_lo
	v_cndmask_b32_e64 v31, v33, v31, s0
	s_delay_alu instid0(VALU_DEP_2)
	v_cndmask_b32_e64 v32, v48, v32, s0
	s_waitcnt lgkmcnt(0)
	global_store_b64 v[31:32], v[29:30], off
	s_or_b32 exec_lo, exec_lo, s3
	s_and_saveexec_b32 s3, s8
	s_cbranch_execz .LBB95_8
.LBB95_38:                              ;   in Loop: Header=BB95_10 Depth=1
	v_add_co_u32 v28, vcc_lo, v26, v28
	v_add_co_ci_u32_e32 v29, vcc_lo, 0, v27, vcc_lo
	ds_load_b64 v[26:27], v47 offset:112
	v_add_co_u32 v28, vcc_lo, 0x70, v28
	v_add_co_ci_u32_e32 v29, vcc_lo, 0, v29, vcc_lo
	v_add_co_u32 v4, vcc_lo, v4, v21
	v_add_co_ci_u32_e32 v25, vcc_lo, v25, v22, vcc_lo
	s_delay_alu instid0(VALU_DEP_2) | instskip(NEXT) | instid1(VALU_DEP_2)
	v_cndmask_b32_e64 v28, v4, v28, s0
	v_cndmask_b32_e64 v29, v25, v29, s0
	s_waitcnt lgkmcnt(0)
	global_store_b64 v[28:29], v[26:27], off
	s_branch .LBB95_8
.LBB95_39:
	s_endpgm
	.section	.rodata,"a",@progbits
	.p2align	6, 0x0
	.amdhsa_kernel _ZN9rocsparseL42csr2bsr_wavefront_per_row_multipass_kernelILj256ELj32ELj16E21rocsparse_complex_numIfEilEEv20rocsparse_direction_T4_S4_S4_S4_S4_21rocsparse_index_base_PKT2_PKT3_PKS4_S5_PS6_PS9_PS4_
		.amdhsa_group_segment_fixed_size 16392
		.amdhsa_private_segment_fixed_size 0
		.amdhsa_kernarg_size 112
		.amdhsa_user_sgpr_count 15
		.amdhsa_user_sgpr_dispatch_ptr 0
		.amdhsa_user_sgpr_queue_ptr 0
		.amdhsa_user_sgpr_kernarg_segment_ptr 1
		.amdhsa_user_sgpr_dispatch_id 0
		.amdhsa_user_sgpr_private_segment_size 0
		.amdhsa_wavefront_size32 1
		.amdhsa_uses_dynamic_stack 0
		.amdhsa_enable_private_segment 0
		.amdhsa_system_sgpr_workgroup_id_x 1
		.amdhsa_system_sgpr_workgroup_id_y 0
		.amdhsa_system_sgpr_workgroup_id_z 0
		.amdhsa_system_sgpr_workgroup_info 0
		.amdhsa_system_vgpr_workitem_id 0
		.amdhsa_next_free_vgpr 58
		.amdhsa_next_free_sgpr 36
		.amdhsa_reserve_vcc 1
		.amdhsa_float_round_mode_32 0
		.amdhsa_float_round_mode_16_64 0
		.amdhsa_float_denorm_mode_32 3
		.amdhsa_float_denorm_mode_16_64 3
		.amdhsa_dx10_clamp 1
		.amdhsa_ieee_mode 1
		.amdhsa_fp16_overflow 0
		.amdhsa_workgroup_processor_mode 1
		.amdhsa_memory_ordered 1
		.amdhsa_forward_progress 0
		.amdhsa_shared_vgpr_count 0
		.amdhsa_exception_fp_ieee_invalid_op 0
		.amdhsa_exception_fp_denorm_src 0
		.amdhsa_exception_fp_ieee_div_zero 0
		.amdhsa_exception_fp_ieee_overflow 0
		.amdhsa_exception_fp_ieee_underflow 0
		.amdhsa_exception_fp_ieee_inexact 0
		.amdhsa_exception_int_div_zero 0
	.end_amdhsa_kernel
	.section	.text._ZN9rocsparseL42csr2bsr_wavefront_per_row_multipass_kernelILj256ELj32ELj16E21rocsparse_complex_numIfEilEEv20rocsparse_direction_T4_S4_S4_S4_S4_21rocsparse_index_base_PKT2_PKT3_PKS4_S5_PS6_PS9_PS4_,"axG",@progbits,_ZN9rocsparseL42csr2bsr_wavefront_per_row_multipass_kernelILj256ELj32ELj16E21rocsparse_complex_numIfEilEEv20rocsparse_direction_T4_S4_S4_S4_S4_21rocsparse_index_base_PKT2_PKT3_PKS4_S5_PS6_PS9_PS4_,comdat
.Lfunc_end95:
	.size	_ZN9rocsparseL42csr2bsr_wavefront_per_row_multipass_kernelILj256ELj32ELj16E21rocsparse_complex_numIfEilEEv20rocsparse_direction_T4_S4_S4_S4_S4_21rocsparse_index_base_PKT2_PKT3_PKS4_S5_PS6_PS9_PS4_, .Lfunc_end95-_ZN9rocsparseL42csr2bsr_wavefront_per_row_multipass_kernelILj256ELj32ELj16E21rocsparse_complex_numIfEilEEv20rocsparse_direction_T4_S4_S4_S4_S4_21rocsparse_index_base_PKT2_PKT3_PKS4_S5_PS6_PS9_PS4_
                                        ; -- End function
	.section	.AMDGPU.csdata,"",@progbits
; Kernel info:
; codeLenInByte = 3704
; NumSgprs: 38
; NumVgprs: 58
; ScratchSize: 0
; MemoryBound: 0
; FloatMode: 240
; IeeeMode: 1
; LDSByteSize: 16392 bytes/workgroup (compile time only)
; SGPRBlocks: 4
; VGPRBlocks: 7
; NumSGPRsForWavesPerEU: 38
; NumVGPRsForWavesPerEU: 58
; Occupancy: 14
; WaveLimiterHint : 0
; COMPUTE_PGM_RSRC2:SCRATCH_EN: 0
; COMPUTE_PGM_RSRC2:USER_SGPR: 15
; COMPUTE_PGM_RSRC2:TRAP_HANDLER: 0
; COMPUTE_PGM_RSRC2:TGID_X_EN: 1
; COMPUTE_PGM_RSRC2:TGID_Y_EN: 0
; COMPUTE_PGM_RSRC2:TGID_Z_EN: 0
; COMPUTE_PGM_RSRC2:TIDIG_COMP_CNT: 0
	.section	.text._ZN9rocsparseL38csr2bsr_block_per_row_multipass_kernelILj256ELj32E21rocsparse_complex_numIfEilEEv20rocsparse_direction_T3_S4_S4_S4_S4_21rocsparse_index_base_PKT1_PKT2_PKS4_S5_PS6_PS9_PS4_,"axG",@progbits,_ZN9rocsparseL38csr2bsr_block_per_row_multipass_kernelILj256ELj32E21rocsparse_complex_numIfEilEEv20rocsparse_direction_T3_S4_S4_S4_S4_21rocsparse_index_base_PKT1_PKT2_PKS4_S5_PS6_PS9_PS4_,comdat
	.globl	_ZN9rocsparseL38csr2bsr_block_per_row_multipass_kernelILj256ELj32E21rocsparse_complex_numIfEilEEv20rocsparse_direction_T3_S4_S4_S4_S4_21rocsparse_index_base_PKT1_PKT2_PKS4_S5_PS6_PS9_PS4_ ; -- Begin function _ZN9rocsparseL38csr2bsr_block_per_row_multipass_kernelILj256ELj32E21rocsparse_complex_numIfEilEEv20rocsparse_direction_T3_S4_S4_S4_S4_21rocsparse_index_base_PKT1_PKT2_PKS4_S5_PS6_PS9_PS4_
	.p2align	8
	.type	_ZN9rocsparseL38csr2bsr_block_per_row_multipass_kernelILj256ELj32E21rocsparse_complex_numIfEilEEv20rocsparse_direction_T3_S4_S4_S4_S4_21rocsparse_index_base_PKT1_PKT2_PKS4_S5_PS6_PS9_PS4_,@function
_ZN9rocsparseL38csr2bsr_block_per_row_multipass_kernelILj256ELj32E21rocsparse_complex_numIfEilEEv20rocsparse_direction_T3_S4_S4_S4_S4_21rocsparse_index_base_PKT1_PKT2_PKS4_S5_PS6_PS9_PS4_: ; @_ZN9rocsparseL38csr2bsr_block_per_row_multipass_kernelILj256ELj32E21rocsparse_complex_numIfEilEEv20rocsparse_direction_T3_S4_S4_S4_S4_21rocsparse_index_base_PKT1_PKT2_PKS4_S5_PS6_PS9_PS4_
; %bb.0:
	s_mov_b32 s2, s15
	s_clause 0x1
	s_load_b128 s[12:15], s[0:1], 0x20
	s_load_b64 s[6:7], s[0:1], 0x8
	v_mov_b32_e32 v2, 0
	v_lshrrev_b32_e32 v1, 3, v0
	s_clause 0x1
	s_load_b32 s28, s[0:1], 0x30
	s_load_b64 s[4:5], s[0:1], 0x40
	s_ashr_i32 s3, s2, 31
	v_mov_b32_e32 v18, v2
	s_waitcnt lgkmcnt(0)
	v_mad_u64_u32 v[3:4], null, s2, s14, v[1:2]
	s_mul_i32 s8, s2, s15
	s_mul_i32 s9, s3, s14
	s_delay_alu instid0(VALU_DEP_1) | instid1(SALU_CYCLE_1)
	v_add3_u32 v4, s8, s9, v4
	v_cmp_gt_i64_e64 s9, s[14:15], v[1:2]
	s_delay_alu instid0(VALU_DEP_2) | instskip(NEXT) | instid1(VALU_DEP_2)
	v_cmp_gt_i64_e32 vcc_lo, s[6:7], v[3:4]
	s_and_b32 s6, s9, vcc_lo
	s_delay_alu instid0(SALU_CYCLE_1)
	s_and_saveexec_b32 s7, s6
	s_cbranch_execnz .LBB96_3
; %bb.1:
	s_or_b32 exec_lo, exec_lo, s7
	s_and_saveexec_b32 s7, s6
	s_cbranch_execnz .LBB96_4
.LBB96_2:
	s_or_b32 exec_lo, exec_lo, s7
	v_cmp_lt_i64_e64 s4, s[12:13], 1
	s_delay_alu instid0(VALU_DEP_1)
	s_and_b32 vcc_lo, exec_lo, s4
	s_cbranch_vccz .LBB96_5
	s_branch .LBB96_45
.LBB96_3:
	v_lshlrev_b64 v[5:6], 2, v[3:4]
	s_delay_alu instid0(VALU_DEP_1) | instskip(NEXT) | instid1(VALU_DEP_2)
	v_add_co_u32 v5, vcc_lo, s4, v5
	v_add_co_ci_u32_e32 v6, vcc_lo, s5, v6, vcc_lo
	global_load_b32 v5, v[5:6], off
	s_waitcnt vmcnt(0)
	v_subrev_nc_u32_e32 v18, s28, v5
	s_or_b32 exec_lo, exec_lo, s7
	s_and_saveexec_b32 s7, s6
	s_cbranch_execz .LBB96_2
.LBB96_4:
	v_lshlrev_b64 v[2:3], 2, v[3:4]
	s_delay_alu instid0(VALU_DEP_1) | instskip(NEXT) | instid1(VALU_DEP_2)
	v_add_co_u32 v2, vcc_lo, s4, v2
	v_add_co_ci_u32_e32 v3, vcc_lo, s5, v3, vcc_lo
	global_load_b32 v2, v[2:3], off offset:4
	s_waitcnt vmcnt(0)
	v_subrev_nc_u32_e32 v2, s28, v2
	s_or_b32 exec_lo, exec_lo, s7
	v_cmp_lt_i64_e64 s4, s[12:13], 1
	s_delay_alu instid0(VALU_DEP_1)
	s_and_b32 vcc_lo, exec_lo, s4
	s_cbranch_vccnz .LBB96_45
.LBB96_5:
	v_mbcnt_lo_u32_b32 v10, -1, 0
	v_mad_u64_u32 v[6:7], null, v1, s14, 0
	s_clause 0x1
	s_load_b128 s[4:7], s[0:1], 0x58
	s_load_b64 s[16:17], s[0:1], 0x68
	v_lshlrev_b32_e32 v9, 3, v1
	v_xor_b32_e32 v5, 4, v10
	v_xor_b32_e32 v8, 2, v10
	;; [unrolled: 1-line block ×3, first 2 shown]
	s_mul_i32 s8, s14, s15
	v_mov_b32_e32 v4, v7
	v_cmp_gt_i32_e32 vcc_lo, 32, v5
	v_mov_b32_e32 v3, 0
	s_mul_hi_u32 s10, s14, s14
	s_clause 0x3
	s_load_b32 s30, s[0:1], 0x50
	s_load_b64 s[18:19], s[0:1], 0x48
	s_load_b64 s[20:21], s[0:1], 0x38
	s_load_b32 s11, s[0:1], 0x0
	s_lshl_b64 s[0:1], s[2:3], 2
	v_cndmask_b32_e32 v12, v10, v5, vcc_lo
	v_cmp_gt_i32_e32 vcc_lo, 32, v8
	s_add_i32 s2, s10, s8
	v_lshl_or_b32 v28, v10, 2, 28
	s_add_i32 s31, s2, s8
	v_dual_cndmask_b32 v13, v10, v8 :: v_dual_lshlrev_b32 v22, 5, v1
	v_mad_u64_u32 v[7:8], null, v1, s15, v[4:5]
	v_cmp_gt_i32_e32 vcc_lo, 32, v11
	v_and_b32_e32 v5, 7, v0
	s_waitcnt lgkmcnt(0)
	s_add_u32 s0, s6, s0
	s_addc_u32 s1, s7, s1
	v_dual_cndmask_b32 v4, v10, v11 :: v_dual_lshlrev_b32 v31, 3, v0
	s_delay_alu instid0(VALU_DEP_4) | instskip(SKIP_2) | instid1(VALU_DEP_3)
	v_lshlrev_b64 v[6:7], 3, v[6:7]
	v_dual_mov_b32 v10, v3 :: v_dual_lshlrev_b32 v1, 3, v5
	s_load_b32 s0, s[0:1], 0x0
	v_lshlrev_b32_e32 v25, 2, v4
	v_add_co_u32 v26, s1, s4, v9
	s_delay_alu instid0(VALU_DEP_4) | instskip(SKIP_2) | instid1(VALU_DEP_3)
	v_add_co_u32 v4, vcc_lo, s4, v6
	v_add_co_ci_u32_e32 v7, vcc_lo, s5, v7, vcc_lo
	v_add_co_ci_u32_e64 v27, null, s5, 0, s1
	v_add_co_u32 v29, vcc_lo, v4, v1
	s_delay_alu instid0(VALU_DEP_3)
	v_add_co_ci_u32_e32 v30, vcc_lo, 0, v7, vcc_lo
	v_mad_u64_u32 v[7:8], null, v5, s14, 0
	v_cmp_gt_u32_e64 s1, 0x80, v0
	v_cmp_gt_u32_e64 s2, 64, v0
	v_cmp_gt_u32_e64 s3, 32, v0
	v_cmp_gt_u32_e64 s4, 16, v0
	v_cmp_gt_u32_e64 s5, 8, v0
	v_or_b32_e32 v1, v22, v5
	v_cmp_gt_u32_e64 s6, 4, v0
	v_cmp_gt_u32_e64 s7, 2, v0
	v_cmp_eq_u32_e64 s8, 0, v0
	v_mov_b32_e32 v0, v8
	v_or_b32_e32 v9, 8, v5
	v_dual_mov_b32 v6, v3 :: v_dual_lshlrev_b32 v23, 2, v12
	v_lshlrev_b32_e32 v24, 2, v13
	s_delay_alu instid0(VALU_DEP_4) | instskip(SKIP_4) | instid1(VALU_DEP_4)
	v_mad_u64_u32 v[11:12], null, v5, s15, v[0:1]
	v_or_b32_e32 v0, 16, v5
	v_mad_u64_u32 v[12:13], null, v9, s14, 0
	v_or_b32_e32 v14, 24, v5
	v_cmp_gt_i64_e32 vcc_lo, s[14:15], v[5:6]
	v_mad_u64_u32 v[16:17], null, v0, s14, 0
	s_waitcnt lgkmcnt(0)
	s_sub_i32 s22, s0, s30
	v_mad_u64_u32 v[19:20], null, v14, s14, 0
	v_mov_b32_e32 v4, v13
	s_mov_b32 s24, 0
	s_cmp_eq_u32 s11, 0
	v_dual_mov_b32 v15, v3 :: v_dual_lshlrev_b32 v32, 3, v1
	s_cselect_b32 s0, -1, 0
	s_and_b32 s33, s9, vcc_lo
	v_mov_b32_e32 v8, v11
	v_cmp_gt_i64_e32 vcc_lo, s[14:15], v[9:10]
	v_dual_mov_b32 v1, v3 :: v_dual_mov_b32 v6, v17
	v_mad_u64_u32 v[10:11], null, v9, s15, v[4:5]
	s_mov_b32 s25, s24
	v_mov_b32_e32 v4, v20
	s_delay_alu instid0(VALU_DEP_3) | instskip(SKIP_2) | instid1(VALU_DEP_3)
	v_mad_u64_u32 v[20:21], null, v0, s15, v[6:7]
	v_cmp_gt_i64_e64 s10, s[14:15], v[0:1]
	s_and_b32 s34, s9, vcc_lo
	v_mad_u64_u32 v[0:1], null, v14, s15, v[4:5]
	v_mov_b32_e32 v13, v10
	v_cmp_gt_i64_e32 vcc_lo, s[14:15], v[14:15]
	v_mov_b32_e32 v17, v20
	v_lshlrev_b64 v[6:7], 3, v[7:8]
	v_mov_b32_e32 v33, 1
	v_lshlrev_b64 v[8:9], 3, v[12:13]
	v_mov_b32_e32 v20, v0
	v_mov_b32_e32 v0, s24
	v_lshlrev_b64 v[10:11], 3, v[16:17]
	v_dual_mov_b32 v1, s25 :: v_dual_mov_b32 v16, 0
	s_delay_alu instid0(VALU_DEP_4)
	v_lshlrev_b64 v[12:13], 3, v[19:20]
	s_mul_i32 s29, s14, s14
	s_and_b32 s35, s9, s10
	s_and_b32 s36, s9, vcc_lo
	s_mov_b64 s[24:25], 0
	s_ashr_i32 s10, s15, 31
	s_branch .LBB96_7
.LBB96_6:                               ;   in Loop: Header=BB96_7 Depth=1
	s_or_b32 exec_lo, exec_lo, s11
	s_waitcnt lgkmcnt(0)
	s_barrier
	buffer_gl0_inv
	ds_load_b64 v[16:17], v3
	s_add_i32 s22, s9, s22
	s_waitcnt lgkmcnt(0)
	s_barrier
	buffer_gl0_inv
	v_readfirstlane_b32 s24, v16
	v_readfirstlane_b32 s25, v17
	s_delay_alu instid0(VALU_DEP_1) | instskip(NEXT) | instid1(SALU_CYCLE_1)
	s_bfe_i64 s[24:25], s[24:25], 0x200000
	v_cmp_lt_i64_e64 s11, s[24:25], s[12:13]
	s_delay_alu instid0(VALU_DEP_1)
	s_and_b32 vcc_lo, exec_lo, s11
	s_cbranch_vccz .LBB96_45
.LBB96_7:                               ; =>This Loop Header: Depth=1
                                        ;     Child Loop BB96_10 Depth 2
	v_dual_mov_b32 v15, s13 :: v_dual_mov_b32 v4, v2
	v_dual_mov_b32 v14, s12 :: v_dual_add_nc_u32 v17, v18, v5
	s_mov_b32 s23, exec_lo
	ds_store_b8 v3, v3 offset:8192
	ds_store_2addr_b64 v32, v[0:1], v[0:1] offset1:8
	ds_store_2addr_b64 v32, v[0:1], v[0:1] offset0:16 offset1:24
	s_waitcnt lgkmcnt(0)
	s_barrier
	buffer_gl0_inv
	v_cmpx_lt_i32_e64 v17, v2
	s_cbranch_execz .LBB96_19
; %bb.8:                                ;   in Loop: Header=BB96_7 Depth=1
	v_dual_mov_b32 v15, s13 :: v_dual_mov_b32 v14, s12
	v_mov_b32_e32 v34, v2
	s_mul_i32 s38, s24, s14
	s_mov_b32 s37, 0
	s_branch .LBB96_10
.LBB96_9:                               ;   in Loop: Header=BB96_10 Depth=2
	s_or_b32 exec_lo, exec_lo, s11
	s_delay_alu instid0(VALU_DEP_1) | instskip(SKIP_1) | instid1(VALU_DEP_1)
	v_dual_mov_b32 v34, v4 :: v_dual_add_nc_u32 v17, 8, v17
	s_xor_b32 s11, vcc_lo, -1
	v_cmp_ge_i32_e64 s9, v17, v2
	s_delay_alu instid0(VALU_DEP_1) | instskip(NEXT) | instid1(SALU_CYCLE_1)
	s_or_b32 s9, s11, s9
	s_and_b32 s9, exec_lo, s9
	s_delay_alu instid0(SALU_CYCLE_1) | instskip(NEXT) | instid1(SALU_CYCLE_1)
	s_or_b32 s37, s9, s37
	s_and_not1_b32 exec_lo, exec_lo, s37
	s_cbranch_execz .LBB96_18
.LBB96_10:                              ;   Parent Loop BB96_7 Depth=1
                                        ; =>  This Inner Loop Header: Depth=2
	v_ashrrev_i32_e32 v18, 31, v17
	s_mov_b32 s9, exec_lo
	s_delay_alu instid0(VALU_DEP_1) | instskip(NEXT) | instid1(VALU_DEP_1)
	v_lshlrev_b64 v[18:19], 3, v[17:18]
	v_add_co_u32 v20, vcc_lo, s18, v18
	s_delay_alu instid0(VALU_DEP_2) | instskip(SKIP_4) | instid1(VALU_DEP_1)
	v_add_co_ci_u32_e32 v21, vcc_lo, s19, v19, vcc_lo
	global_load_b64 v[20:21], v[20:21], off
	s_waitcnt vmcnt(0)
	v_sub_co_u32 v35, vcc_lo, v20, s28
	v_subrev_co_ci_u32_e32 v36, vcc_lo, 0, v21, vcc_lo
                                        ; implicit-def: $vgpr20_vgpr21
	v_or_b32_e32 v4, s15, v36
	s_delay_alu instid0(VALU_DEP_1)
	v_cmpx_ne_u64_e32 0, v[3:4]
	s_xor_b32 s39, exec_lo, s9
	s_cbranch_execz .LBB96_12
; %bb.11:                               ;   in Loop: Header=BB96_10 Depth=2
	s_add_u32 s26, s14, s10
	s_mov_b32 s11, s10
	s_addc_u32 s27, s15, s10
	s_delay_alu instid0(SALU_CYCLE_1) | instskip(NEXT) | instid1(SALU_CYCLE_1)
	s_xor_b64 s[26:27], s[26:27], s[10:11]
	v_cvt_f32_u32_e32 v4, s26
	v_cvt_f32_u32_e32 v20, s27
	s_sub_u32 s9, 0, s26
	s_subb_u32 s11, 0, s27
	s_delay_alu instid0(VALU_DEP_1) | instskip(NEXT) | instid1(VALU_DEP_1)
	v_fmac_f32_e32 v4, 0x4f800000, v20
	v_rcp_f32_e32 v4, v4
	s_waitcnt_depctr 0xfff
	v_mul_f32_e32 v4, 0x5f7ffffc, v4
	s_delay_alu instid0(VALU_DEP_1) | instskip(NEXT) | instid1(VALU_DEP_1)
	v_mul_f32_e32 v20, 0x2f800000, v4
	v_trunc_f32_e32 v20, v20
	s_delay_alu instid0(VALU_DEP_1) | instskip(SKIP_1) | instid1(VALU_DEP_2)
	v_fmac_f32_e32 v4, 0xcf800000, v20
	v_cvt_u32_f32_e32 v20, v20
	v_cvt_u32_f32_e32 v4, v4
	s_delay_alu instid0(VALU_DEP_2) | instskip(NEXT) | instid1(VALU_DEP_2)
	v_mul_lo_u32 v21, s9, v20
	v_mul_hi_u32 v37, s9, v4
	v_mul_lo_u32 v38, s11, v4
	s_delay_alu instid0(VALU_DEP_2) | instskip(SKIP_1) | instid1(VALU_DEP_2)
	v_add_nc_u32_e32 v21, v37, v21
	v_mul_lo_u32 v37, s9, v4
	v_add_nc_u32_e32 v21, v21, v38
	s_delay_alu instid0(VALU_DEP_2) | instskip(NEXT) | instid1(VALU_DEP_2)
	v_mul_hi_u32 v38, v4, v37
	v_mul_lo_u32 v39, v4, v21
	v_mul_hi_u32 v40, v4, v21
	v_mul_hi_u32 v41, v20, v37
	v_mul_lo_u32 v37, v20, v37
	v_mul_hi_u32 v42, v20, v21
	v_mul_lo_u32 v21, v20, v21
	v_add_co_u32 v38, vcc_lo, v38, v39
	v_add_co_ci_u32_e32 v39, vcc_lo, 0, v40, vcc_lo
	s_delay_alu instid0(VALU_DEP_2) | instskip(NEXT) | instid1(VALU_DEP_2)
	v_add_co_u32 v37, vcc_lo, v38, v37
	v_add_co_ci_u32_e32 v37, vcc_lo, v39, v41, vcc_lo
	v_add_co_ci_u32_e32 v38, vcc_lo, 0, v42, vcc_lo
	v_ashrrev_i32_e32 v41, 31, v36
	s_delay_alu instid0(VALU_DEP_3) | instskip(NEXT) | instid1(VALU_DEP_3)
	v_add_co_u32 v21, vcc_lo, v37, v21
	v_add_co_ci_u32_e32 v37, vcc_lo, 0, v38, vcc_lo
	s_delay_alu instid0(VALU_DEP_2) | instskip(NEXT) | instid1(VALU_DEP_2)
	v_add_co_u32 v4, vcc_lo, v4, v21
	v_add_co_ci_u32_e32 v20, vcc_lo, v20, v37, vcc_lo
	s_delay_alu instid0(VALU_DEP_2) | instskip(SKIP_1) | instid1(VALU_DEP_3)
	v_mul_hi_u32 v21, s9, v4
	v_mul_lo_u32 v38, s11, v4
	v_mul_lo_u32 v37, s9, v20
	s_delay_alu instid0(VALU_DEP_1) | instskip(SKIP_1) | instid1(VALU_DEP_2)
	v_add_nc_u32_e32 v21, v21, v37
	v_mul_lo_u32 v37, s9, v4
	v_add_nc_u32_e32 v21, v21, v38
	s_delay_alu instid0(VALU_DEP_2) | instskip(NEXT) | instid1(VALU_DEP_2)
	v_mul_hi_u32 v38, v4, v37
	v_mul_lo_u32 v39, v4, v21
	v_mul_hi_u32 v40, v4, v21
	v_mul_hi_u32 v42, v20, v37
	v_mul_lo_u32 v37, v20, v37
	v_mul_hi_u32 v43, v20, v21
	v_mul_lo_u32 v21, v20, v21
	v_add_co_u32 v38, vcc_lo, v38, v39
	v_add_co_ci_u32_e32 v39, vcc_lo, 0, v40, vcc_lo
	s_delay_alu instid0(VALU_DEP_2) | instskip(NEXT) | instid1(VALU_DEP_2)
	v_add_co_u32 v37, vcc_lo, v38, v37
	v_add_co_ci_u32_e32 v37, vcc_lo, v39, v42, vcc_lo
	v_add_co_ci_u32_e32 v38, vcc_lo, 0, v43, vcc_lo
	v_add_co_u32 v39, vcc_lo, v35, v41
	v_add_co_ci_u32_e32 v36, vcc_lo, v36, v41, vcc_lo
	s_delay_alu instid0(VALU_DEP_4) | instskip(NEXT) | instid1(VALU_DEP_4)
	v_add_co_u32 v21, vcc_lo, v37, v21
	v_add_co_ci_u32_e32 v37, vcc_lo, 0, v38, vcc_lo
	s_delay_alu instid0(VALU_DEP_4) | instskip(NEXT) | instid1(VALU_DEP_3)
	v_xor_b32_e32 v40, v39, v41
	v_add_co_u32 v4, vcc_lo, v4, v21
	s_delay_alu instid0(VALU_DEP_3) | instskip(SKIP_1) | instid1(VALU_DEP_3)
	v_add_co_ci_u32_e32 v42, vcc_lo, v20, v37, vcc_lo
	v_xor_b32_e32 v43, v36, v41
	v_mul_hi_u32 v44, v40, v4
	s_delay_alu instid0(VALU_DEP_3) | instskip(NEXT) | instid1(VALU_DEP_3)
	v_mad_u64_u32 v[20:21], null, v40, v42, 0
	v_mad_u64_u32 v[36:37], null, v43, v4, 0
	v_mad_u64_u32 v[38:39], null, v43, v42, 0
	s_delay_alu instid0(VALU_DEP_3) | instskip(NEXT) | instid1(VALU_DEP_4)
	v_add_co_u32 v4, vcc_lo, v44, v20
	v_add_co_ci_u32_e32 v20, vcc_lo, 0, v21, vcc_lo
	s_delay_alu instid0(VALU_DEP_2) | instskip(NEXT) | instid1(VALU_DEP_2)
	v_add_co_u32 v4, vcc_lo, v4, v36
	v_add_co_ci_u32_e32 v4, vcc_lo, v20, v37, vcc_lo
	v_add_co_ci_u32_e32 v20, vcc_lo, 0, v39, vcc_lo
	s_delay_alu instid0(VALU_DEP_2) | instskip(NEXT) | instid1(VALU_DEP_2)
	v_add_co_u32 v4, vcc_lo, v4, v38
	v_add_co_ci_u32_e32 v36, vcc_lo, 0, v20, vcc_lo
	s_delay_alu instid0(VALU_DEP_2) | instskip(SKIP_1) | instid1(VALU_DEP_3)
	v_mul_lo_u32 v37, s27, v4
	v_mad_u64_u32 v[20:21], null, s26, v4, 0
	v_mul_lo_u32 v38, s26, v36
	s_delay_alu instid0(VALU_DEP_2) | instskip(NEXT) | instid1(VALU_DEP_2)
	v_sub_co_u32 v20, vcc_lo, v40, v20
	v_add3_u32 v21, v21, v38, v37
	s_delay_alu instid0(VALU_DEP_1) | instskip(NEXT) | instid1(VALU_DEP_1)
	v_sub_nc_u32_e32 v37, v43, v21
	v_subrev_co_ci_u32_e64 v37, s9, s27, v37, vcc_lo
	v_add_co_u32 v38, s9, v4, 2
	s_delay_alu instid0(VALU_DEP_1) | instskip(SKIP_3) | instid1(VALU_DEP_3)
	v_add_co_ci_u32_e64 v39, s9, 0, v36, s9
	v_sub_co_u32 v40, s9, v20, s26
	v_sub_co_ci_u32_e32 v21, vcc_lo, v43, v21, vcc_lo
	v_subrev_co_ci_u32_e64 v37, s9, 0, v37, s9
	v_cmp_le_u32_e32 vcc_lo, s26, v40
	s_delay_alu instid0(VALU_DEP_3) | instskip(SKIP_1) | instid1(VALU_DEP_4)
	v_cmp_eq_u32_e64 s9, s27, v21
	v_cndmask_b32_e64 v40, 0, -1, vcc_lo
	v_cmp_le_u32_e32 vcc_lo, s27, v37
	v_cndmask_b32_e64 v42, 0, -1, vcc_lo
	v_cmp_le_u32_e32 vcc_lo, s26, v20
	;; [unrolled: 2-line block ×3, first 2 shown]
	v_cndmask_b32_e64 v43, 0, -1, vcc_lo
	v_cmp_eq_u32_e32 vcc_lo, s27, v37
	s_delay_alu instid0(VALU_DEP_2) | instskip(SKIP_3) | instid1(VALU_DEP_3)
	v_cndmask_b32_e64 v20, v43, v20, s9
	v_cndmask_b32_e32 v37, v42, v40, vcc_lo
	v_add_co_u32 v40, vcc_lo, v4, 1
	v_add_co_ci_u32_e32 v42, vcc_lo, 0, v36, vcc_lo
	v_cmp_ne_u32_e32 vcc_lo, 0, v37
	s_delay_alu instid0(VALU_DEP_3) | instskip(NEXT) | instid1(VALU_DEP_3)
	v_cndmask_b32_e32 v37, v40, v38, vcc_lo
	v_cndmask_b32_e32 v21, v42, v39, vcc_lo
	v_cmp_ne_u32_e32 vcc_lo, 0, v20
	v_xor_b32_e32 v38, s10, v41
	s_delay_alu instid0(VALU_DEP_4) | instskip(NEXT) | instid1(VALU_DEP_4)
	v_cndmask_b32_e32 v4, v4, v37, vcc_lo
	v_cndmask_b32_e32 v20, v36, v21, vcc_lo
	s_delay_alu instid0(VALU_DEP_2) | instskip(NEXT) | instid1(VALU_DEP_2)
	v_xor_b32_e32 v4, v4, v38
	v_xor_b32_e32 v21, v20, v38
	s_delay_alu instid0(VALU_DEP_2) | instskip(NEXT) | instid1(VALU_DEP_2)
	v_sub_co_u32 v20, vcc_lo, v4, v38
	v_sub_co_ci_u32_e32 v21, vcc_lo, v21, v38, vcc_lo
.LBB96_12:                              ;   in Loop: Header=BB96_10 Depth=2
	s_and_not1_saveexec_b32 s9, s39
	s_cbranch_execz .LBB96_14
; %bb.13:                               ;   in Loop: Header=BB96_10 Depth=2
	v_cvt_f32_u32_e32 v4, s14
	s_sub_i32 s11, 0, s14
	s_delay_alu instid0(VALU_DEP_1) | instskip(SKIP_2) | instid1(VALU_DEP_1)
	v_rcp_iflag_f32_e32 v4, v4
	s_waitcnt_depctr 0xfff
	v_mul_f32_e32 v4, 0x4f7ffffe, v4
	v_cvt_u32_f32_e32 v4, v4
	s_delay_alu instid0(VALU_DEP_1) | instskip(NEXT) | instid1(VALU_DEP_1)
	v_mul_lo_u32 v20, s11, v4
	v_mul_hi_u32 v20, v4, v20
	s_delay_alu instid0(VALU_DEP_1) | instskip(NEXT) | instid1(VALU_DEP_1)
	v_add_nc_u32_e32 v4, v4, v20
	v_mul_hi_u32 v4, v35, v4
	s_delay_alu instid0(VALU_DEP_1) | instskip(SKIP_1) | instid1(VALU_DEP_2)
	v_mul_lo_u32 v20, v4, s14
	v_add_nc_u32_e32 v21, 1, v4
	v_sub_nc_u32_e32 v20, v35, v20
	s_delay_alu instid0(VALU_DEP_1) | instskip(SKIP_1) | instid1(VALU_DEP_2)
	v_subrev_nc_u32_e32 v36, s14, v20
	v_cmp_le_u32_e32 vcc_lo, s14, v20
	v_cndmask_b32_e32 v20, v20, v36, vcc_lo
	v_cndmask_b32_e32 v4, v4, v21, vcc_lo
	s_delay_alu instid0(VALU_DEP_2) | instskip(NEXT) | instid1(VALU_DEP_2)
	v_cmp_le_u32_e32 vcc_lo, s14, v20
	v_add_nc_u32_e32 v21, 1, v4
	s_delay_alu instid0(VALU_DEP_1)
	v_dual_cndmask_b32 v20, v4, v21 :: v_dual_mov_b32 v21, v3
.LBB96_14:                              ;   in Loop: Header=BB96_10 Depth=2
	s_or_b32 exec_lo, exec_lo, s9
	s_delay_alu instid0(VALU_DEP_1)
	v_cmp_eq_u64_e32 vcc_lo, s[24:25], v[20:21]
	s_mov_b32 s11, exec_lo
	v_cmpx_ne_u64_e64 s[24:25], v[20:21]
	s_xor_b32 s11, exec_lo, s11
; %bb.15:                               ;   in Loop: Header=BB96_10 Depth=2
	v_cmp_lt_i64_e64 s9, v[20:21], v[14:15]
                                        ; implicit-def: $vgpr18_vgpr19
                                        ; implicit-def: $vgpr35
                                        ; implicit-def: $vgpr34
	s_delay_alu instid0(VALU_DEP_1)
	v_cndmask_b32_e64 v15, v15, v21, s9
	v_cndmask_b32_e64 v14, v14, v20, s9
; %bb.16:                               ;   in Loop: Header=BB96_10 Depth=2
	s_or_saveexec_b32 s11, s11
	v_mov_b32_e32 v4, v17
	s_xor_b32 exec_lo, exec_lo, s11
	s_cbranch_execz .LBB96_9
; %bb.17:                               ;   in Loop: Header=BB96_10 Depth=2
	v_add_co_u32 v18, s9, s20, v18
	s_delay_alu instid0(VALU_DEP_1)
	v_add_co_ci_u32_e64 v19, s9, s21, v19, s9
	v_subrev_nc_u32_e32 v4, s38, v35
	global_load_b64 v[18:19], v[18:19], off
	v_add_lshl_u32 v20, v22, v4, 3
	v_mov_b32_e32 v4, v34
	ds_store_b8 v3, v33 offset:8192
	s_waitcnt vmcnt(0)
	ds_store_b64 v20, v[18:19]
	s_branch .LBB96_9
.LBB96_18:                              ;   in Loop: Header=BB96_7 Depth=1
	s_or_b32 exec_lo, exec_lo, s37
.LBB96_19:                              ;   in Loop: Header=BB96_7 Depth=1
	s_delay_alu instid0(SALU_CYCLE_1)
	s_or_b32 exec_lo, exec_lo, s23
	ds_bpermute_b32 v17, v23, v4
	s_waitcnt lgkmcnt(0)
	s_barrier
	buffer_gl0_inv
	ds_load_u8 v19, v3 offset:8192
	s_mov_b32 s9, 0
	v_min_i32_e32 v4, v17, v4
	s_waitcnt lgkmcnt(0)
	v_cmp_eq_u32_e32 vcc_lo, 0, v19
	ds_bpermute_b32 v17, v24, v4
	s_and_b32 vcc_lo, exec_lo, vcc_lo
	s_waitcnt lgkmcnt(0)
	v_min_i32_e32 v4, v17, v4
	ds_bpermute_b32 v17, v25, v4
	s_waitcnt lgkmcnt(0)
	v_min_i32_e32 v4, v17, v4
	ds_bpermute_b32 v18, v28, v4
	s_cbranch_vccnz .LBB96_26
; %bb.20:                               ;   in Loop: Header=BB96_7 Depth=1
	s_ashr_i32 s23, s22, 31
	s_mul_hi_u32 s9, s29, s22
	s_lshl_b64 s[24:25], s[22:23], 3
	s_mul_i32 s11, s29, s23
	s_add_u32 s24, s16, s24
	s_addc_u32 s25, s17, s25
	s_add_i32 s9, s9, s11
	s_mul_i32 s11, s31, s22
	s_mul_i32 s26, s29, s22
	s_add_i32 s27, s9, s11
	v_add_nc_u32_e32 v20, s30, v16
	s_lshl_b64 s[26:27], s[26:27], 3
	s_delay_alu instid0(SALU_CYCLE_1)
	v_add_co_u32 v4, vcc_lo, v26, s26
	v_add_co_ci_u32_e32 v16, vcc_lo, s27, v27, vcc_lo
	v_add_co_u32 v17, vcc_lo, v29, s26
	v_ashrrev_i32_e32 v21, 31, v20
	v_add_co_ci_u32_e32 v19, vcc_lo, s27, v30, vcc_lo
	global_store_b64 v3, v[20:21], s[24:25]
	s_and_saveexec_b32 s9, s33
	s_cbranch_execnz .LBB96_42
; %bb.21:                               ;   in Loop: Header=BB96_7 Depth=1
	s_or_b32 exec_lo, exec_lo, s9
	s_and_saveexec_b32 s9, s34
	s_cbranch_execnz .LBB96_43
.LBB96_22:                              ;   in Loop: Header=BB96_7 Depth=1
	s_or_b32 exec_lo, exec_lo, s9
	s_and_saveexec_b32 s9, s35
	s_cbranch_execnz .LBB96_44
.LBB96_23:                              ;   in Loop: Header=BB96_7 Depth=1
	s_or_b32 exec_lo, exec_lo, s9
	s_and_saveexec_b32 s9, s36
	s_cbranch_execz .LBB96_25
.LBB96_24:                              ;   in Loop: Header=BB96_7 Depth=1
	ds_load_b64 v[20:21], v32 offset:192
	v_add_co_u32 v34, vcc_lo, 0xc0, v17
	v_add_co_ci_u32_e32 v17, vcc_lo, 0, v19, vcc_lo
	v_add_co_u32 v4, vcc_lo, v4, v12
	v_add_co_ci_u32_e32 v16, vcc_lo, v16, v13, vcc_lo
	s_delay_alu instid0(VALU_DEP_1) | instskip(NEXT) | instid1(VALU_DEP_3)
	v_cndmask_b32_e64 v17, v16, v17, s0
	v_cndmask_b32_e64 v16, v4, v34, s0
	s_waitcnt lgkmcnt(0)
	global_store_b64 v[16:17], v[20:21], off
.LBB96_25:                              ;   in Loop: Header=BB96_7 Depth=1
	s_or_b32 exec_lo, exec_lo, s9
	s_mov_b32 s9, 1
.LBB96_26:                              ;   in Loop: Header=BB96_7 Depth=1
	s_waitcnt lgkmcnt(0)
	s_waitcnt_vscnt null, 0x0
	s_barrier
	buffer_gl0_inv
	ds_store_b64 v31, v[14:15]
	s_waitcnt lgkmcnt(0)
	s_barrier
	buffer_gl0_inv
	s_and_saveexec_b32 s11, s1
	s_cbranch_execz .LBB96_28
; %bb.27:                               ;   in Loop: Header=BB96_7 Depth=1
	ds_load_2addr_stride64_b64 v[14:17], v31 offset1:2
	s_waitcnt lgkmcnt(0)
	v_cmp_lt_i64_e32 vcc_lo, v[16:17], v[14:15]
	v_dual_cndmask_b32 v15, v15, v17 :: v_dual_cndmask_b32 v14, v14, v16
	ds_store_b64 v31, v[14:15]
.LBB96_28:                              ;   in Loop: Header=BB96_7 Depth=1
	s_or_b32 exec_lo, exec_lo, s11
	s_waitcnt lgkmcnt(0)
	s_barrier
	buffer_gl0_inv
	s_and_saveexec_b32 s11, s2
	s_cbranch_execz .LBB96_30
; %bb.29:                               ;   in Loop: Header=BB96_7 Depth=1
	ds_load_2addr_stride64_b64 v[14:17], v31 offset1:1
	s_waitcnt lgkmcnt(0)
	v_cmp_lt_i64_e32 vcc_lo, v[16:17], v[14:15]
	v_dual_cndmask_b32 v15, v15, v17 :: v_dual_cndmask_b32 v14, v14, v16
	ds_store_b64 v31, v[14:15]
.LBB96_30:                              ;   in Loop: Header=BB96_7 Depth=1
	s_or_b32 exec_lo, exec_lo, s11
	s_waitcnt lgkmcnt(0)
	s_barrier
	buffer_gl0_inv
	s_and_saveexec_b32 s11, s3
	s_cbranch_execz .LBB96_32
; %bb.31:                               ;   in Loop: Header=BB96_7 Depth=1
	ds_load_2addr_b64 v[14:17], v31 offset1:32
	s_waitcnt lgkmcnt(0)
	v_cmp_lt_i64_e32 vcc_lo, v[16:17], v[14:15]
	v_dual_cndmask_b32 v15, v15, v17 :: v_dual_cndmask_b32 v14, v14, v16
	ds_store_b64 v31, v[14:15]
.LBB96_32:                              ;   in Loop: Header=BB96_7 Depth=1
	s_or_b32 exec_lo, exec_lo, s11
	s_waitcnt lgkmcnt(0)
	s_barrier
	buffer_gl0_inv
	s_and_saveexec_b32 s11, s4
	s_cbranch_execz .LBB96_34
; %bb.33:                               ;   in Loop: Header=BB96_7 Depth=1
	ds_load_2addr_b64 v[14:17], v31 offset1:16
	s_waitcnt lgkmcnt(0)
	v_cmp_lt_i64_e32 vcc_lo, v[16:17], v[14:15]
	v_dual_cndmask_b32 v15, v15, v17 :: v_dual_cndmask_b32 v14, v14, v16
	ds_store_b64 v31, v[14:15]
.LBB96_34:                              ;   in Loop: Header=BB96_7 Depth=1
	;; [unrolled: 13-line block ×5, first 2 shown]
	s_or_b32 exec_lo, exec_lo, s11
	s_waitcnt lgkmcnt(0)
	s_barrier
	buffer_gl0_inv
	s_and_saveexec_b32 s11, s8
	s_cbranch_execz .LBB96_6
; %bb.41:                               ;   in Loop: Header=BB96_7 Depth=1
	ds_load_b128 v[14:17], v3
	s_waitcnt lgkmcnt(0)
	v_cmp_lt_i64_e32 vcc_lo, v[16:17], v[14:15]
	v_dual_cndmask_b32 v15, v15, v17 :: v_dual_cndmask_b32 v14, v14, v16
	ds_store_b64 v3, v[14:15]
	s_branch .LBB96_6
.LBB96_42:                              ;   in Loop: Header=BB96_7 Depth=1
	ds_load_b64 v[20:21], v32
	v_add_co_u32 v34, vcc_lo, v4, v6
	v_add_co_ci_u32_e32 v35, vcc_lo, v16, v7, vcc_lo
	s_delay_alu instid0(VALU_DEP_2) | instskip(NEXT) | instid1(VALU_DEP_2)
	v_cndmask_b32_e64 v34, v34, v17, s0
	v_cndmask_b32_e64 v35, v35, v19, s0
	s_waitcnt lgkmcnt(0)
	global_store_b64 v[34:35], v[20:21], off
	s_or_b32 exec_lo, exec_lo, s9
	s_and_saveexec_b32 s9, s34
	s_cbranch_execz .LBB96_22
.LBB96_43:                              ;   in Loop: Header=BB96_7 Depth=1
	ds_load_b64 v[20:21], v32 offset:64
	v_add_co_u32 v34, vcc_lo, v17, 64
	v_add_co_ci_u32_e32 v35, vcc_lo, 0, v19, vcc_lo
	v_add_co_u32 v36, vcc_lo, v4, v8
	v_add_co_ci_u32_e32 v37, vcc_lo, v16, v9, vcc_lo
	s_delay_alu instid0(VALU_DEP_2) | instskip(NEXT) | instid1(VALU_DEP_2)
	v_cndmask_b32_e64 v34, v36, v34, s0
	v_cndmask_b32_e64 v35, v37, v35, s0
	s_waitcnt lgkmcnt(0)
	global_store_b64 v[34:35], v[20:21], off
	s_or_b32 exec_lo, exec_lo, s9
	s_and_saveexec_b32 s9, s35
	s_cbranch_execz .LBB96_23
.LBB96_44:                              ;   in Loop: Header=BB96_7 Depth=1
	ds_load_b64 v[20:21], v32 offset:128
	v_add_co_u32 v34, vcc_lo, 0x80, v17
	v_add_co_ci_u32_e32 v35, vcc_lo, 0, v19, vcc_lo
	v_add_co_u32 v36, vcc_lo, v4, v10
	v_add_co_ci_u32_e32 v37, vcc_lo, v16, v11, vcc_lo
	s_delay_alu instid0(VALU_DEP_2) | instskip(NEXT) | instid1(VALU_DEP_2)
	v_cndmask_b32_e64 v34, v36, v34, s0
	v_cndmask_b32_e64 v35, v37, v35, s0
	s_waitcnt lgkmcnt(0)
	global_store_b64 v[34:35], v[20:21], off
	s_or_b32 exec_lo, exec_lo, s9
	s_and_saveexec_b32 s9, s36
	s_cbranch_execnz .LBB96_24
	s_branch .LBB96_25
.LBB96_45:
	s_endpgm
	.section	.rodata,"a",@progbits
	.p2align	6, 0x0
	.amdhsa_kernel _ZN9rocsparseL38csr2bsr_block_per_row_multipass_kernelILj256ELj32E21rocsparse_complex_numIfEilEEv20rocsparse_direction_T3_S4_S4_S4_S4_21rocsparse_index_base_PKT1_PKT2_PKS4_S5_PS6_PS9_PS4_
		.amdhsa_group_segment_fixed_size 8196
		.amdhsa_private_segment_fixed_size 0
		.amdhsa_kernarg_size 112
		.amdhsa_user_sgpr_count 15
		.amdhsa_user_sgpr_dispatch_ptr 0
		.amdhsa_user_sgpr_queue_ptr 0
		.amdhsa_user_sgpr_kernarg_segment_ptr 1
		.amdhsa_user_sgpr_dispatch_id 0
		.amdhsa_user_sgpr_private_segment_size 0
		.amdhsa_wavefront_size32 1
		.amdhsa_uses_dynamic_stack 0
		.amdhsa_enable_private_segment 0
		.amdhsa_system_sgpr_workgroup_id_x 1
		.amdhsa_system_sgpr_workgroup_id_y 0
		.amdhsa_system_sgpr_workgroup_id_z 0
		.amdhsa_system_sgpr_workgroup_info 0
		.amdhsa_system_vgpr_workitem_id 0
		.amdhsa_next_free_vgpr 45
		.amdhsa_next_free_sgpr 40
		.amdhsa_reserve_vcc 1
		.amdhsa_float_round_mode_32 0
		.amdhsa_float_round_mode_16_64 0
		.amdhsa_float_denorm_mode_32 3
		.amdhsa_float_denorm_mode_16_64 3
		.amdhsa_dx10_clamp 1
		.amdhsa_ieee_mode 1
		.amdhsa_fp16_overflow 0
		.amdhsa_workgroup_processor_mode 1
		.amdhsa_memory_ordered 1
		.amdhsa_forward_progress 0
		.amdhsa_shared_vgpr_count 0
		.amdhsa_exception_fp_ieee_invalid_op 0
		.amdhsa_exception_fp_denorm_src 0
		.amdhsa_exception_fp_ieee_div_zero 0
		.amdhsa_exception_fp_ieee_overflow 0
		.amdhsa_exception_fp_ieee_underflow 0
		.amdhsa_exception_fp_ieee_inexact 0
		.amdhsa_exception_int_div_zero 0
	.end_amdhsa_kernel
	.section	.text._ZN9rocsparseL38csr2bsr_block_per_row_multipass_kernelILj256ELj32E21rocsparse_complex_numIfEilEEv20rocsparse_direction_T3_S4_S4_S4_S4_21rocsparse_index_base_PKT1_PKT2_PKS4_S5_PS6_PS9_PS4_,"axG",@progbits,_ZN9rocsparseL38csr2bsr_block_per_row_multipass_kernelILj256ELj32E21rocsparse_complex_numIfEilEEv20rocsparse_direction_T3_S4_S4_S4_S4_21rocsparse_index_base_PKT1_PKT2_PKS4_S5_PS6_PS9_PS4_,comdat
.Lfunc_end96:
	.size	_ZN9rocsparseL38csr2bsr_block_per_row_multipass_kernelILj256ELj32E21rocsparse_complex_numIfEilEEv20rocsparse_direction_T3_S4_S4_S4_S4_21rocsparse_index_base_PKT1_PKT2_PKS4_S5_PS6_PS9_PS4_, .Lfunc_end96-_ZN9rocsparseL38csr2bsr_block_per_row_multipass_kernelILj256ELj32E21rocsparse_complex_numIfEilEEv20rocsparse_direction_T3_S4_S4_S4_S4_21rocsparse_index_base_PKT1_PKT2_PKS4_S5_PS6_PS9_PS4_
                                        ; -- End function
	.section	.AMDGPU.csdata,"",@progbits
; Kernel info:
; codeLenInByte = 3352
; NumSgprs: 42
; NumVgprs: 45
; ScratchSize: 0
; MemoryBound: 0
; FloatMode: 240
; IeeeMode: 1
; LDSByteSize: 8196 bytes/workgroup (compile time only)
; SGPRBlocks: 5
; VGPRBlocks: 5
; NumSGPRsForWavesPerEU: 42
; NumVGPRsForWavesPerEU: 45
; Occupancy: 16
; WaveLimiterHint : 1
; COMPUTE_PGM_RSRC2:SCRATCH_EN: 0
; COMPUTE_PGM_RSRC2:USER_SGPR: 15
; COMPUTE_PGM_RSRC2:TRAP_HANDLER: 0
; COMPUTE_PGM_RSRC2:TGID_X_EN: 1
; COMPUTE_PGM_RSRC2:TGID_Y_EN: 0
; COMPUTE_PGM_RSRC2:TGID_Z_EN: 0
; COMPUTE_PGM_RSRC2:TIDIG_COMP_CNT: 0
	.section	.text._ZN9rocsparseL38csr2bsr_block_per_row_multipass_kernelILj256ELj64E21rocsparse_complex_numIfEilEEv20rocsparse_direction_T3_S4_S4_S4_S4_21rocsparse_index_base_PKT1_PKT2_PKS4_S5_PS6_PS9_PS4_,"axG",@progbits,_ZN9rocsparseL38csr2bsr_block_per_row_multipass_kernelILj256ELj64E21rocsparse_complex_numIfEilEEv20rocsparse_direction_T3_S4_S4_S4_S4_21rocsparse_index_base_PKT1_PKT2_PKS4_S5_PS6_PS9_PS4_,comdat
	.globl	_ZN9rocsparseL38csr2bsr_block_per_row_multipass_kernelILj256ELj64E21rocsparse_complex_numIfEilEEv20rocsparse_direction_T3_S4_S4_S4_S4_21rocsparse_index_base_PKT1_PKT2_PKS4_S5_PS6_PS9_PS4_ ; -- Begin function _ZN9rocsparseL38csr2bsr_block_per_row_multipass_kernelILj256ELj64E21rocsparse_complex_numIfEilEEv20rocsparse_direction_T3_S4_S4_S4_S4_21rocsparse_index_base_PKT1_PKT2_PKS4_S5_PS6_PS9_PS4_
	.p2align	8
	.type	_ZN9rocsparseL38csr2bsr_block_per_row_multipass_kernelILj256ELj64E21rocsparse_complex_numIfEilEEv20rocsparse_direction_T3_S4_S4_S4_S4_21rocsparse_index_base_PKT1_PKT2_PKS4_S5_PS6_PS9_PS4_,@function
_ZN9rocsparseL38csr2bsr_block_per_row_multipass_kernelILj256ELj64E21rocsparse_complex_numIfEilEEv20rocsparse_direction_T3_S4_S4_S4_S4_21rocsparse_index_base_PKT1_PKT2_PKS4_S5_PS6_PS9_PS4_: ; @_ZN9rocsparseL38csr2bsr_block_per_row_multipass_kernelILj256ELj64E21rocsparse_complex_numIfEilEEv20rocsparse_direction_T3_S4_S4_S4_S4_21rocsparse_index_base_PKT1_PKT2_PKS4_S5_PS6_PS9_PS4_
; %bb.0:
	s_mov_b32 s2, s15
	s_clause 0x1
	s_load_b128 s[12:15], s[0:1], 0x20
	s_load_b64 s[6:7], s[0:1], 0x8
	v_mov_b32_e32 v2, 0
	v_lshrrev_b32_e32 v1, 2, v0
	s_clause 0x1
	s_load_b32 s28, s[0:1], 0x30
	s_load_b64 s[4:5], s[0:1], 0x40
	s_ashr_i32 s3, s2, 31
	v_mov_b32_e32 v42, v2
	s_waitcnt lgkmcnt(0)
	v_mad_u64_u32 v[3:4], null, s2, s14, v[1:2]
	s_mul_i32 s8, s2, s15
	s_mul_i32 s9, s3, s14
	s_delay_alu instid0(VALU_DEP_1) | instid1(SALU_CYCLE_1)
	v_add3_u32 v4, s8, s9, v4
	v_cmp_gt_i64_e64 s9, s[14:15], v[1:2]
	s_delay_alu instid0(VALU_DEP_2) | instskip(NEXT) | instid1(VALU_DEP_2)
	v_cmp_gt_i64_e32 vcc_lo, s[6:7], v[3:4]
	s_and_b32 s6, s9, vcc_lo
	s_delay_alu instid0(SALU_CYCLE_1)
	s_and_saveexec_b32 s7, s6
	s_cbranch_execnz .LBB97_3
; %bb.1:
	s_or_b32 exec_lo, exec_lo, s7
	s_and_saveexec_b32 s7, s6
	s_cbranch_execnz .LBB97_4
.LBB97_2:
	s_or_b32 exec_lo, exec_lo, s7
	v_cmp_lt_i64_e64 s4, s[12:13], 1
	s_delay_alu instid0(VALU_DEP_1)
	s_and_b32 vcc_lo, exec_lo, s4
	s_cbranch_vccz .LBB97_5
	s_branch .LBB97_69
.LBB97_3:
	v_lshlrev_b64 v[5:6], 2, v[3:4]
	s_delay_alu instid0(VALU_DEP_1) | instskip(NEXT) | instid1(VALU_DEP_2)
	v_add_co_u32 v5, vcc_lo, s4, v5
	v_add_co_ci_u32_e32 v6, vcc_lo, s5, v6, vcc_lo
	global_load_b32 v5, v[5:6], off
	s_waitcnt vmcnt(0)
	v_subrev_nc_u32_e32 v42, s28, v5
	s_or_b32 exec_lo, exec_lo, s7
	s_and_saveexec_b32 s7, s6
	s_cbranch_execz .LBB97_2
.LBB97_4:
	v_lshlrev_b64 v[2:3], 2, v[3:4]
	s_delay_alu instid0(VALU_DEP_1) | instskip(NEXT) | instid1(VALU_DEP_2)
	v_add_co_u32 v2, vcc_lo, s4, v2
	v_add_co_ci_u32_e32 v3, vcc_lo, s5, v3, vcc_lo
	global_load_b32 v2, v[2:3], off offset:4
	s_waitcnt vmcnt(0)
	v_subrev_nc_u32_e32 v2, s28, v2
	s_or_b32 exec_lo, exec_lo, s7
	v_cmp_lt_i64_e64 s4, s[12:13], 1
	s_delay_alu instid0(VALU_DEP_1)
	s_and_b32 vcc_lo, exec_lo, s4
	s_cbranch_vccnz .LBB97_69
.LBB97_5:
	s_clause 0x1
	s_load_b128 s[4:7], s[0:1], 0x58
	s_load_b64 s[16:17], s[0:1], 0x68
	v_mad_u64_u32 v[6:7], null, v1, s14, 0
	s_mul_i32 s8, s14, s15
	s_mul_hi_u32 s10, s14, s14
	s_clause 0x3
	s_load_b32 s30, s[0:1], 0x50
	s_load_b64 s[18:19], s[0:1], 0x48
	s_load_b64 s[20:21], s[0:1], 0x38
	s_load_b32 s11, s[0:1], 0x0
	s_add_i32 s10, s10, s8
	s_lshl_b64 s[0:1], s[2:3], 2
	v_mbcnt_lo_u32_b32 v10, -1, 0
	s_add_i32 s31, s10, s8
	v_dual_mov_b32 v4, v7 :: v_dual_lshlrev_b32 v9, 3, v1
	v_dual_mov_b32 v3, 0 :: v_dual_lshlrev_b32 v46, 6, v1
	s_delay_alu instid0(VALU_DEP_3) | instskip(SKIP_1) | instid1(VALU_DEP_4)
	v_xor_b32_e32 v11, 2, v10
	v_lshl_or_b32 v47, v10, 2, 12
	v_mad_u64_u32 v[7:8], null, v1, s15, v[4:5]
	v_xor_b32_e32 v4, 1, v10
	s_waitcnt lgkmcnt(0)
	s_add_u32 s0, s6, s0
	s_addc_u32 s1, s7, s1
	v_cmp_gt_i32_e32 vcc_lo, 32, v11
	s_load_b32 s0, s[0:1], 0x0
	v_and_b32_e32 v5, 3, v0
	v_lshlrev_b64 v[6:7], 3, v[6:7]
	v_dual_cndmask_b32 v1, v10, v11 :: v_dual_lshlrev_b32 v54, 3, v0
	v_cmp_gt_i32_e32 vcc_lo, 32, v4
	v_cmp_gt_u32_e64 s1, 0x80, v0
	v_cmp_gt_u32_e64 s2, 64, v0
	;; [unrolled: 1-line block ×3, first 2 shown]
	v_lshlrev_b32_e32 v48, 2, v1
	v_cndmask_b32_e32 v4, v10, v4, vcc_lo
	v_add_co_u32 v1, vcc_lo, s4, v6
	v_mov_b32_e32 v6, v3
	v_lshlrev_b32_e32 v8, 3, v5
	v_cmp_gt_u32_e64 s6, 4, v0
	v_cmp_gt_u32_e64 s7, 2, v0
	v_cmp_eq_u32_e64 s8, 0, v0
	v_or_b32_e32 v38, 60, v5
	s_mov_b32 s24, 0
	s_waitcnt lgkmcnt(0)
	s_sub_i32 s22, s0, s30
	v_add_co_u32 v50, s0, s4, v9
	v_mad_u64_u32 v[9:10], null, v5, s14, 0
	v_lshlrev_b32_e32 v49, 2, v4
	v_add_co_ci_u32_e32 v4, vcc_lo, s5, v7, vcc_lo
	v_or_b32_e32 v7, 4, v5
	v_add_co_u32 v52, vcc_lo, v1, v8
	v_or_b32_e32 v1, v46, v5
	v_add_co_ci_u32_e64 v51, null, s5, 0, s0
	s_delay_alu instid0(VALU_DEP_4)
	v_mad_u64_u32 v[11:12], null, v7, s14, 0
	v_cmp_gt_u32_e64 s4, 16, v0
	v_cmp_gt_u32_e64 s5, 8, v0
	v_dual_mov_b32 v0, v10 :: v_dual_lshlrev_b32 v55, 3, v1
	v_add_co_ci_u32_e32 v53, vcc_lo, 0, v4, vcc_lo
	v_mov_b32_e32 v1, v12
	v_cmp_gt_i64_e32 vcc_lo, s[14:15], v[5:6]
	v_or_b32_e32 v6, 12, v5
	s_cmp_eq_u32 s11, 0
	v_mad_u64_u32 v[43:44], null, v38, s14, 0
	v_mad_u64_u32 v[12:13], null, v5, s15, v[0:1]
	v_or_b32_e32 v0, 8, v5
	v_mad_u64_u32 v[13:14], null, v7, s15, v[1:2]
	v_mad_u64_u32 v[16:17], null, v6, s14, 0
	s_delay_alu instid0(VALU_DEP_3)
	v_mad_u64_u32 v[14:15], null, v0, s14, 0
	v_mov_b32_e32 v8, v3
	v_mov_b32_e32 v1, v3
	s_cselect_b32 s0, -1, 0
	s_and_b32 s33, s9, vcc_lo
	v_mov_b32_e32 v10, v12
	v_mov_b32_e32 v12, v13
	;; [unrolled: 1-line block ×3, first 2 shown]
	v_cmp_gt_i64_e32 vcc_lo, s[14:15], v[0:1]
	v_mov_b32_e32 v1, v17
	v_cmp_gt_i64_e64 s10, s[14:15], v[7:8]
	v_mov_b32_e32 v7, v3
	v_mad_u64_u32 v[17:18], null, v0, s15, v[4:5]
	v_or_b32_e32 v0, 16, v5
	s_and_b32 s35, s9, vcc_lo
	s_delay_alu instid0(VALU_DEP_4) | instskip(SKIP_2) | instid1(VALU_DEP_4)
	s_and_b32 s34, s9, s10
	v_cmp_gt_i64_e64 s10, s[14:15], v[6:7]
	v_mad_u64_u32 v[7:8], null, v6, s15, v[1:2]
	v_mov_b32_e32 v15, v17
	v_or_b32_e32 v6, 20, v5
	v_mad_u64_u32 v[18:19], null, v0, s14, 0
	v_mov_b32_e32 v1, v3
	s_and_b32 s36, s9, s10
	s_delay_alu instid0(VALU_DEP_3)
	v_mad_u64_u32 v[20:21], null, v6, s14, 0
	v_mov_b32_e32 v17, v7
	v_mov_b32_e32 v7, v3
	;; [unrolled: 1-line block ×3, first 2 shown]
	v_cmp_gt_i64_e32 vcc_lo, s[14:15], v[0:1]
	s_mov_b32 s25, s24
	v_mov_b32_e32 v39, v3
	v_mov_b32_e32 v1, v21
	v_mad_u64_u32 v[21:22], null, v0, s15, v[4:5]
	v_or_b32_e32 v0, 24, v5
	v_cmp_gt_i64_e64 s10, s[14:15], v[6:7]
	s_delay_alu instid0(VALU_DEP_4) | instskip(SKIP_1) | instid1(VALU_DEP_4)
	v_mad_u64_u32 v[7:8], null, v6, s15, v[1:2]
	v_or_b32_e32 v6, 28, v5
	v_mad_u64_u32 v[22:23], null, v0, s14, 0
	v_mov_b32_e32 v19, v21
	v_mov_b32_e32 v1, v3
	s_delay_alu instid0(VALU_DEP_4)
	v_mad_u64_u32 v[24:25], null, v6, s14, 0
	s_and_b32 s37, s9, vcc_lo
	v_mov_b32_e32 v21, v7
	v_mov_b32_e32 v4, v23
	v_cmp_gt_i64_e32 vcc_lo, s[14:15], v[0:1]
	v_mov_b32_e32 v7, v3
	s_and_b32 s38, s9, s10
	v_mov_b32_e32 v1, v25
	v_mad_u64_u32 v[25:26], null, v0, s15, v[4:5]
	v_or_b32_e32 v0, 32, v5
	v_cmp_gt_i64_e64 s10, s[14:15], v[6:7]
	s_and_b32 s39, s9, vcc_lo
	s_mul_i32 s29, s14, s14
	s_delay_alu instid0(VALU_DEP_2) | instskip(NEXT) | instid1(VALU_DEP_2)
	v_mad_u64_u32 v[26:27], null, v0, s14, 0
	s_and_b32 s40, s9, s10
	s_delay_alu instid0(VALU_DEP_1) | instskip(SKIP_3) | instid1(VALU_DEP_2)
	v_mov_b32_e32 v4, v27
	v_mad_u64_u32 v[7:8], null, v6, s15, v[1:2]
	v_or_b32_e32 v6, 36, v5
	v_mov_b32_e32 v1, v3
	v_mad_u64_u32 v[28:29], null, v6, s14, 0
	s_delay_alu instid0(VALU_DEP_2) | instskip(NEXT) | instid1(VALU_DEP_2)
	v_cmp_gt_i64_e32 vcc_lo, s[14:15], v[0:1]
	v_mov_b32_e32 v1, v29
	v_mad_u64_u32 v[29:30], null, v0, s15, v[4:5]
	v_or_b32_e32 v0, 40, v5
	s_and_b32 s41, s9, vcc_lo
	s_delay_alu instid0(VALU_DEP_1) | instskip(SKIP_3) | instid1(VALU_DEP_4)
	v_mad_u64_u32 v[30:31], null, v0, s14, 0
	v_mov_b32_e32 v23, v25
	v_mov_b32_e32 v25, v7
	;; [unrolled: 1-line block ×4, first 2 shown]
	s_delay_alu instid0(VALU_DEP_2)
	v_cmp_gt_i64_e64 s10, s[14:15], v[6:7]
	v_mad_u64_u32 v[7:8], null, v6, s15, v[1:2]
	v_or_b32_e32 v6, 44, v5
	v_mov_b32_e32 v1, v3
	v_mad_u64_u32 v[34:35], null, v0, s15, v[4:5]
	s_and_b32 s42, s9, s10
	s_delay_alu instid0(VALU_DEP_3) | instskip(NEXT) | instid1(VALU_DEP_3)
	v_mad_u64_u32 v[32:33], null, v6, s14, 0
	v_cmp_gt_i64_e32 vcc_lo, s[14:15], v[0:1]
	s_delay_alu instid0(VALU_DEP_3) | instskip(NEXT) | instid1(VALU_DEP_3)
	v_dual_mov_b32 v8, v3 :: v_dual_mov_b32 v31, v34
	v_mov_b32_e32 v0, v33
	s_and_b32 s43, s9, vcc_lo
	s_delay_alu instid0(VALU_DEP_1) | instskip(SKIP_1) | instid1(VALU_DEP_2)
	v_mad_u64_u32 v[35:36], null, v6, s15, v[0:1]
	v_or_b32_e32 v0, 52, v5
	v_mov_b32_e32 v33, v35
	s_delay_alu instid0(VALU_DEP_2) | instskip(SKIP_3) | instid1(VALU_DEP_1)
	v_mad_u64_u32 v[34:35], null, v0, s14, 0
	v_mov_b32_e32 v27, v29
	v_mov_b32_e32 v29, v7
	;; [unrolled: 1-line block ×3, first 2 shown]
	v_cmp_gt_i64_e64 s10, s[14:15], v[6:7]
	v_or_b32_e32 v7, 48, v5
	v_or_b32_e32 v6, 56, v5
	s_delay_alu instid0(VALU_DEP_2) | instskip(NEXT) | instid1(VALU_DEP_2)
	v_mad_u64_u32 v[36:37], null, v7, s14, 0
	v_mad_u64_u32 v[40:41], null, v6, s14, 0
	v_cmp_gt_i64_e32 vcc_lo, s[14:15], v[7:8]
	v_mov_b32_e32 v8, v35
	s_and_b32 s44, s9, s10
	v_cmp_gt_i64_e64 s10, s[14:15], v[38:39]
	v_mov_b32_e32 v4, v37
	s_and_b32 s45, s9, vcc_lo
	v_cmp_gt_i64_e32 vcc_lo, s[14:15], v[0:1]
	v_mov_b32_e32 v1, v41
	s_delay_alu instid0(VALU_DEP_3) | instskip(SKIP_4) | instid1(VALU_DEP_4)
	v_mad_u64_u32 v[56:57], null, v7, s15, v[4:5]
	v_cvt_f32_u32_e32 v4, s14
	v_mad_u64_u32 v[57:58], null, v0, s15, v[8:9]
	v_mov_b32_e32 v0, v44
	v_mad_u64_u32 v[44:45], null, v6, s15, v[1:2]
	v_rcp_iflag_f32_e32 v4, v4
	v_mov_b32_e32 v7, v3
	s_delay_alu instid0(VALU_DEP_3)
	v_mad_u64_u32 v[58:59], null, v38, s15, v[0:1]
	v_mov_b32_e32 v37, v56
	v_mov_b32_e32 v35, v57
	;; [unrolled: 1-line block ×3, first 2 shown]
	s_and_b32 s46, s9, vcc_lo
	v_cmp_gt_i64_e32 vcc_lo, s[14:15], v[6:7]
	v_mov_b32_e32 v0, s24
	v_mov_b32_e32 v44, v58
	v_mul_f32_e32 v4, 0x4f7ffffe, v4
	v_lshlrev_b64 v[6:7], 3, v[9:10]
	v_lshlrev_b64 v[8:9], 3, v[11:12]
	v_lshlrev_b64 v[10:11], 3, v[14:15]
	v_lshlrev_b64 v[12:13], 3, v[16:17]
	v_lshlrev_b64 v[14:15], 3, v[18:19]
	v_lshlrev_b64 v[16:17], 3, v[20:21]
	v_lshlrev_b64 v[18:19], 3, v[22:23]
	v_lshlrev_b64 v[20:21], 3, v[24:25]
	v_lshlrev_b64 v[22:23], 3, v[26:27]
	v_lshlrev_b64 v[24:25], 3, v[28:29]
	v_lshlrev_b64 v[26:27], 3, v[30:31]
	v_lshlrev_b64 v[28:29], 3, v[32:33]
	v_lshlrev_b64 v[30:31], 3, v[36:37]
	v_lshlrev_b64 v[32:33], 3, v[34:35]
	v_lshlrev_b64 v[34:35], 3, v[40:41]
	v_lshlrev_b64 v[36:37], 3, v[43:44]
	v_mov_b32_e32 v1, s25
	v_cvt_u32_f32_e32 v56, v4
	v_dual_mov_b32 v57, 1 :: v_dual_mov_b32 v40, 0
	s_and_b32 s47, s9, vcc_lo
	s_and_b32 s48, s9, s10
	s_mov_b64 s[10:11], 0
	s_branch .LBB97_7
.LBB97_6:                               ;   in Loop: Header=BB97_7 Depth=1
	s_or_b32 exec_lo, exec_lo, s10
	s_waitcnt lgkmcnt(0)
	s_barrier
	buffer_gl0_inv
	ds_load_b64 v[40:41], v3
	s_add_i32 s22, s9, s22
	s_waitcnt lgkmcnt(0)
	s_barrier
	buffer_gl0_inv
	v_readfirstlane_b32 s10, v40
	v_readfirstlane_b32 s11, v41
	s_delay_alu instid0(VALU_DEP_1) | instskip(NEXT) | instid1(SALU_CYCLE_1)
	s_bfe_i64 s[10:11], s[10:11], 0x200000
	v_cmp_lt_i64_e64 s23, s[10:11], s[12:13]
	s_delay_alu instid0(VALU_DEP_1)
	s_and_b32 vcc_lo, exec_lo, s23
	s_cbranch_vccz .LBB97_69
.LBB97_7:                               ; =>This Loop Header: Depth=1
                                        ;     Child Loop BB97_10 Depth 2
	v_dual_mov_b32 v39, s13 :: v_dual_mov_b32 v4, v2
	v_dual_mov_b32 v38, s12 :: v_dual_add_nc_u32 v41, v42, v5
	s_mov_b32 s23, exec_lo
	ds_store_b8 v3, v3 offset:32768
	ds_store_2addr_b64 v55, v[0:1], v[0:1] offset1:4
	ds_store_2addr_b64 v55, v[0:1], v[0:1] offset0:8 offset1:12
	ds_store_2addr_b64 v55, v[0:1], v[0:1] offset0:16 offset1:20
	;; [unrolled: 1-line block ×7, first 2 shown]
	s_waitcnt lgkmcnt(0)
	s_barrier
	buffer_gl0_inv
	v_cmpx_lt_i32_e64 v41, v2
	s_cbranch_execz .LBB97_19
; %bb.8:                                ;   in Loop: Header=BB97_7 Depth=1
	v_dual_mov_b32 v39, s13 :: v_dual_mov_b32 v38, s12
	v_mov_b32_e32 v58, v2
	s_mul_i32 s50, s10, s14
	s_mov_b32 s49, 0
	s_branch .LBB97_10
.LBB97_9:                               ;   in Loop: Header=BB97_10 Depth=2
	s_or_b32 exec_lo, exec_lo, s24
	s_delay_alu instid0(VALU_DEP_1) | instskip(SKIP_1) | instid1(VALU_DEP_1)
	v_dual_mov_b32 v58, v4 :: v_dual_add_nc_u32 v41, 4, v41
	s_xor_b32 s24, vcc_lo, -1
	v_cmp_ge_i32_e64 s9, v41, v2
	s_delay_alu instid0(VALU_DEP_1) | instskip(NEXT) | instid1(SALU_CYCLE_1)
	s_or_b32 s9, s24, s9
	s_and_b32 s9, exec_lo, s9
	s_delay_alu instid0(SALU_CYCLE_1) | instskip(NEXT) | instid1(SALU_CYCLE_1)
	s_or_b32 s49, s9, s49
	s_and_not1_b32 exec_lo, exec_lo, s49
	s_cbranch_execz .LBB97_18
.LBB97_10:                              ;   Parent Loop BB97_7 Depth=1
                                        ; =>  This Inner Loop Header: Depth=2
	v_ashrrev_i32_e32 v42, 31, v41
	s_mov_b32 s9, exec_lo
	s_delay_alu instid0(VALU_DEP_1) | instskip(NEXT) | instid1(VALU_DEP_1)
	v_lshlrev_b64 v[42:43], 3, v[41:42]
	v_add_co_u32 v44, vcc_lo, s18, v42
	s_delay_alu instid0(VALU_DEP_2) | instskip(SKIP_4) | instid1(VALU_DEP_1)
	v_add_co_ci_u32_e32 v45, vcc_lo, s19, v43, vcc_lo
	global_load_b64 v[44:45], v[44:45], off
	s_waitcnt vmcnt(0)
	v_sub_co_u32 v59, vcc_lo, v44, s28
	v_subrev_co_ci_u32_e32 v60, vcc_lo, 0, v45, vcc_lo
                                        ; implicit-def: $vgpr44_vgpr45
	v_or_b32_e32 v4, s15, v60
	s_delay_alu instid0(VALU_DEP_1)
	v_cmpx_ne_u64_e32 0, v[3:4]
	s_xor_b32 s51, exec_lo, s9
	s_cbranch_execz .LBB97_12
; %bb.11:                               ;   in Loop: Header=BB97_10 Depth=2
	s_ashr_i32 s24, s15, 31
	s_delay_alu instid0(SALU_CYCLE_1) | instskip(SKIP_2) | instid1(SALU_CYCLE_1)
	s_add_u32 s26, s14, s24
	s_mov_b32 s25, s24
	s_addc_u32 s27, s15, s24
	s_xor_b64 s[26:27], s[26:27], s[24:25]
	s_delay_alu instid0(SALU_CYCLE_1) | instskip(SKIP_3) | instid1(VALU_DEP_1)
	v_cvt_f32_u32_e32 v4, s26
	v_cvt_f32_u32_e32 v44, s27
	s_sub_u32 s9, 0, s26
	s_subb_u32 s25, 0, s27
	v_fmac_f32_e32 v4, 0x4f800000, v44
	s_delay_alu instid0(VALU_DEP_1) | instskip(SKIP_2) | instid1(VALU_DEP_1)
	v_rcp_f32_e32 v4, v4
	s_waitcnt_depctr 0xfff
	v_mul_f32_e32 v4, 0x5f7ffffc, v4
	v_mul_f32_e32 v44, 0x2f800000, v4
	s_delay_alu instid0(VALU_DEP_1) | instskip(NEXT) | instid1(VALU_DEP_1)
	v_trunc_f32_e32 v44, v44
	v_fmac_f32_e32 v4, 0xcf800000, v44
	v_cvt_u32_f32_e32 v44, v44
	s_delay_alu instid0(VALU_DEP_2) | instskip(NEXT) | instid1(VALU_DEP_2)
	v_cvt_u32_f32_e32 v4, v4
	v_mul_lo_u32 v45, s9, v44
	s_delay_alu instid0(VALU_DEP_2) | instskip(SKIP_1) | instid1(VALU_DEP_2)
	v_mul_hi_u32 v61, s9, v4
	v_mul_lo_u32 v62, s25, v4
	v_add_nc_u32_e32 v45, v61, v45
	v_mul_lo_u32 v61, s9, v4
	s_delay_alu instid0(VALU_DEP_2) | instskip(NEXT) | instid1(VALU_DEP_2)
	v_add_nc_u32_e32 v45, v45, v62
	v_mul_hi_u32 v62, v4, v61
	s_delay_alu instid0(VALU_DEP_2)
	v_mul_lo_u32 v63, v4, v45
	v_mul_hi_u32 v64, v4, v45
	v_mul_hi_u32 v65, v44, v61
	v_mul_lo_u32 v61, v44, v61
	v_mul_hi_u32 v66, v44, v45
	v_mul_lo_u32 v45, v44, v45
	v_add_co_u32 v62, vcc_lo, v62, v63
	v_add_co_ci_u32_e32 v63, vcc_lo, 0, v64, vcc_lo
	s_delay_alu instid0(VALU_DEP_2) | instskip(NEXT) | instid1(VALU_DEP_2)
	v_add_co_u32 v61, vcc_lo, v62, v61
	v_add_co_ci_u32_e32 v61, vcc_lo, v63, v65, vcc_lo
	v_add_co_ci_u32_e32 v62, vcc_lo, 0, v66, vcc_lo
	v_ashrrev_i32_e32 v65, 31, v60
	s_delay_alu instid0(VALU_DEP_3) | instskip(NEXT) | instid1(VALU_DEP_3)
	v_add_co_u32 v45, vcc_lo, v61, v45
	v_add_co_ci_u32_e32 v61, vcc_lo, 0, v62, vcc_lo
	s_delay_alu instid0(VALU_DEP_2) | instskip(NEXT) | instid1(VALU_DEP_2)
	v_add_co_u32 v4, vcc_lo, v4, v45
	v_add_co_ci_u32_e32 v44, vcc_lo, v44, v61, vcc_lo
	s_delay_alu instid0(VALU_DEP_2) | instskip(SKIP_1) | instid1(VALU_DEP_3)
	v_mul_hi_u32 v45, s9, v4
	v_mul_lo_u32 v62, s25, v4
	v_mul_lo_u32 v61, s9, v44
	s_delay_alu instid0(VALU_DEP_1) | instskip(SKIP_1) | instid1(VALU_DEP_2)
	v_add_nc_u32_e32 v45, v45, v61
	v_mul_lo_u32 v61, s9, v4
	v_add_nc_u32_e32 v45, v45, v62
	s_delay_alu instid0(VALU_DEP_2) | instskip(NEXT) | instid1(VALU_DEP_2)
	v_mul_hi_u32 v62, v4, v61
	v_mul_lo_u32 v63, v4, v45
	v_mul_hi_u32 v64, v4, v45
	v_mul_hi_u32 v66, v44, v61
	v_mul_lo_u32 v61, v44, v61
	v_mul_hi_u32 v67, v44, v45
	v_mul_lo_u32 v45, v44, v45
	v_add_co_u32 v62, vcc_lo, v62, v63
	v_add_co_ci_u32_e32 v63, vcc_lo, 0, v64, vcc_lo
	s_delay_alu instid0(VALU_DEP_2) | instskip(NEXT) | instid1(VALU_DEP_2)
	v_add_co_u32 v61, vcc_lo, v62, v61
	v_add_co_ci_u32_e32 v61, vcc_lo, v63, v66, vcc_lo
	v_add_co_ci_u32_e32 v62, vcc_lo, 0, v67, vcc_lo
	v_add_co_u32 v63, vcc_lo, v59, v65
	v_add_co_ci_u32_e32 v60, vcc_lo, v60, v65, vcc_lo
	s_delay_alu instid0(VALU_DEP_4) | instskip(NEXT) | instid1(VALU_DEP_4)
	v_add_co_u32 v45, vcc_lo, v61, v45
	v_add_co_ci_u32_e32 v61, vcc_lo, 0, v62, vcc_lo
	s_delay_alu instid0(VALU_DEP_4) | instskip(NEXT) | instid1(VALU_DEP_3)
	v_xor_b32_e32 v64, v63, v65
	v_add_co_u32 v4, vcc_lo, v4, v45
	s_delay_alu instid0(VALU_DEP_3) | instskip(SKIP_1) | instid1(VALU_DEP_3)
	v_add_co_ci_u32_e32 v66, vcc_lo, v44, v61, vcc_lo
	v_xor_b32_e32 v67, v60, v65
	v_mul_hi_u32 v68, v64, v4
	s_delay_alu instid0(VALU_DEP_3) | instskip(NEXT) | instid1(VALU_DEP_3)
	v_mad_u64_u32 v[44:45], null, v64, v66, 0
	v_mad_u64_u32 v[60:61], null, v67, v4, 0
	;; [unrolled: 1-line block ×3, first 2 shown]
	s_delay_alu instid0(VALU_DEP_3) | instskip(NEXT) | instid1(VALU_DEP_4)
	v_add_co_u32 v4, vcc_lo, v68, v44
	v_add_co_ci_u32_e32 v44, vcc_lo, 0, v45, vcc_lo
	s_delay_alu instid0(VALU_DEP_2) | instskip(NEXT) | instid1(VALU_DEP_2)
	v_add_co_u32 v4, vcc_lo, v4, v60
	v_add_co_ci_u32_e32 v4, vcc_lo, v44, v61, vcc_lo
	v_add_co_ci_u32_e32 v44, vcc_lo, 0, v63, vcc_lo
	s_delay_alu instid0(VALU_DEP_2) | instskip(NEXT) | instid1(VALU_DEP_2)
	v_add_co_u32 v4, vcc_lo, v4, v62
	v_add_co_ci_u32_e32 v60, vcc_lo, 0, v44, vcc_lo
	s_delay_alu instid0(VALU_DEP_2) | instskip(SKIP_1) | instid1(VALU_DEP_3)
	v_mul_lo_u32 v61, s27, v4
	v_mad_u64_u32 v[44:45], null, s26, v4, 0
	v_mul_lo_u32 v62, s26, v60
	s_delay_alu instid0(VALU_DEP_2) | instskip(NEXT) | instid1(VALU_DEP_2)
	v_sub_co_u32 v44, vcc_lo, v64, v44
	v_add3_u32 v45, v45, v62, v61
	s_delay_alu instid0(VALU_DEP_1) | instskip(NEXT) | instid1(VALU_DEP_1)
	v_sub_nc_u32_e32 v61, v67, v45
	v_subrev_co_ci_u32_e64 v61, s9, s27, v61, vcc_lo
	v_add_co_u32 v62, s9, v4, 2
	s_delay_alu instid0(VALU_DEP_1) | instskip(SKIP_3) | instid1(VALU_DEP_3)
	v_add_co_ci_u32_e64 v63, s9, 0, v60, s9
	v_sub_co_u32 v64, s9, v44, s26
	v_sub_co_ci_u32_e32 v45, vcc_lo, v67, v45, vcc_lo
	v_subrev_co_ci_u32_e64 v61, s9, 0, v61, s9
	v_cmp_le_u32_e32 vcc_lo, s26, v64
	s_delay_alu instid0(VALU_DEP_3) | instskip(SKIP_1) | instid1(VALU_DEP_4)
	v_cmp_eq_u32_e64 s9, s27, v45
	v_cndmask_b32_e64 v64, 0, -1, vcc_lo
	v_cmp_le_u32_e32 vcc_lo, s27, v61
	v_cndmask_b32_e64 v66, 0, -1, vcc_lo
	v_cmp_le_u32_e32 vcc_lo, s26, v44
	;; [unrolled: 2-line block ×3, first 2 shown]
	v_cndmask_b32_e64 v67, 0, -1, vcc_lo
	v_cmp_eq_u32_e32 vcc_lo, s27, v61
	s_delay_alu instid0(VALU_DEP_2) | instskip(SKIP_3) | instid1(VALU_DEP_3)
	v_cndmask_b32_e64 v44, v67, v44, s9
	v_cndmask_b32_e32 v61, v66, v64, vcc_lo
	v_add_co_u32 v64, vcc_lo, v4, 1
	v_add_co_ci_u32_e32 v66, vcc_lo, 0, v60, vcc_lo
	v_cmp_ne_u32_e32 vcc_lo, 0, v61
	s_delay_alu instid0(VALU_DEP_3) | instskip(NEXT) | instid1(VALU_DEP_3)
	v_cndmask_b32_e32 v61, v64, v62, vcc_lo
	v_cndmask_b32_e32 v45, v66, v63, vcc_lo
	v_cmp_ne_u32_e32 vcc_lo, 0, v44
	v_xor_b32_e32 v62, s24, v65
	s_delay_alu instid0(VALU_DEP_4) | instskip(NEXT) | instid1(VALU_DEP_4)
	v_cndmask_b32_e32 v4, v4, v61, vcc_lo
	v_cndmask_b32_e32 v44, v60, v45, vcc_lo
	s_delay_alu instid0(VALU_DEP_2) | instskip(NEXT) | instid1(VALU_DEP_2)
	v_xor_b32_e32 v4, v4, v62
	v_xor_b32_e32 v45, v44, v62
	s_delay_alu instid0(VALU_DEP_2) | instskip(NEXT) | instid1(VALU_DEP_2)
	v_sub_co_u32 v44, vcc_lo, v4, v62
	v_sub_co_ci_u32_e32 v45, vcc_lo, v45, v62, vcc_lo
.LBB97_12:                              ;   in Loop: Header=BB97_10 Depth=2
	s_and_not1_saveexec_b32 s9, s51
	s_cbranch_execz .LBB97_14
; %bb.13:                               ;   in Loop: Header=BB97_10 Depth=2
	s_sub_i32 s24, 0, s14
	s_delay_alu instid0(SALU_CYCLE_1) | instskip(NEXT) | instid1(VALU_DEP_1)
	v_mul_lo_u32 v4, s24, v56
	v_mul_hi_u32 v4, v56, v4
	s_delay_alu instid0(VALU_DEP_1) | instskip(NEXT) | instid1(VALU_DEP_1)
	v_add_nc_u32_e32 v4, v56, v4
	v_mul_hi_u32 v4, v59, v4
	s_delay_alu instid0(VALU_DEP_1) | instskip(SKIP_1) | instid1(VALU_DEP_2)
	v_mul_lo_u32 v44, v4, s14
	v_add_nc_u32_e32 v45, 1, v4
	v_sub_nc_u32_e32 v44, v59, v44
	s_delay_alu instid0(VALU_DEP_1) | instskip(SKIP_1) | instid1(VALU_DEP_2)
	v_subrev_nc_u32_e32 v60, s14, v44
	v_cmp_le_u32_e32 vcc_lo, s14, v44
	v_cndmask_b32_e32 v44, v44, v60, vcc_lo
	v_cndmask_b32_e32 v4, v4, v45, vcc_lo
	s_delay_alu instid0(VALU_DEP_2) | instskip(NEXT) | instid1(VALU_DEP_2)
	v_cmp_le_u32_e32 vcc_lo, s14, v44
	v_add_nc_u32_e32 v45, 1, v4
	s_delay_alu instid0(VALU_DEP_1)
	v_dual_cndmask_b32 v44, v4, v45 :: v_dual_mov_b32 v45, v3
.LBB97_14:                              ;   in Loop: Header=BB97_10 Depth=2
	s_or_b32 exec_lo, exec_lo, s9
	s_delay_alu instid0(VALU_DEP_1)
	v_cmp_eq_u64_e32 vcc_lo, s[10:11], v[44:45]
	s_mov_b32 s24, exec_lo
	v_cmpx_ne_u64_e64 s[10:11], v[44:45]
	s_xor_b32 s24, exec_lo, s24
; %bb.15:                               ;   in Loop: Header=BB97_10 Depth=2
	v_cmp_lt_i64_e64 s9, v[44:45], v[38:39]
                                        ; implicit-def: $vgpr42_vgpr43
                                        ; implicit-def: $vgpr59
                                        ; implicit-def: $vgpr58
	s_delay_alu instid0(VALU_DEP_1)
	v_cndmask_b32_e64 v39, v39, v45, s9
	v_cndmask_b32_e64 v38, v38, v44, s9
; %bb.16:                               ;   in Loop: Header=BB97_10 Depth=2
	s_or_saveexec_b32 s24, s24
	v_mov_b32_e32 v4, v41
	s_xor_b32 exec_lo, exec_lo, s24
	s_cbranch_execz .LBB97_9
; %bb.17:                               ;   in Loop: Header=BB97_10 Depth=2
	v_add_co_u32 v42, s9, s20, v42
	s_delay_alu instid0(VALU_DEP_1)
	v_add_co_ci_u32_e64 v43, s9, s21, v43, s9
	v_subrev_nc_u32_e32 v4, s50, v59
	global_load_b64 v[42:43], v[42:43], off
	v_add_lshl_u32 v44, v46, v4, 3
	v_mov_b32_e32 v4, v58
	ds_store_b8 v3, v57 offset:32768
	s_waitcnt vmcnt(0)
	ds_store_b64 v44, v[42:43]
	s_branch .LBB97_9
.LBB97_18:                              ;   in Loop: Header=BB97_7 Depth=1
	s_or_b32 exec_lo, exec_lo, s49
.LBB97_19:                              ;   in Loop: Header=BB97_7 Depth=1
	s_delay_alu instid0(SALU_CYCLE_1)
	s_or_b32 exec_lo, exec_lo, s23
	ds_bpermute_b32 v41, v48, v4
	s_waitcnt lgkmcnt(0)
	s_barrier
	buffer_gl0_inv
	ds_load_u8 v43, v3 offset:32768
	s_mov_b32 s9, 0
	v_min_i32_e32 v4, v41, v4
	s_waitcnt lgkmcnt(0)
	v_cmp_eq_u32_e32 vcc_lo, 0, v43
	ds_bpermute_b32 v41, v49, v4
	s_waitcnt lgkmcnt(0)
	v_min_i32_e32 v4, v41, v4
	ds_bpermute_b32 v42, v47, v4
	s_cbranch_vccnz .LBB97_38
; %bb.20:                               ;   in Loop: Header=BB97_7 Depth=1
	s_ashr_i32 s23, s22, 31
	s_mul_hi_u32 s9, s29, s22
	s_lshl_b64 s[10:11], s[22:23], 3
	s_mul_i32 s23, s29, s23
	s_add_u32 s10, s16, s10
	s_addc_u32 s11, s17, s11
	s_add_i32 s9, s9, s23
	s_mul_i32 s23, s31, s22
	s_mul_i32 s24, s29, s22
	s_add_i32 s25, s9, s23
	v_add_nc_u32_e32 v44, s30, v40
	s_lshl_b64 s[24:25], s[24:25], 3
	s_delay_alu instid0(SALU_CYCLE_1)
	v_add_co_u32 v4, vcc_lo, v50, s24
	v_add_co_ci_u32_e32 v40, vcc_lo, s25, v51, vcc_lo
	v_add_co_u32 v41, vcc_lo, v52, s24
	v_ashrrev_i32_e32 v45, 31, v44
	v_add_co_ci_u32_e32 v43, vcc_lo, s25, v53, vcc_lo
	global_store_b64 v3, v[44:45], s[10:11]
	s_and_saveexec_b32 s9, s33
	s_cbranch_execnz .LBB97_54
; %bb.21:                               ;   in Loop: Header=BB97_7 Depth=1
	s_or_b32 exec_lo, exec_lo, s9
	s_and_saveexec_b32 s9, s34
	s_cbranch_execnz .LBB97_55
.LBB97_22:                              ;   in Loop: Header=BB97_7 Depth=1
	s_or_b32 exec_lo, exec_lo, s9
	s_and_saveexec_b32 s9, s35
	s_cbranch_execnz .LBB97_56
.LBB97_23:                              ;   in Loop: Header=BB97_7 Depth=1
	s_or_b32 exec_lo, exec_lo, s9
	s_and_saveexec_b32 s9, s36
	s_cbranch_execnz .LBB97_57
.LBB97_24:                              ;   in Loop: Header=BB97_7 Depth=1
	s_or_b32 exec_lo, exec_lo, s9
	s_and_saveexec_b32 s9, s37
	s_cbranch_execnz .LBB97_58
.LBB97_25:                              ;   in Loop: Header=BB97_7 Depth=1
	s_or_b32 exec_lo, exec_lo, s9
	s_and_saveexec_b32 s9, s38
	s_cbranch_execnz .LBB97_59
.LBB97_26:                              ;   in Loop: Header=BB97_7 Depth=1
	s_or_b32 exec_lo, exec_lo, s9
	s_and_saveexec_b32 s9, s39
	s_cbranch_execnz .LBB97_60
.LBB97_27:                              ;   in Loop: Header=BB97_7 Depth=1
	s_or_b32 exec_lo, exec_lo, s9
	s_and_saveexec_b32 s9, s40
	s_cbranch_execnz .LBB97_61
.LBB97_28:                              ;   in Loop: Header=BB97_7 Depth=1
	s_or_b32 exec_lo, exec_lo, s9
	s_and_saveexec_b32 s9, s41
	s_cbranch_execnz .LBB97_62
.LBB97_29:                              ;   in Loop: Header=BB97_7 Depth=1
	s_or_b32 exec_lo, exec_lo, s9
	s_and_saveexec_b32 s9, s42
	s_cbranch_execnz .LBB97_63
.LBB97_30:                              ;   in Loop: Header=BB97_7 Depth=1
	s_or_b32 exec_lo, exec_lo, s9
	s_and_saveexec_b32 s9, s43
	s_cbranch_execnz .LBB97_64
.LBB97_31:                              ;   in Loop: Header=BB97_7 Depth=1
	s_or_b32 exec_lo, exec_lo, s9
	s_and_saveexec_b32 s9, s44
	s_cbranch_execnz .LBB97_65
.LBB97_32:                              ;   in Loop: Header=BB97_7 Depth=1
	s_or_b32 exec_lo, exec_lo, s9
	s_and_saveexec_b32 s9, s45
	s_cbranch_execnz .LBB97_66
.LBB97_33:                              ;   in Loop: Header=BB97_7 Depth=1
	s_or_b32 exec_lo, exec_lo, s9
	s_and_saveexec_b32 s9, s46
	s_cbranch_execnz .LBB97_67
.LBB97_34:                              ;   in Loop: Header=BB97_7 Depth=1
	s_or_b32 exec_lo, exec_lo, s9
	s_and_saveexec_b32 s9, s47
	s_cbranch_execnz .LBB97_68
.LBB97_35:                              ;   in Loop: Header=BB97_7 Depth=1
	s_or_b32 exec_lo, exec_lo, s9
	s_and_saveexec_b32 s9, s48
	s_cbranch_execz .LBB97_37
.LBB97_36:                              ;   in Loop: Header=BB97_7 Depth=1
	ds_load_b64 v[44:45], v55 offset:480
	v_add_co_u32 v58, vcc_lo, 0x1e0, v41
	v_add_co_ci_u32_e32 v41, vcc_lo, 0, v43, vcc_lo
	v_add_co_u32 v4, vcc_lo, v4, v36
	v_add_co_ci_u32_e32 v40, vcc_lo, v40, v37, vcc_lo
	s_delay_alu instid0(VALU_DEP_1) | instskip(NEXT) | instid1(VALU_DEP_3)
	v_cndmask_b32_e64 v41, v40, v41, s0
	v_cndmask_b32_e64 v40, v4, v58, s0
	s_waitcnt lgkmcnt(0)
	global_store_b64 v[40:41], v[44:45], off
.LBB97_37:                              ;   in Loop: Header=BB97_7 Depth=1
	s_or_b32 exec_lo, exec_lo, s9
	s_mov_b32 s9, 1
.LBB97_38:                              ;   in Loop: Header=BB97_7 Depth=1
	s_waitcnt lgkmcnt(0)
	s_waitcnt_vscnt null, 0x0
	s_barrier
	buffer_gl0_inv
	ds_store_b64 v54, v[38:39]
	s_waitcnt lgkmcnt(0)
	s_barrier
	buffer_gl0_inv
	s_and_saveexec_b32 s10, s1
	s_cbranch_execz .LBB97_40
; %bb.39:                               ;   in Loop: Header=BB97_7 Depth=1
	ds_load_2addr_stride64_b64 v[38:41], v54 offset1:2
	s_waitcnt lgkmcnt(0)
	v_cmp_lt_i64_e32 vcc_lo, v[40:41], v[38:39]
	v_dual_cndmask_b32 v39, v39, v41 :: v_dual_cndmask_b32 v38, v38, v40
	ds_store_b64 v54, v[38:39]
.LBB97_40:                              ;   in Loop: Header=BB97_7 Depth=1
	s_or_b32 exec_lo, exec_lo, s10
	s_waitcnt lgkmcnt(0)
	s_barrier
	buffer_gl0_inv
	s_and_saveexec_b32 s10, s2
	s_cbranch_execz .LBB97_42
; %bb.41:                               ;   in Loop: Header=BB97_7 Depth=1
	ds_load_2addr_stride64_b64 v[38:41], v54 offset1:1
	s_waitcnt lgkmcnt(0)
	v_cmp_lt_i64_e32 vcc_lo, v[40:41], v[38:39]
	v_dual_cndmask_b32 v39, v39, v41 :: v_dual_cndmask_b32 v38, v38, v40
	ds_store_b64 v54, v[38:39]
.LBB97_42:                              ;   in Loop: Header=BB97_7 Depth=1
	s_or_b32 exec_lo, exec_lo, s10
	s_waitcnt lgkmcnt(0)
	s_barrier
	buffer_gl0_inv
	s_and_saveexec_b32 s10, s3
	s_cbranch_execz .LBB97_44
; %bb.43:                               ;   in Loop: Header=BB97_7 Depth=1
	ds_load_2addr_b64 v[38:41], v54 offset1:32
	s_waitcnt lgkmcnt(0)
	v_cmp_lt_i64_e32 vcc_lo, v[40:41], v[38:39]
	v_dual_cndmask_b32 v39, v39, v41 :: v_dual_cndmask_b32 v38, v38, v40
	ds_store_b64 v54, v[38:39]
.LBB97_44:                              ;   in Loop: Header=BB97_7 Depth=1
	s_or_b32 exec_lo, exec_lo, s10
	s_waitcnt lgkmcnt(0)
	s_barrier
	buffer_gl0_inv
	s_and_saveexec_b32 s10, s4
	s_cbranch_execz .LBB97_46
; %bb.45:                               ;   in Loop: Header=BB97_7 Depth=1
	ds_load_2addr_b64 v[38:41], v54 offset1:16
	s_waitcnt lgkmcnt(0)
	v_cmp_lt_i64_e32 vcc_lo, v[40:41], v[38:39]
	v_dual_cndmask_b32 v39, v39, v41 :: v_dual_cndmask_b32 v38, v38, v40
	ds_store_b64 v54, v[38:39]
.LBB97_46:                              ;   in Loop: Header=BB97_7 Depth=1
	;; [unrolled: 13-line block ×5, first 2 shown]
	s_or_b32 exec_lo, exec_lo, s10
	s_waitcnt lgkmcnt(0)
	s_barrier
	buffer_gl0_inv
	s_and_saveexec_b32 s10, s8
	s_cbranch_execz .LBB97_6
; %bb.53:                               ;   in Loop: Header=BB97_7 Depth=1
	ds_load_b128 v[38:41], v3
	s_waitcnt lgkmcnt(0)
	v_cmp_lt_i64_e32 vcc_lo, v[40:41], v[38:39]
	v_dual_cndmask_b32 v39, v39, v41 :: v_dual_cndmask_b32 v38, v38, v40
	ds_store_b64 v3, v[38:39]
	s_branch .LBB97_6
.LBB97_54:                              ;   in Loop: Header=BB97_7 Depth=1
	ds_load_b64 v[44:45], v55
	v_add_co_u32 v58, vcc_lo, v4, v6
	v_add_co_ci_u32_e32 v59, vcc_lo, v40, v7, vcc_lo
	s_delay_alu instid0(VALU_DEP_2) | instskip(NEXT) | instid1(VALU_DEP_2)
	v_cndmask_b32_e64 v58, v58, v41, s0
	v_cndmask_b32_e64 v59, v59, v43, s0
	s_waitcnt lgkmcnt(0)
	global_store_b64 v[58:59], v[44:45], off
	s_or_b32 exec_lo, exec_lo, s9
	s_and_saveexec_b32 s9, s34
	s_cbranch_execz .LBB97_22
.LBB97_55:                              ;   in Loop: Header=BB97_7 Depth=1
	ds_load_b64 v[44:45], v55 offset:32
	v_add_co_u32 v58, vcc_lo, v41, 32
	v_add_co_ci_u32_e32 v59, vcc_lo, 0, v43, vcc_lo
	v_add_co_u32 v60, vcc_lo, v4, v8
	v_add_co_ci_u32_e32 v61, vcc_lo, v40, v9, vcc_lo
	s_delay_alu instid0(VALU_DEP_2) | instskip(NEXT) | instid1(VALU_DEP_2)
	v_cndmask_b32_e64 v58, v60, v58, s0
	v_cndmask_b32_e64 v59, v61, v59, s0
	s_waitcnt lgkmcnt(0)
	global_store_b64 v[58:59], v[44:45], off
	s_or_b32 exec_lo, exec_lo, s9
	s_and_saveexec_b32 s9, s35
	s_cbranch_execz .LBB97_23
.LBB97_56:                              ;   in Loop: Header=BB97_7 Depth=1
	ds_load_b64 v[44:45], v55 offset:64
	v_add_co_u32 v58, vcc_lo, v41, 64
	v_add_co_ci_u32_e32 v59, vcc_lo, 0, v43, vcc_lo
	v_add_co_u32 v60, vcc_lo, v4, v10
	v_add_co_ci_u32_e32 v61, vcc_lo, v40, v11, vcc_lo
	s_delay_alu instid0(VALU_DEP_2) | instskip(NEXT) | instid1(VALU_DEP_2)
	v_cndmask_b32_e64 v58, v60, v58, s0
	v_cndmask_b32_e64 v59, v61, v59, s0
	s_waitcnt lgkmcnt(0)
	global_store_b64 v[58:59], v[44:45], off
	s_or_b32 exec_lo, exec_lo, s9
	s_and_saveexec_b32 s9, s36
	s_cbranch_execz .LBB97_24
.LBB97_57:                              ;   in Loop: Header=BB97_7 Depth=1
	ds_load_b64 v[44:45], v55 offset:96
	v_add_co_u32 v58, vcc_lo, 0x60, v41
	v_add_co_ci_u32_e32 v59, vcc_lo, 0, v43, vcc_lo
	v_add_co_u32 v60, vcc_lo, v4, v12
	v_add_co_ci_u32_e32 v61, vcc_lo, v40, v13, vcc_lo
	s_delay_alu instid0(VALU_DEP_2) | instskip(NEXT) | instid1(VALU_DEP_2)
	v_cndmask_b32_e64 v58, v60, v58, s0
	v_cndmask_b32_e64 v59, v61, v59, s0
	s_waitcnt lgkmcnt(0)
	global_store_b64 v[58:59], v[44:45], off
	s_or_b32 exec_lo, exec_lo, s9
	s_and_saveexec_b32 s9, s37
	s_cbranch_execz .LBB97_25
.LBB97_58:                              ;   in Loop: Header=BB97_7 Depth=1
	ds_load_b64 v[44:45], v55 offset:128
	v_add_co_u32 v58, vcc_lo, 0x80, v41
	v_add_co_ci_u32_e32 v59, vcc_lo, 0, v43, vcc_lo
	v_add_co_u32 v60, vcc_lo, v4, v14
	v_add_co_ci_u32_e32 v61, vcc_lo, v40, v15, vcc_lo
	s_delay_alu instid0(VALU_DEP_2) | instskip(NEXT) | instid1(VALU_DEP_2)
	v_cndmask_b32_e64 v58, v60, v58, s0
	v_cndmask_b32_e64 v59, v61, v59, s0
	s_waitcnt lgkmcnt(0)
	global_store_b64 v[58:59], v[44:45], off
	s_or_b32 exec_lo, exec_lo, s9
	s_and_saveexec_b32 s9, s38
	s_cbranch_execz .LBB97_26
.LBB97_59:                              ;   in Loop: Header=BB97_7 Depth=1
	ds_load_b64 v[44:45], v55 offset:160
	v_add_co_u32 v58, vcc_lo, 0xa0, v41
	v_add_co_ci_u32_e32 v59, vcc_lo, 0, v43, vcc_lo
	v_add_co_u32 v60, vcc_lo, v4, v16
	v_add_co_ci_u32_e32 v61, vcc_lo, v40, v17, vcc_lo
	s_delay_alu instid0(VALU_DEP_2) | instskip(NEXT) | instid1(VALU_DEP_2)
	v_cndmask_b32_e64 v58, v60, v58, s0
	v_cndmask_b32_e64 v59, v61, v59, s0
	s_waitcnt lgkmcnt(0)
	global_store_b64 v[58:59], v[44:45], off
	s_or_b32 exec_lo, exec_lo, s9
	s_and_saveexec_b32 s9, s39
	s_cbranch_execz .LBB97_27
.LBB97_60:                              ;   in Loop: Header=BB97_7 Depth=1
	ds_load_b64 v[44:45], v55 offset:192
	v_add_co_u32 v58, vcc_lo, 0xc0, v41
	v_add_co_ci_u32_e32 v59, vcc_lo, 0, v43, vcc_lo
	v_add_co_u32 v60, vcc_lo, v4, v18
	v_add_co_ci_u32_e32 v61, vcc_lo, v40, v19, vcc_lo
	s_delay_alu instid0(VALU_DEP_2) | instskip(NEXT) | instid1(VALU_DEP_2)
	v_cndmask_b32_e64 v58, v60, v58, s0
	v_cndmask_b32_e64 v59, v61, v59, s0
	s_waitcnt lgkmcnt(0)
	global_store_b64 v[58:59], v[44:45], off
	s_or_b32 exec_lo, exec_lo, s9
	s_and_saveexec_b32 s9, s40
	s_cbranch_execz .LBB97_28
.LBB97_61:                              ;   in Loop: Header=BB97_7 Depth=1
	ds_load_b64 v[44:45], v55 offset:224
	v_add_co_u32 v58, vcc_lo, 0xe0, v41
	v_add_co_ci_u32_e32 v59, vcc_lo, 0, v43, vcc_lo
	v_add_co_u32 v60, vcc_lo, v4, v20
	v_add_co_ci_u32_e32 v61, vcc_lo, v40, v21, vcc_lo
	s_delay_alu instid0(VALU_DEP_2) | instskip(NEXT) | instid1(VALU_DEP_2)
	v_cndmask_b32_e64 v58, v60, v58, s0
	v_cndmask_b32_e64 v59, v61, v59, s0
	s_waitcnt lgkmcnt(0)
	global_store_b64 v[58:59], v[44:45], off
	s_or_b32 exec_lo, exec_lo, s9
	s_and_saveexec_b32 s9, s41
	s_cbranch_execz .LBB97_29
.LBB97_62:                              ;   in Loop: Header=BB97_7 Depth=1
	ds_load_b64 v[44:45], v55 offset:256
	v_add_co_u32 v58, vcc_lo, 0x100, v41
	v_add_co_ci_u32_e32 v59, vcc_lo, 0, v43, vcc_lo
	v_add_co_u32 v60, vcc_lo, v4, v22
	v_add_co_ci_u32_e32 v61, vcc_lo, v40, v23, vcc_lo
	s_delay_alu instid0(VALU_DEP_2) | instskip(NEXT) | instid1(VALU_DEP_2)
	v_cndmask_b32_e64 v58, v60, v58, s0
	v_cndmask_b32_e64 v59, v61, v59, s0
	s_waitcnt lgkmcnt(0)
	global_store_b64 v[58:59], v[44:45], off
	s_or_b32 exec_lo, exec_lo, s9
	s_and_saveexec_b32 s9, s42
	s_cbranch_execz .LBB97_30
.LBB97_63:                              ;   in Loop: Header=BB97_7 Depth=1
	ds_load_b64 v[44:45], v55 offset:288
	v_add_co_u32 v58, vcc_lo, 0x120, v41
	v_add_co_ci_u32_e32 v59, vcc_lo, 0, v43, vcc_lo
	v_add_co_u32 v60, vcc_lo, v4, v24
	v_add_co_ci_u32_e32 v61, vcc_lo, v40, v25, vcc_lo
	s_delay_alu instid0(VALU_DEP_2) | instskip(NEXT) | instid1(VALU_DEP_2)
	v_cndmask_b32_e64 v58, v60, v58, s0
	v_cndmask_b32_e64 v59, v61, v59, s0
	s_waitcnt lgkmcnt(0)
	global_store_b64 v[58:59], v[44:45], off
	s_or_b32 exec_lo, exec_lo, s9
	s_and_saveexec_b32 s9, s43
	s_cbranch_execz .LBB97_31
.LBB97_64:                              ;   in Loop: Header=BB97_7 Depth=1
	ds_load_b64 v[44:45], v55 offset:320
	v_add_co_u32 v58, vcc_lo, 0x140, v41
	v_add_co_ci_u32_e32 v59, vcc_lo, 0, v43, vcc_lo
	v_add_co_u32 v60, vcc_lo, v4, v26
	v_add_co_ci_u32_e32 v61, vcc_lo, v40, v27, vcc_lo
	s_delay_alu instid0(VALU_DEP_2) | instskip(NEXT) | instid1(VALU_DEP_2)
	v_cndmask_b32_e64 v58, v60, v58, s0
	v_cndmask_b32_e64 v59, v61, v59, s0
	s_waitcnt lgkmcnt(0)
	global_store_b64 v[58:59], v[44:45], off
	s_or_b32 exec_lo, exec_lo, s9
	s_and_saveexec_b32 s9, s44
	s_cbranch_execz .LBB97_32
.LBB97_65:                              ;   in Loop: Header=BB97_7 Depth=1
	ds_load_b64 v[44:45], v55 offset:352
	v_add_co_u32 v58, vcc_lo, 0x160, v41
	v_add_co_ci_u32_e32 v59, vcc_lo, 0, v43, vcc_lo
	v_add_co_u32 v60, vcc_lo, v4, v28
	v_add_co_ci_u32_e32 v61, vcc_lo, v40, v29, vcc_lo
	s_delay_alu instid0(VALU_DEP_2) | instskip(NEXT) | instid1(VALU_DEP_2)
	v_cndmask_b32_e64 v58, v60, v58, s0
	v_cndmask_b32_e64 v59, v61, v59, s0
	s_waitcnt lgkmcnt(0)
	global_store_b64 v[58:59], v[44:45], off
	s_or_b32 exec_lo, exec_lo, s9
	s_and_saveexec_b32 s9, s45
	s_cbranch_execz .LBB97_33
.LBB97_66:                              ;   in Loop: Header=BB97_7 Depth=1
	ds_load_b64 v[44:45], v55 offset:384
	v_add_co_u32 v58, vcc_lo, 0x180, v41
	v_add_co_ci_u32_e32 v59, vcc_lo, 0, v43, vcc_lo
	v_add_co_u32 v60, vcc_lo, v4, v30
	v_add_co_ci_u32_e32 v61, vcc_lo, v40, v31, vcc_lo
	s_delay_alu instid0(VALU_DEP_2) | instskip(NEXT) | instid1(VALU_DEP_2)
	v_cndmask_b32_e64 v58, v60, v58, s0
	v_cndmask_b32_e64 v59, v61, v59, s0
	s_waitcnt lgkmcnt(0)
	global_store_b64 v[58:59], v[44:45], off
	s_or_b32 exec_lo, exec_lo, s9
	s_and_saveexec_b32 s9, s46
	s_cbranch_execz .LBB97_34
.LBB97_67:                              ;   in Loop: Header=BB97_7 Depth=1
	ds_load_b64 v[44:45], v55 offset:416
	v_add_co_u32 v58, vcc_lo, 0x1a0, v41
	v_add_co_ci_u32_e32 v59, vcc_lo, 0, v43, vcc_lo
	v_add_co_u32 v60, vcc_lo, v4, v32
	v_add_co_ci_u32_e32 v61, vcc_lo, v40, v33, vcc_lo
	s_delay_alu instid0(VALU_DEP_2) | instskip(NEXT) | instid1(VALU_DEP_2)
	v_cndmask_b32_e64 v58, v60, v58, s0
	v_cndmask_b32_e64 v59, v61, v59, s0
	s_waitcnt lgkmcnt(0)
	global_store_b64 v[58:59], v[44:45], off
	s_or_b32 exec_lo, exec_lo, s9
	s_and_saveexec_b32 s9, s47
	s_cbranch_execz .LBB97_35
.LBB97_68:                              ;   in Loop: Header=BB97_7 Depth=1
	ds_load_b64 v[44:45], v55 offset:448
	v_add_co_u32 v58, vcc_lo, 0x1c0, v41
	v_add_co_ci_u32_e32 v59, vcc_lo, 0, v43, vcc_lo
	v_add_co_u32 v60, vcc_lo, v4, v34
	v_add_co_ci_u32_e32 v61, vcc_lo, v40, v35, vcc_lo
	s_delay_alu instid0(VALU_DEP_2) | instskip(NEXT) | instid1(VALU_DEP_2)
	v_cndmask_b32_e64 v58, v60, v58, s0
	v_cndmask_b32_e64 v59, v61, v59, s0
	s_waitcnt lgkmcnt(0)
	global_store_b64 v[58:59], v[44:45], off
	s_or_b32 exec_lo, exec_lo, s9
	s_and_saveexec_b32 s9, s48
	s_cbranch_execnz .LBB97_36
	s_branch .LBB97_37
.LBB97_69:
	s_endpgm
	.section	.rodata,"a",@progbits
	.p2align	6, 0x0
	.amdhsa_kernel _ZN9rocsparseL38csr2bsr_block_per_row_multipass_kernelILj256ELj64E21rocsparse_complex_numIfEilEEv20rocsparse_direction_T3_S4_S4_S4_S4_21rocsparse_index_base_PKT1_PKT2_PKS4_S5_PS6_PS9_PS4_
		.amdhsa_group_segment_fixed_size 32772
		.amdhsa_private_segment_fixed_size 0
		.amdhsa_kernarg_size 112
		.amdhsa_user_sgpr_count 15
		.amdhsa_user_sgpr_dispatch_ptr 0
		.amdhsa_user_sgpr_queue_ptr 0
		.amdhsa_user_sgpr_kernarg_segment_ptr 1
		.amdhsa_user_sgpr_dispatch_id 0
		.amdhsa_user_sgpr_private_segment_size 0
		.amdhsa_wavefront_size32 1
		.amdhsa_uses_dynamic_stack 0
		.amdhsa_enable_private_segment 0
		.amdhsa_system_sgpr_workgroup_id_x 1
		.amdhsa_system_sgpr_workgroup_id_y 0
		.amdhsa_system_sgpr_workgroup_id_z 0
		.amdhsa_system_sgpr_workgroup_info 0
		.amdhsa_system_vgpr_workitem_id 0
		.amdhsa_next_free_vgpr 69
		.amdhsa_next_free_sgpr 52
		.amdhsa_reserve_vcc 1
		.amdhsa_float_round_mode_32 0
		.amdhsa_float_round_mode_16_64 0
		.amdhsa_float_denorm_mode_32 3
		.amdhsa_float_denorm_mode_16_64 3
		.amdhsa_dx10_clamp 1
		.amdhsa_ieee_mode 1
		.amdhsa_fp16_overflow 0
		.amdhsa_workgroup_processor_mode 1
		.amdhsa_memory_ordered 1
		.amdhsa_forward_progress 0
		.amdhsa_shared_vgpr_count 0
		.amdhsa_exception_fp_ieee_invalid_op 0
		.amdhsa_exception_fp_denorm_src 0
		.amdhsa_exception_fp_ieee_div_zero 0
		.amdhsa_exception_fp_ieee_overflow 0
		.amdhsa_exception_fp_ieee_underflow 0
		.amdhsa_exception_fp_ieee_inexact 0
		.amdhsa_exception_int_div_zero 0
	.end_amdhsa_kernel
	.section	.text._ZN9rocsparseL38csr2bsr_block_per_row_multipass_kernelILj256ELj64E21rocsparse_complex_numIfEilEEv20rocsparse_direction_T3_S4_S4_S4_S4_21rocsparse_index_base_PKT1_PKT2_PKS4_S5_PS6_PS9_PS4_,"axG",@progbits,_ZN9rocsparseL38csr2bsr_block_per_row_multipass_kernelILj256ELj64E21rocsparse_complex_numIfEilEEv20rocsparse_direction_T3_S4_S4_S4_S4_21rocsparse_index_base_PKT1_PKT2_PKS4_S5_PS6_PS9_PS4_,comdat
.Lfunc_end97:
	.size	_ZN9rocsparseL38csr2bsr_block_per_row_multipass_kernelILj256ELj64E21rocsparse_complex_numIfEilEEv20rocsparse_direction_T3_S4_S4_S4_S4_21rocsparse_index_base_PKT1_PKT2_PKS4_S5_PS6_PS9_PS4_, .Lfunc_end97-_ZN9rocsparseL38csr2bsr_block_per_row_multipass_kernelILj256ELj64E21rocsparse_complex_numIfEilEEv20rocsparse_direction_T3_S4_S4_S4_S4_21rocsparse_index_base_PKT1_PKT2_PKS4_S5_PS6_PS9_PS4_
                                        ; -- End function
	.section	.AMDGPU.csdata,"",@progbits
; Kernel info:
; codeLenInByte = 5108
; NumSgprs: 54
; NumVgprs: 69
; ScratchSize: 0
; MemoryBound: 0
; FloatMode: 240
; IeeeMode: 1
; LDSByteSize: 32772 bytes/workgroup (compile time only)
; SGPRBlocks: 6
; VGPRBlocks: 8
; NumSGPRsForWavesPerEU: 54
; NumVGPRsForWavesPerEU: 69
; Occupancy: 6
; WaveLimiterHint : 1
; COMPUTE_PGM_RSRC2:SCRATCH_EN: 0
; COMPUTE_PGM_RSRC2:USER_SGPR: 15
; COMPUTE_PGM_RSRC2:TRAP_HANDLER: 0
; COMPUTE_PGM_RSRC2:TGID_X_EN: 1
; COMPUTE_PGM_RSRC2:TGID_Y_EN: 0
; COMPUTE_PGM_RSRC2:TGID_Z_EN: 0
; COMPUTE_PGM_RSRC2:TIDIG_COMP_CNT: 0
	.section	.text._ZN9rocsparseL21csr2bsr_65_inf_kernelILj32E21rocsparse_complex_numIfEilEEv20rocsparse_direction_T2_S4_S4_S4_S4_S4_21rocsparse_index_base_PKT0_PKT1_PKS4_S5_PS6_PS9_PS4_SF_SG_SE_,"axG",@progbits,_ZN9rocsparseL21csr2bsr_65_inf_kernelILj32E21rocsparse_complex_numIfEilEEv20rocsparse_direction_T2_S4_S4_S4_S4_S4_21rocsparse_index_base_PKT0_PKT1_PKS4_S5_PS6_PS9_PS4_SF_SG_SE_,comdat
	.globl	_ZN9rocsparseL21csr2bsr_65_inf_kernelILj32E21rocsparse_complex_numIfEilEEv20rocsparse_direction_T2_S4_S4_S4_S4_S4_21rocsparse_index_base_PKT0_PKT1_PKS4_S5_PS6_PS9_PS4_SF_SG_SE_ ; -- Begin function _ZN9rocsparseL21csr2bsr_65_inf_kernelILj32E21rocsparse_complex_numIfEilEEv20rocsparse_direction_T2_S4_S4_S4_S4_S4_21rocsparse_index_base_PKT0_PKT1_PKS4_S5_PS6_PS9_PS4_SF_SG_SE_
	.p2align	8
	.type	_ZN9rocsparseL21csr2bsr_65_inf_kernelILj32E21rocsparse_complex_numIfEilEEv20rocsparse_direction_T2_S4_S4_S4_S4_S4_21rocsparse_index_base_PKT0_PKT1_PKS4_S5_PS6_PS9_PS4_SF_SG_SE_,@function
_ZN9rocsparseL21csr2bsr_65_inf_kernelILj32E21rocsparse_complex_numIfEilEEv20rocsparse_direction_T2_S4_S4_S4_S4_S4_21rocsparse_index_base_PKT0_PKT1_PKS4_S5_PS6_PS9_PS4_SF_SG_SE_: ; @_ZN9rocsparseL21csr2bsr_65_inf_kernelILj32E21rocsparse_complex_numIfEilEEv20rocsparse_direction_T2_S4_S4_S4_S4_S4_21rocsparse_index_base_PKT0_PKT1_PKS4_S5_PS6_PS9_PS4_SF_SG_SE_
; %bb.0:
	s_clause 0x3
	s_load_b64 s[8:9], s[0:1], 0x18
	s_load_b128 s[4:7], s[0:1], 0x8
	s_load_b64 s[2:3], s[0:1], 0x78
	s_load_b32 s26, s[0:1], 0x58
	s_mov_b32 s12, s15
	s_mov_b32 s13, 0
	s_mov_b64 s[14:15], 0
	s_waitcnt lgkmcnt(0)
	v_cmp_ge_i64_e64 s8, s[12:13], s[8:9]
	s_delay_alu instid0(VALU_DEP_1)
	s_and_b32 vcc_lo, exec_lo, s8
	s_cbranch_vccnz .LBB98_2
; %bb.1:
	s_load_b64 s[8:9], s[0:1], 0x68
	s_lshl_b64 s[10:11], s[12:13], 2
	s_waitcnt lgkmcnt(0)
	s_add_u32 s8, s8, s10
	s_addc_u32 s9, s9, s11
	s_load_b32 s8, s[8:9], 0x0
	s_waitcnt lgkmcnt(0)
	s_sub_i32 s14, s8, s26
	s_delay_alu instid0(SALU_CYCLE_1)
	s_ashr_i32 s15, s14, 31
.LBB98_2:
	s_clause 0x1
	s_load_b128 s[8:11], s[0:1], 0x28
	s_load_b32 s27, s[0:1], 0x38
	s_waitcnt lgkmcnt(0)
	v_mad_u64_u32 v[6:7], null, v0, s10, 0
	s_mul_i32 s13, s12, s11
	s_mul_hi_u32 s17, s12, s10
	s_mul_i32 s16, s12, s10
	s_add_i32 s17, s17, s13
	v_cmp_gt_i64_e64 s28, s[10:11], 0
	s_lshl_b64 s[16:17], s[16:17], 8
	s_delay_alu instid0(VALU_DEP_2)
	v_mov_b32_e32 v1, v7
	s_add_u32 s13, s2, s16
	s_addc_u32 s16, s3, s17
	s_lshl_b64 s[2:3], s[10:11], 7
	v_cmp_lt_i64_e64 s17, s[10:11], 1
	v_mad_u64_u32 v[2:3], null, v0, s11, v[1:2]
	s_add_u32 s2, s13, s2
	s_addc_u32 s3, s16, s3
	v_mov_b32_e32 v1, 0
	s_delay_alu instid0(VALU_DEP_2) | instskip(NEXT) | instid1(VALU_DEP_1)
	v_mov_b32_e32 v7, v2
	v_lshlrev_b64 v[4:5], 2, v[6:7]
	s_delay_alu instid0(VALU_DEP_1) | instskip(NEXT) | instid1(VALU_DEP_2)
	v_add_co_u32 v2, vcc_lo, s13, v4
	v_add_co_ci_u32_e32 v3, vcc_lo, s16, v5, vcc_lo
	v_add_co_u32 v4, vcc_lo, s2, v4
	v_add_co_ci_u32_e32 v5, vcc_lo, s3, v5, vcc_lo
	s_and_b32 vcc_lo, exec_lo, s17
	s_cbranch_vccnz .LBB98_7
; %bb.3:
	s_load_b64 s[16:17], s[0:1], 0x48
	s_mul_i32 s2, s12, s9
	s_mul_hi_u32 s13, s12, s8
	s_mul_i32 s3, s12, s8
	s_add_i32 s13, s13, s2
	v_add_co_u32 v8, s2, s3, v0
	s_delay_alu instid0(VALU_DEP_1) | instskip(SKIP_1) | instid1(VALU_DEP_2)
	v_add_co_ci_u32_e64 v9, null, s13, 0, s2
	v_dual_mov_b32 v15, v1 :: v_dual_mov_b32 v14, v0
	v_lshlrev_b64 v[10:11], 2, v[8:9]
	v_dual_mov_b32 v9, v5 :: v_dual_mov_b32 v8, v4
	s_waitcnt lgkmcnt(0)
	s_delay_alu instid0(VALU_DEP_2) | instskip(NEXT) | instid1(VALU_DEP_3)
	v_add_co_u32 v12, vcc_lo, v10, s16
	v_add_co_ci_u32_e32 v13, vcc_lo, s17, v11, vcc_lo
	v_dual_mov_b32 v11, v3 :: v_dual_mov_b32 v10, v2
	s_delay_alu instid0(VALU_DEP_3) | instskip(NEXT) | instid1(VALU_DEP_3)
	v_add_co_u32 v12, vcc_lo, v12, 4
	v_add_co_ci_u32_e32 v13, vcc_lo, 0, v13, vcc_lo
	s_mov_b64 s[16:17], s[10:11]
	s_set_inst_prefetch_distance 0x1
	s_branch .LBB98_5
	.p2align	6
.LBB98_4:                               ;   in Loop: Header=BB98_5 Depth=1
	s_or_b32 exec_lo, exec_lo, s2
	v_add_co_u32 v14, vcc_lo, v14, 32
	v_add_co_ci_u32_e32 v15, vcc_lo, 0, v15, vcc_lo
	v_add_co_u32 v10, vcc_lo, v10, 4
	v_add_co_ci_u32_e32 v11, vcc_lo, 0, v11, vcc_lo
	;; [unrolled: 2-line block ×3, first 2 shown]
	v_add_co_u32 v8, vcc_lo, v8, 4
	s_add_u32 s16, s16, -1
	v_add_co_ci_u32_e32 v9, vcc_lo, 0, v9, vcc_lo
	s_addc_u32 s17, s17, -1
	s_delay_alu instid0(SALU_CYCLE_1)
	s_cmp_eq_u64 s[16:17], 0
	s_cbranch_scc1 .LBB98_7
.LBB98_5:                               ; =>This Inner Loop Header: Depth=1
	v_add_co_u32 v16, vcc_lo, s3, v14
	v_add_co_ci_u32_e32 v17, vcc_lo, s13, v15, vcc_lo
	v_cmp_gt_i64_e64 s2, s[8:9], v[14:15]
	global_store_b32 v[10:11], v1, off
	global_store_b32 v[8:9], v1, off
	v_cmp_gt_i64_e32 vcc_lo, s[4:5], v[16:17]
	s_and_b32 s18, vcc_lo, s2
	s_delay_alu instid0(SALU_CYCLE_1)
	s_and_saveexec_b32 s2, s18
	s_cbranch_execz .LBB98_4
; %bb.6:                                ;   in Loop: Header=BB98_5 Depth=1
	global_load_b64 v[16:17], v[12:13], off offset:-4
	s_waitcnt vmcnt(0)
	v_subrev_nc_u32_e32 v16, s27, v16
	v_subrev_nc_u32_e32 v17, s27, v17
	global_store_b32 v[10:11], v16, off
	global_store_b32 v[8:9], v17, off
	s_branch .LBB98_4
.LBB98_7:
	s_set_inst_prefetch_distance 0x2
	v_cmp_lt_i64_e64 s2, s[6:7], 1
	s_delay_alu instid0(VALU_DEP_1)
	s_and_b32 vcc_lo, exec_lo, s2
	s_cbranch_vccnz .LBB98_53
; %bb.8:
	s_clause 0x1
	s_load_b128 s[16:19], s[0:1], 0x80
	s_load_b64 s[20:21], s[0:1], 0x70
	s_lshl_b64 s[2:3], s[10:11], 5
	v_lshlrev_b64 v[8:9], 3, v[6:7]
	s_mul_i32 s3, s3, s12
	s_mul_hi_u32 s4, s2, s12
	s_mul_i32 s2, s2, s12
	s_add_i32 s3, s4, s3
	v_mbcnt_lo_u32_b32 v10, -1, 0
	s_lshl_b64 s[2:3], s[2:3], 3
	v_mov_b32_e32 v16, 0
	s_mov_b32 s29, 0
	v_mov_b32_e32 v39, 0x7c
	v_xor_b32_e32 v11, 16, v10
	v_xor_b32_e32 v12, 8, v10
	;; [unrolled: 1-line block ×5, first 2 shown]
	v_mov_b32_e32 v17, 0
	s_waitcnt lgkmcnt(0)
	s_add_u32 s4, s16, s2
	s_addc_u32 s5, s17, s3
	v_add_co_u32 v6, vcc_lo, s4, v8
	s_add_u32 s2, s18, s2
	v_add_co_ci_u32_e32 v7, vcc_lo, s5, v9, vcc_lo
	s_addc_u32 s3, s19, s3
	v_add_co_u32 v8, vcc_lo, s2, v8
	v_add_co_ci_u32_e32 v9, vcc_lo, s3, v9, vcc_lo
	v_cmp_gt_i32_e32 vcc_lo, 32, v11
	s_clause 0x3
	s_load_b64 s[2:3], s[0:1], 0x60
	s_load_b64 s[4:5], s[0:1], 0x50
	s_load_b64 s[12:13], s[0:1], 0x40
	s_load_b32 s1, s[0:1], 0x0
	s_lshl_b64 s[16:17], s[14:15], 3
	v_cmp_eq_u32_e64 s0, 31, v0
	s_add_u32 s30, s20, s16
	v_cndmask_b32_e32 v11, v10, v11, vcc_lo
	v_cmp_gt_i32_e32 vcc_lo, 32, v12
	s_addc_u32 s31, s21, s17
	v_cndmask_b32_e32 v12, v10, v12, vcc_lo
	v_cmp_gt_i32_e32 vcc_lo, 32, v13
	v_cndmask_b32_e32 v13, v10, v13, vcc_lo
	v_cmp_gt_i32_e32 vcc_lo, 32, v14
	s_waitcnt lgkmcnt(0)
	s_cmp_lg_u32 s1, 0
	s_delay_alu instid0(VALU_DEP_2)
	v_lshlrev_b32_e32 v36, 2, v13
	v_lshlrev_b32_e32 v34, 2, v11
	v_cndmask_b32_e32 v14, v10, v14, vcc_lo
	v_cmp_gt_i32_e32 vcc_lo, 32, v15
	s_cselect_b32 s33, -1, 0
	s_add_u32 s34, s14, -1
	s_addc_u32 s35, s15, -1
	v_lshlrev_b32_e32 v37, 2, v14
	v_dual_cndmask_b32 v10, v10, v15 :: v_dual_lshlrev_b32 v35, 2, v12
	v_mov_b32_e32 v14, v16
	v_dual_mov_b32 v12, v16 :: v_dual_mov_b32 v13, v17
	s_delay_alu instid0(VALU_DEP_3)
	v_dual_mov_b32 v15, v17 :: v_dual_lshlrev_b32 v38, 2, v10
	v_mov_b32_e32 v10, 0
	s_lshl_b64 s[14:15], s[8:9], 3
	s_lshl_b64 s[16:17], s[8:9], 8
	s_ashr_i32 s18, s9, 31
	s_branch .LBB98_10
.LBB98_9:                               ;   in Loop: Header=BB98_10 Depth=1
	s_waitcnt lgkmcnt(3)
	v_add_co_u32 v16, vcc_lo, v30, 1
	s_waitcnt lgkmcnt(2)
	v_add_co_ci_u32_e32 v17, vcc_lo, 0, v31, vcc_lo
	s_delay_alu instid0(VALU_DEP_1) | instskip(SKIP_1) | instid1(SALU_CYCLE_1)
	v_cmp_le_i64_e32 vcc_lo, s[6:7], v[16:17]
	s_or_b32 s29, vcc_lo, s29
	s_and_not1_b32 exec_lo, exec_lo, s29
	s_cbranch_execz .LBB98_53
.LBB98_10:                              ; =>This Loop Header: Depth=1
                                        ;     Child Loop BB98_14 Depth 2
                                        ;       Child Loop BB98_17 Depth 3
                                        ;     Child Loop BB98_34 Depth 2
	v_dual_mov_b32 v19, s7 :: v_dual_mov_b32 v18, s6
	s_and_not1_b32 vcc_lo, exec_lo, s28
	s_cbranch_vccnz .LBB98_23
; %bb.11:                               ;   in Loop: Header=BB98_10 Depth=1
	v_dual_mov_b32 v19, s7 :: v_dual_mov_b32 v18, s6
	s_mov_b64 s[20:21], 0
	s_branch .LBB98_14
.LBB98_12:                              ;   in Loop: Header=BB98_14 Depth=2
	s_or_b32 exec_lo, exec_lo, s1
.LBB98_13:                              ;   in Loop: Header=BB98_14 Depth=2
	s_delay_alu instid0(SALU_CYCLE_1) | instskip(SKIP_2) | instid1(SALU_CYCLE_1)
	s_or_b32 exec_lo, exec_lo, s19
	s_add_u32 s20, s20, 1
	s_addc_u32 s21, s21, 0
	s_cmp_eq_u64 s[20:21], s[10:11]
	s_cbranch_scc1 .LBB98_23
.LBB98_14:                              ;   Parent Loop BB98_10 Depth=1
                                        ; =>  This Loop Header: Depth=2
                                        ;       Child Loop BB98_17 Depth 3
	s_lshl_b64 s[22:23], s[20:21], 2
	v_mov_b32_e32 v11, v10
	v_add_co_u32 v20, vcc_lo, v2, s22
	v_add_co_ci_u32_e32 v21, vcc_lo, s23, v3, vcc_lo
	v_add_co_u32 v22, vcc_lo, v4, s22
	v_add_co_ci_u32_e32 v23, vcc_lo, s23, v5, vcc_lo
	s_lshl_b64 s[22:23], s[20:21], 3
	s_clause 0x1
	global_load_b32 v30, v[20:21], off
	global_load_b32 v40, v[22:23], off
	v_add_co_u32 v22, vcc_lo, v8, s22
	v_add_co_ci_u32_e32 v23, vcc_lo, s23, v9, vcc_lo
	v_add_co_u32 v24, vcc_lo, v6, s22
	v_add_co_ci_u32_e32 v25, vcc_lo, s23, v7, vcc_lo
	v_dual_mov_b32 v27, s7 :: v_dual_mov_b32 v26, s6
	s_mov_b32 s19, exec_lo
	global_store_b64 v[22:23], v[10:11], off
	global_store_b64 v[24:25], v[26:27], off
	s_waitcnt vmcnt(0)
	v_cmpx_lt_i32_e64 v30, v40
	s_cbranch_execz .LBB98_13
; %bb.15:                               ;   in Loop: Header=BB98_14 Depth=2
	v_ashrrev_i32_e32 v31, 31, v30
	s_mov_b32 s22, 0
                                        ; implicit-def: $sgpr23
                                        ; implicit-def: $sgpr25
                                        ; implicit-def: $sgpr24
	s_delay_alu instid0(VALU_DEP_1) | instskip(NEXT) | instid1(VALU_DEP_1)
	v_lshlrev_b64 v[26:27], 3, v[30:31]
	v_add_co_u32 v32, vcc_lo, s4, v26
	s_delay_alu instid0(VALU_DEP_2)
	v_add_co_ci_u32_e32 v33, vcc_lo, s5, v27, vcc_lo
	s_set_inst_prefetch_distance 0x1
	s_branch .LBB98_17
	.p2align	6
.LBB98_16:                              ;   in Loop: Header=BB98_17 Depth=3
	s_or_b32 exec_lo, exec_lo, s36
	s_delay_alu instid0(SALU_CYCLE_1) | instskip(NEXT) | instid1(SALU_CYCLE_1)
	s_and_b32 s1, exec_lo, s25
	s_or_b32 s22, s1, s22
	s_and_not1_b32 s1, s23, exec_lo
	s_and_b32 s23, s24, exec_lo
	s_delay_alu instid0(SALU_CYCLE_1)
	s_or_b32 s23, s1, s23
	s_and_not1_b32 exec_lo, exec_lo, s22
	s_cbranch_execz .LBB98_19
.LBB98_17:                              ;   Parent Loop BB98_10 Depth=1
                                        ;     Parent Loop BB98_14 Depth=2
                                        ; =>    This Inner Loop Header: Depth=3
	global_load_b64 v[26:27], v[32:33], off
	s_or_b32 s24, s24, exec_lo
	s_or_b32 s25, s25, exec_lo
	s_mov_b32 s36, exec_lo
	s_waitcnt vmcnt(0)
	v_sub_co_u32 v28, vcc_lo, v26, s27
	v_subrev_co_ci_u32_e32 v29, vcc_lo, 0, v27, vcc_lo
	v_dual_mov_b32 v26, v30 :: v_dual_mov_b32 v27, v31
                                        ; implicit-def: $vgpr30_vgpr31
	s_delay_alu instid0(VALU_DEP_2)
	v_cmpx_lt_i64_e64 v[28:29], v[16:17]
	s_cbranch_execz .LBB98_16
; %bb.18:                               ;   in Loop: Header=BB98_17 Depth=3
	s_delay_alu instid0(VALU_DEP_2) | instskip(NEXT) | instid1(VALU_DEP_3)
	v_add_co_u32 v30, vcc_lo, v26, 1
	v_add_co_ci_u32_e32 v31, vcc_lo, 0, v27, vcc_lo
	v_add_co_u32 v32, s1, v32, 8
	s_delay_alu instid0(VALU_DEP_3) | instskip(SKIP_4) | instid1(SALU_CYCLE_1)
	v_cmp_ge_i32_e32 vcc_lo, v30, v40
	v_add_co_ci_u32_e64 v33, s1, 0, v33, s1
	s_and_not1_b32 s1, s25, exec_lo
	s_and_not1_b32 s24, s24, exec_lo
	s_and_b32 s25, vcc_lo, exec_lo
	s_or_b32 s25, s1, s25
	s_branch .LBB98_16
.LBB98_19:                              ;   in Loop: Header=BB98_14 Depth=2
	s_set_inst_prefetch_distance 0x2
	s_or_b32 exec_lo, exec_lo, s22
	v_lshlrev_b64 v[30:31], 3, v[26:27]
	s_xor_b32 s1, s23, -1
	s_delay_alu instid0(SALU_CYCLE_1) | instskip(NEXT) | instid1(SALU_CYCLE_1)
	s_and_saveexec_b32 s22, s1
	s_xor_b32 s1, exec_lo, s22
	s_cbranch_execz .LBB98_21
; %bb.20:                               ;   in Loop: Header=BB98_14 Depth=2
	s_delay_alu instid0(VALU_DEP_1)
	v_add_co_u32 v20, vcc_lo, s12, v30
	v_add_co_ci_u32_e32 v21, vcc_lo, s13, v31, vcc_lo
                                        ; implicit-def: $vgpr30_vgpr31
	global_load_b64 v[20:21], v[20:21], off
	s_waitcnt vmcnt(0)
	global_store_b64 v[22:23], v[20:21], off
	global_store_b64 v[24:25], v[28:29], off
                                        ; implicit-def: $vgpr22_vgpr23
                                        ; implicit-def: $vgpr24_vgpr25
                                        ; implicit-def: $vgpr20_vgpr21
.LBB98_21:                              ;   in Loop: Header=BB98_14 Depth=2
	s_and_not1_saveexec_b32 s1, s1
	s_cbranch_execz .LBB98_12
; %bb.22:                               ;   in Loop: Header=BB98_14 Depth=2
	v_add_co_u32 v30, vcc_lo, s12, v30
	v_add_co_ci_u32_e32 v31, vcc_lo, s13, v31, vcc_lo
	v_cmp_lt_i64_e32 vcc_lo, v[28:29], v[18:19]
	global_load_b64 v[30:31], v[30:31], off
	global_store_b64 v[24:25], v[28:29], off
	s_waitcnt vmcnt(0)
	global_store_b64 v[22:23], v[30:31], off
	global_store_b32 v[20:21], v26, off
	v_dual_cndmask_b32 v19, v19, v29 :: v_dual_cndmask_b32 v18, v18, v28
	s_branch .LBB98_12
.LBB98_23:                              ;   in Loop: Header=BB98_10 Depth=1
	ds_bpermute_b32 v16, v34, v18
	ds_bpermute_b32 v17, v34, v19
	s_waitcnt lgkmcnt(0)
	v_cmp_lt_i64_e32 vcc_lo, v[16:17], v[18:19]
	v_dual_cndmask_b32 v17, v19, v17 :: v_dual_cndmask_b32 v16, v18, v16
	ds_bpermute_b32 v19, v35, v17
	ds_bpermute_b32 v18, v35, v16
	s_waitcnt lgkmcnt(0)
	v_cmp_lt_i64_e32 vcc_lo, v[18:19], v[16:17]
	v_dual_cndmask_b32 v17, v17, v19 :: v_dual_cndmask_b32 v16, v16, v18
	;; [unrolled: 5-line block ×5, first 2 shown]
	s_delay_alu instid0(VALU_DEP_1) | instskip(SKIP_1) | instid1(SALU_CYCLE_1)
	v_cmp_gt_i64_e32 vcc_lo, s[6:7], v[16:17]
	s_and_b32 s1, s0, vcc_lo
	s_and_saveexec_b32 s22, s1
	s_cbranch_execz .LBB98_29
; %bb.24:                               ;   in Loop: Header=BB98_10 Depth=1
	v_or_b32_e32 v11, s9, v17
                                        ; implicit-def: $vgpr18_vgpr19
	s_mov_b32 s1, exec_lo
	s_delay_alu instid0(VALU_DEP_1)
	v_cmpx_ne_u64_e32 0, v[10:11]
	s_xor_b32 s23, exec_lo, s1
	s_cbranch_execnz .LBB98_51
; %bb.25:                               ;   in Loop: Header=BB98_10 Depth=1
	s_and_not1_saveexec_b32 s1, s23
	s_cbranch_execnz .LBB98_52
.LBB98_26:                              ;   in Loop: Header=BB98_10 Depth=1
	s_or_b32 exec_lo, exec_lo, s1
	s_delay_alu instid0(SALU_CYCLE_1)
	s_mov_b32 s1, exec_lo
	v_cmpx_ge_i64_e64 v[18:19], v[14:15]
	s_cbranch_execz .LBB98_28
.LBB98_27:                              ;   in Loop: Header=BB98_10 Depth=1
	v_lshlrev_b64 v[14:15], 3, v[12:13]
	v_add_co_u32 v20, vcc_lo, v18, s26
	v_add_co_ci_u32_e32 v21, vcc_lo, 0, v19, vcc_lo
	s_delay_alu instid0(VALU_DEP_3) | instskip(NEXT) | instid1(VALU_DEP_4)
	v_add_co_u32 v22, vcc_lo, s30, v14
	v_add_co_ci_u32_e32 v23, vcc_lo, s31, v15, vcc_lo
	v_add_co_u32 v12, vcc_lo, v12, 1
	v_add_co_ci_u32_e32 v13, vcc_lo, 0, v13, vcc_lo
	;; [unrolled: 2-line block ×3, first 2 shown]
	global_store_b64 v[22:23], v[20:21], off
.LBB98_28:                              ;   in Loop: Header=BB98_10 Depth=1
	s_or_b32 exec_lo, exec_lo, s1
.LBB98_29:                              ;   in Loop: Header=BB98_10 Depth=1
	s_delay_alu instid0(SALU_CYCLE_1)
	s_or_b32 exec_lo, exec_lo, s22
	ds_bpermute_b32 v30, v39, v16
	ds_bpermute_b32 v31, v39, v17
	;; [unrolled: 1-line block ×4, first 2 shown]
	s_and_not1_b32 vcc_lo, exec_lo, s28
	s_cbranch_vccnz .LBB98_9
; %bb.30:                               ;   in Loop: Header=BB98_10 Depth=1
	v_add_co_u32 v11, vcc_lo, s34, 0
	s_waitcnt lgkmcnt(0)
	v_add_co_ci_u32_e32 v16, vcc_lo, s35, v13, vcc_lo
	s_mov_b64 s[20:21], 0
	s_delay_alu instid0(VALU_DEP_2) | instskip(NEXT) | instid1(VALU_DEP_2)
	v_add_co_u32 v11, vcc_lo, v11, v12
	v_add_co_ci_u32_e32 v16, vcc_lo, 0, v16, vcc_lo
	s_mov_b64 s[22:23], s[10:11]
	s_delay_alu instid0(VALU_DEP_2) | instskip(SKIP_1) | instid1(VALU_DEP_3)
	v_mul_lo_u32 v17, s9, v11
	v_mad_u64_u32 v[20:21], null, s8, v11, v[0:1]
	v_mul_lo_u32 v16, s8, v16
	v_add_co_u32 v11, vcc_lo, s34, v12
	v_add_co_ci_u32_e32 v18, vcc_lo, s35, v13, vcc_lo
	s_delay_alu instid0(VALU_DEP_2) | instskip(NEXT) | instid1(VALU_DEP_4)
	v_mul_lo_u32 v23, v11, s9
	v_add3_u32 v21, v17, v21, v16
	s_delay_alu instid0(VALU_DEP_3)
	v_mul_lo_u32 v22, v18, s8
	v_mad_u64_u32 v[16:17], null, v11, s8, 0
	v_mul_lo_u32 v11, s15, v20
	v_mad_u64_u32 v[18:19], null, s14, v20, s[2:3]
	v_mul_lo_u32 v24, s14, v21
	v_dual_mov_b32 v21, v7 :: v_dual_mov_b32 v20, v6
	v_add3_u32 v17, v17, v23, v22
	v_dual_mov_b32 v23, v9 :: v_dual_mov_b32 v22, v8
	s_delay_alu instid0(VALU_DEP_4)
	v_add3_u32 v19, v11, v19, v24
	s_branch .LBB98_34
.LBB98_31:                              ;   in Loop: Header=BB98_34 Depth=2
	s_or_b32 exec_lo, exec_lo, s1
	s_delay_alu instid0(VALU_DEP_1) | instskip(NEXT) | instid1(VALU_DEP_1)
	v_lshlrev_b64 v[24:25], 3, v[26:27]
	v_add_co_u32 v26, vcc_lo, v18, v24
	s_delay_alu instid0(VALU_DEP_2)
	v_add_co_ci_u32_e32 v27, vcc_lo, v19, v25, vcc_lo
.LBB98_32:                              ;   in Loop: Header=BB98_34 Depth=2
	global_load_b64 v[24:25], v[22:23], off
	s_waitcnt vmcnt(0)
	global_store_b64 v[26:27], v[24:25], off
.LBB98_33:                              ;   in Loop: Header=BB98_34 Depth=2
	s_or_b32 exec_lo, exec_lo, s36
	v_add_co_u32 v22, vcc_lo, v22, 8
	v_add_co_ci_u32_e32 v23, vcc_lo, 0, v23, vcc_lo
	v_add_co_u32 v18, vcc_lo, v18, s16
	v_add_co_ci_u32_e32 v19, vcc_lo, s17, v19, vcc_lo
	s_add_u32 s20, s20, 1
	v_add_co_u32 v20, vcc_lo, v20, 8
	s_addc_u32 s21, s21, 0
	s_add_u32 s22, s22, -1
	v_add_co_ci_u32_e32 v21, vcc_lo, 0, v21, vcc_lo
	s_addc_u32 s23, s23, -1
	s_delay_alu instid0(SALU_CYCLE_1)
	s_cmp_eq_u64 s[22:23], 0
	s_cbranch_scc1 .LBB98_9
.LBB98_34:                              ;   Parent Loop BB98_10 Depth=1
                                        ; =>  This Inner Loop Header: Depth=2
	global_load_b64 v[24:25], v[20:21], off
	s_mov_b32 s36, exec_lo
	s_waitcnt vmcnt(0)
	v_cmpx_gt_i64_e64 s[6:7], v[24:25]
	s_cbranch_execz .LBB98_33
; %bb.35:                               ;   in Loop: Header=BB98_34 Depth=2
	v_or_b32_e32 v32, s9, v25
                                        ; implicit-def: $vgpr26_vgpr27
	s_mov_b32 s1, exec_lo
	s_delay_alu instid0(VALU_DEP_1) | instskip(NEXT) | instid1(VALU_DEP_1)
	v_mov_b32_e32 v11, v32
	v_cmpx_ne_u64_e32 0, v[10:11]
	s_xor_b32 s37, exec_lo, s1
	s_cbranch_execz .LBB98_37
; %bb.36:                               ;   in Loop: Header=BB98_34 Depth=2
	s_add_u32 s24, s8, s18
	s_mov_b32 s19, s18
	s_addc_u32 s25, s9, s18
	s_delay_alu instid0(SALU_CYCLE_1) | instskip(NEXT) | instid1(SALU_CYCLE_1)
	s_xor_b64 s[24:25], s[24:25], s[18:19]
	v_cvt_f32_u32_e32 v11, s24
	v_cvt_f32_u32_e32 v26, s25
	s_sub_u32 s1, 0, s24
	s_subb_u32 s19, 0, s25
	s_delay_alu instid0(VALU_DEP_1) | instskip(NEXT) | instid1(VALU_DEP_1)
	v_fmac_f32_e32 v11, 0x4f800000, v26
	v_rcp_f32_e32 v11, v11
	s_waitcnt_depctr 0xfff
	v_mul_f32_e32 v11, 0x5f7ffffc, v11
	s_delay_alu instid0(VALU_DEP_1) | instskip(NEXT) | instid1(VALU_DEP_1)
	v_mul_f32_e32 v26, 0x2f800000, v11
	v_trunc_f32_e32 v26, v26
	s_delay_alu instid0(VALU_DEP_1) | instskip(SKIP_1) | instid1(VALU_DEP_2)
	v_fmac_f32_e32 v11, 0xcf800000, v26
	v_cvt_u32_f32_e32 v26, v26
	v_cvt_u32_f32_e32 v11, v11
	s_delay_alu instid0(VALU_DEP_2) | instskip(NEXT) | instid1(VALU_DEP_2)
	v_mul_lo_u32 v27, s1, v26
	v_mul_hi_u32 v28, s1, v11
	v_mul_lo_u32 v29, s19, v11
	s_delay_alu instid0(VALU_DEP_2) | instskip(SKIP_1) | instid1(VALU_DEP_2)
	v_add_nc_u32_e32 v27, v28, v27
	v_mul_lo_u32 v28, s1, v11
	v_add_nc_u32_e32 v27, v27, v29
	s_delay_alu instid0(VALU_DEP_2) | instskip(NEXT) | instid1(VALU_DEP_2)
	v_mul_hi_u32 v29, v11, v28
	v_mul_lo_u32 v33, v11, v27
	v_mul_hi_u32 v40, v11, v27
	v_mul_hi_u32 v41, v26, v28
	v_mul_lo_u32 v28, v26, v28
	v_mul_hi_u32 v42, v26, v27
	v_mul_lo_u32 v27, v26, v27
	v_add_co_u32 v29, vcc_lo, v29, v33
	v_add_co_ci_u32_e32 v33, vcc_lo, 0, v40, vcc_lo
	s_delay_alu instid0(VALU_DEP_2) | instskip(NEXT) | instid1(VALU_DEP_2)
	v_add_co_u32 v28, vcc_lo, v29, v28
	v_add_co_ci_u32_e32 v28, vcc_lo, v33, v41, vcc_lo
	v_add_co_ci_u32_e32 v29, vcc_lo, 0, v42, vcc_lo
	v_ashrrev_i32_e32 v42, 31, v25
	s_delay_alu instid0(VALU_DEP_3) | instskip(NEXT) | instid1(VALU_DEP_3)
	v_add_co_u32 v27, vcc_lo, v28, v27
	v_add_co_ci_u32_e32 v28, vcc_lo, 0, v29, vcc_lo
	s_delay_alu instid0(VALU_DEP_2) | instskip(NEXT) | instid1(VALU_DEP_2)
	v_add_co_u32 v11, vcc_lo, v11, v27
	v_add_co_ci_u32_e32 v26, vcc_lo, v26, v28, vcc_lo
	s_delay_alu instid0(VALU_DEP_2) | instskip(SKIP_1) | instid1(VALU_DEP_3)
	v_mul_hi_u32 v27, s1, v11
	v_mul_lo_u32 v29, s19, v11
	v_mul_lo_u32 v28, s1, v26
	s_delay_alu instid0(VALU_DEP_1) | instskip(SKIP_1) | instid1(VALU_DEP_2)
	v_add_nc_u32_e32 v27, v27, v28
	v_mul_lo_u32 v28, s1, v11
	v_add_nc_u32_e32 v27, v27, v29
	s_delay_alu instid0(VALU_DEP_2) | instskip(NEXT) | instid1(VALU_DEP_2)
	v_mul_hi_u32 v29, v11, v28
	v_mul_lo_u32 v33, v11, v27
	v_mul_hi_u32 v40, v11, v27
	v_mul_hi_u32 v41, v26, v28
	v_mul_lo_u32 v28, v26, v28
	v_mul_hi_u32 v43, v26, v27
	v_mul_lo_u32 v27, v26, v27
	v_add_co_u32 v29, vcc_lo, v29, v33
	v_add_co_ci_u32_e32 v33, vcc_lo, 0, v40, vcc_lo
	s_delay_alu instid0(VALU_DEP_2) | instskip(NEXT) | instid1(VALU_DEP_2)
	v_add_co_u32 v28, vcc_lo, v29, v28
	v_add_co_ci_u32_e32 v28, vcc_lo, v33, v41, vcc_lo
	v_add_co_ci_u32_e32 v29, vcc_lo, 0, v43, vcc_lo
	v_add_co_u32 v33, vcc_lo, v24, v42
	v_add_co_ci_u32_e32 v40, vcc_lo, v25, v42, vcc_lo
	s_delay_alu instid0(VALU_DEP_4) | instskip(NEXT) | instid1(VALU_DEP_4)
	v_add_co_u32 v27, vcc_lo, v28, v27
	v_add_co_ci_u32_e32 v28, vcc_lo, 0, v29, vcc_lo
	s_delay_alu instid0(VALU_DEP_4) | instskip(NEXT) | instid1(VALU_DEP_3)
	v_xor_b32_e32 v33, v33, v42
	v_add_co_u32 v11, vcc_lo, v11, v27
	s_delay_alu instid0(VALU_DEP_3) | instskip(SKIP_1) | instid1(VALU_DEP_3)
	v_add_co_ci_u32_e32 v43, vcc_lo, v26, v28, vcc_lo
	v_xor_b32_e32 v44, v40, v42
	v_mul_hi_u32 v45, v33, v11
	s_delay_alu instid0(VALU_DEP_3) | instskip(NEXT) | instid1(VALU_DEP_3)
	v_mad_u64_u32 v[26:27], null, v33, v43, 0
	v_mad_u64_u32 v[28:29], null, v44, v11, 0
	;; [unrolled: 1-line block ×3, first 2 shown]
	s_delay_alu instid0(VALU_DEP_3) | instskip(NEXT) | instid1(VALU_DEP_4)
	v_add_co_u32 v11, vcc_lo, v45, v26
	v_add_co_ci_u32_e32 v26, vcc_lo, 0, v27, vcc_lo
	s_delay_alu instid0(VALU_DEP_2) | instskip(NEXT) | instid1(VALU_DEP_2)
	v_add_co_u32 v11, vcc_lo, v11, v28
	v_add_co_ci_u32_e32 v11, vcc_lo, v26, v29, vcc_lo
	v_add_co_ci_u32_e32 v26, vcc_lo, 0, v41, vcc_lo
	s_delay_alu instid0(VALU_DEP_2) | instskip(NEXT) | instid1(VALU_DEP_2)
	v_add_co_u32 v11, vcc_lo, v11, v40
	v_add_co_ci_u32_e32 v28, vcc_lo, 0, v26, vcc_lo
	s_delay_alu instid0(VALU_DEP_2) | instskip(SKIP_1) | instid1(VALU_DEP_3)
	v_mul_lo_u32 v29, s25, v11
	v_mad_u64_u32 v[26:27], null, s24, v11, 0
	v_mul_lo_u32 v40, s24, v28
	s_delay_alu instid0(VALU_DEP_2) | instskip(NEXT) | instid1(VALU_DEP_2)
	v_sub_co_u32 v26, vcc_lo, v33, v26
	v_add3_u32 v27, v27, v40, v29
	s_delay_alu instid0(VALU_DEP_1) | instskip(NEXT) | instid1(VALU_DEP_1)
	v_sub_nc_u32_e32 v29, v44, v27
	v_subrev_co_ci_u32_e64 v29, s1, s25, v29, vcc_lo
	v_add_co_u32 v33, s1, v11, 2
	s_delay_alu instid0(VALU_DEP_1) | instskip(SKIP_3) | instid1(VALU_DEP_3)
	v_add_co_ci_u32_e64 v40, s1, 0, v28, s1
	v_sub_co_u32 v41, s1, v26, s24
	v_sub_co_ci_u32_e32 v27, vcc_lo, v44, v27, vcc_lo
	v_subrev_co_ci_u32_e64 v29, s1, 0, v29, s1
	v_cmp_le_u32_e32 vcc_lo, s24, v41
	s_delay_alu instid0(VALU_DEP_3) | instskip(SKIP_1) | instid1(VALU_DEP_4)
	v_cmp_eq_u32_e64 s1, s25, v27
	v_cndmask_b32_e64 v41, 0, -1, vcc_lo
	v_cmp_le_u32_e32 vcc_lo, s25, v29
	v_cndmask_b32_e64 v43, 0, -1, vcc_lo
	v_cmp_le_u32_e32 vcc_lo, s24, v26
	v_cndmask_b32_e64 v26, 0, -1, vcc_lo
	v_cmp_le_u32_e32 vcc_lo, s25, v27
	v_cndmask_b32_e64 v44, 0, -1, vcc_lo
	v_cmp_eq_u32_e32 vcc_lo, s25, v29
	s_delay_alu instid0(VALU_DEP_2) | instskip(SKIP_3) | instid1(VALU_DEP_3)
	v_cndmask_b32_e64 v26, v44, v26, s1
	v_cndmask_b32_e32 v29, v43, v41, vcc_lo
	v_add_co_u32 v41, vcc_lo, v11, 1
	v_add_co_ci_u32_e32 v43, vcc_lo, 0, v28, vcc_lo
	v_cmp_ne_u32_e32 vcc_lo, 0, v29
	s_delay_alu instid0(VALU_DEP_2) | instskip(NEXT) | instid1(VALU_DEP_4)
	v_cndmask_b32_e32 v27, v43, v40, vcc_lo
	v_cndmask_b32_e32 v29, v41, v33, vcc_lo
	v_cmp_ne_u32_e32 vcc_lo, 0, v26
	v_xor_b32_e32 v33, s18, v42
	s_delay_alu instid0(VALU_DEP_3) | instskip(NEXT) | instid1(VALU_DEP_1)
	v_dual_cndmask_b32 v11, v11, v29 :: v_dual_cndmask_b32 v26, v28, v27
	v_xor_b32_e32 v11, v11, v33
	s_delay_alu instid0(VALU_DEP_2) | instskip(NEXT) | instid1(VALU_DEP_2)
	v_xor_b32_e32 v27, v26, v33
	v_sub_co_u32 v26, vcc_lo, v11, v33
	s_delay_alu instid0(VALU_DEP_2)
	v_sub_co_ci_u32_e32 v27, vcc_lo, v27, v33, vcc_lo
.LBB98_37:                              ;   in Loop: Header=BB98_34 Depth=2
	s_and_not1_saveexec_b32 s1, s37
	s_cbranch_execz .LBB98_39
; %bb.38:                               ;   in Loop: Header=BB98_34 Depth=2
	v_cvt_f32_u32_e32 v11, s8
	s_sub_i32 s19, 0, s8
	s_delay_alu instid0(VALU_DEP_1) | instskip(SKIP_2) | instid1(VALU_DEP_1)
	v_rcp_iflag_f32_e32 v11, v11
	s_waitcnt_depctr 0xfff
	v_mul_f32_e32 v11, 0x4f7ffffe, v11
	v_cvt_u32_f32_e32 v11, v11
	s_delay_alu instid0(VALU_DEP_1) | instskip(NEXT) | instid1(VALU_DEP_1)
	v_mul_lo_u32 v26, s19, v11
	v_mul_hi_u32 v26, v11, v26
	s_delay_alu instid0(VALU_DEP_1) | instskip(NEXT) | instid1(VALU_DEP_1)
	v_add_nc_u32_e32 v11, v11, v26
	v_mul_hi_u32 v11, v24, v11
	s_delay_alu instid0(VALU_DEP_1) | instskip(SKIP_1) | instid1(VALU_DEP_2)
	v_mul_lo_u32 v26, v11, s8
	v_add_nc_u32_e32 v27, 1, v11
	v_sub_nc_u32_e32 v26, v24, v26
	s_delay_alu instid0(VALU_DEP_1) | instskip(SKIP_1) | instid1(VALU_DEP_2)
	v_subrev_nc_u32_e32 v28, s8, v26
	v_cmp_le_u32_e32 vcc_lo, s8, v26
	v_dual_cndmask_b32 v26, v26, v28 :: v_dual_cndmask_b32 v11, v11, v27
	s_delay_alu instid0(VALU_DEP_1) | instskip(NEXT) | instid1(VALU_DEP_2)
	v_cmp_le_u32_e32 vcc_lo, s8, v26
	v_add_nc_u32_e32 v27, 1, v11
	s_delay_alu instid0(VALU_DEP_1)
	v_dual_cndmask_b32 v26, v11, v27 :: v_dual_mov_b32 v27, v10
.LBB98_39:                              ;   in Loop: Header=BB98_34 Depth=2
	s_or_b32 exec_lo, exec_lo, s1
	v_or_b32_e32 v11, s9, v31
                                        ; implicit-def: $vgpr28_vgpr29
	s_mov_b32 s1, exec_lo
	s_delay_alu instid0(VALU_DEP_1)
	v_cmpx_ne_u64_e32 0, v[10:11]
	s_xor_b32 s37, exec_lo, s1
	s_cbranch_execnz .LBB98_42
; %bb.40:                               ;   in Loop: Header=BB98_34 Depth=2
	s_and_not1_saveexec_b32 s1, s37
	s_cbranch_execnz .LBB98_43
.LBB98_41:                              ;   in Loop: Header=BB98_34 Depth=2
	s_or_b32 exec_lo, exec_lo, s1
	s_delay_alu instid0(VALU_DEP_1)
	v_cmp_eq_u64_e32 vcc_lo, v[26:27], v[28:29]
	s_and_b32 exec_lo, exec_lo, vcc_lo
	s_cbranch_execz .LBB98_33
	s_branch .LBB98_44
.LBB98_42:                              ;   in Loop: Header=BB98_34 Depth=2
	s_add_u32 s24, s8, s18
	s_mov_b32 s19, s18
	s_addc_u32 s25, s9, s18
	s_delay_alu instid0(SALU_CYCLE_1) | instskip(NEXT) | instid1(SALU_CYCLE_1)
	s_xor_b64 s[24:25], s[24:25], s[18:19]
	v_cvt_f32_u32_e32 v11, s24
	v_cvt_f32_u32_e32 v28, s25
	s_sub_u32 s1, 0, s24
	s_subb_u32 s19, 0, s25
	s_delay_alu instid0(VALU_DEP_1) | instskip(NEXT) | instid1(VALU_DEP_1)
	v_fmac_f32_e32 v11, 0x4f800000, v28
	v_rcp_f32_e32 v11, v11
	s_waitcnt_depctr 0xfff
	v_mul_f32_e32 v11, 0x5f7ffffc, v11
	s_delay_alu instid0(VALU_DEP_1) | instskip(NEXT) | instid1(VALU_DEP_1)
	v_mul_f32_e32 v28, 0x2f800000, v11
	v_trunc_f32_e32 v28, v28
	s_delay_alu instid0(VALU_DEP_1) | instskip(SKIP_1) | instid1(VALU_DEP_2)
	v_fmac_f32_e32 v11, 0xcf800000, v28
	v_cvt_u32_f32_e32 v28, v28
	v_cvt_u32_f32_e32 v11, v11
	s_delay_alu instid0(VALU_DEP_2) | instskip(NEXT) | instid1(VALU_DEP_2)
	v_mul_lo_u32 v29, s1, v28
	v_mul_hi_u32 v33, s1, v11
	v_mul_lo_u32 v40, s19, v11
	s_delay_alu instid0(VALU_DEP_2) | instskip(SKIP_1) | instid1(VALU_DEP_2)
	v_add_nc_u32_e32 v29, v33, v29
	v_mul_lo_u32 v33, s1, v11
	v_add_nc_u32_e32 v29, v29, v40
	s_delay_alu instid0(VALU_DEP_2) | instskip(NEXT) | instid1(VALU_DEP_2)
	v_mul_hi_u32 v40, v11, v33
	v_mul_lo_u32 v41, v11, v29
	v_mul_hi_u32 v42, v11, v29
	v_mul_hi_u32 v43, v28, v33
	v_mul_lo_u32 v33, v28, v33
	v_mul_hi_u32 v44, v28, v29
	v_mul_lo_u32 v29, v28, v29
	v_add_co_u32 v40, vcc_lo, v40, v41
	v_add_co_ci_u32_e32 v41, vcc_lo, 0, v42, vcc_lo
	s_delay_alu instid0(VALU_DEP_2) | instskip(NEXT) | instid1(VALU_DEP_2)
	v_add_co_u32 v33, vcc_lo, v40, v33
	v_add_co_ci_u32_e32 v33, vcc_lo, v41, v43, vcc_lo
	v_add_co_ci_u32_e32 v40, vcc_lo, 0, v44, vcc_lo
	v_ashrrev_i32_e32 v44, 31, v31
	s_delay_alu instid0(VALU_DEP_3) | instskip(NEXT) | instid1(VALU_DEP_3)
	v_add_co_u32 v29, vcc_lo, v33, v29
	v_add_co_ci_u32_e32 v33, vcc_lo, 0, v40, vcc_lo
	s_delay_alu instid0(VALU_DEP_2) | instskip(NEXT) | instid1(VALU_DEP_2)
	v_add_co_u32 v11, vcc_lo, v11, v29
	v_add_co_ci_u32_e32 v28, vcc_lo, v28, v33, vcc_lo
	s_delay_alu instid0(VALU_DEP_2) | instskip(SKIP_1) | instid1(VALU_DEP_3)
	v_mul_hi_u32 v29, s1, v11
	v_mul_lo_u32 v40, s19, v11
	v_mul_lo_u32 v33, s1, v28
	s_delay_alu instid0(VALU_DEP_1) | instskip(SKIP_1) | instid1(VALU_DEP_2)
	v_add_nc_u32_e32 v29, v29, v33
	v_mul_lo_u32 v33, s1, v11
	v_add_nc_u32_e32 v29, v29, v40
	s_delay_alu instid0(VALU_DEP_2) | instskip(NEXT) | instid1(VALU_DEP_2)
	v_mul_hi_u32 v40, v11, v33
	v_mul_lo_u32 v41, v11, v29
	v_mul_hi_u32 v42, v11, v29
	v_mul_hi_u32 v43, v28, v33
	v_mul_lo_u32 v33, v28, v33
	v_mul_hi_u32 v45, v28, v29
	v_mul_lo_u32 v29, v28, v29
	v_add_co_u32 v40, vcc_lo, v40, v41
	v_add_co_ci_u32_e32 v41, vcc_lo, 0, v42, vcc_lo
	s_delay_alu instid0(VALU_DEP_2) | instskip(NEXT) | instid1(VALU_DEP_2)
	v_add_co_u32 v33, vcc_lo, v40, v33
	v_add_co_ci_u32_e32 v33, vcc_lo, v41, v43, vcc_lo
	v_add_co_ci_u32_e32 v40, vcc_lo, 0, v45, vcc_lo
	v_add_co_u32 v41, vcc_lo, v30, v44
	v_add_co_ci_u32_e32 v42, vcc_lo, v31, v44, vcc_lo
	s_delay_alu instid0(VALU_DEP_4) | instskip(NEXT) | instid1(VALU_DEP_4)
	v_add_co_u32 v29, vcc_lo, v33, v29
	v_add_co_ci_u32_e32 v33, vcc_lo, 0, v40, vcc_lo
	s_delay_alu instid0(VALU_DEP_4) | instskip(NEXT) | instid1(VALU_DEP_3)
	v_xor_b32_e32 v45, v41, v44
	v_add_co_u32 v11, vcc_lo, v11, v29
	s_delay_alu instid0(VALU_DEP_3) | instskip(SKIP_1) | instid1(VALU_DEP_3)
	v_add_co_ci_u32_e32 v33, vcc_lo, v28, v33, vcc_lo
	v_xor_b32_e32 v46, v42, v44
	v_mul_hi_u32 v47, v45, v11
	s_delay_alu instid0(VALU_DEP_3) | instskip(NEXT) | instid1(VALU_DEP_3)
	v_mad_u64_u32 v[28:29], null, v45, v33, 0
	v_mad_u64_u32 v[40:41], null, v46, v11, 0
	v_mad_u64_u32 v[42:43], null, v46, v33, 0
	s_delay_alu instid0(VALU_DEP_3) | instskip(NEXT) | instid1(VALU_DEP_4)
	v_add_co_u32 v11, vcc_lo, v47, v28
	v_add_co_ci_u32_e32 v28, vcc_lo, 0, v29, vcc_lo
	s_delay_alu instid0(VALU_DEP_2) | instskip(NEXT) | instid1(VALU_DEP_2)
	v_add_co_u32 v11, vcc_lo, v11, v40
	v_add_co_ci_u32_e32 v11, vcc_lo, v28, v41, vcc_lo
	v_add_co_ci_u32_e32 v28, vcc_lo, 0, v43, vcc_lo
	s_delay_alu instid0(VALU_DEP_2) | instskip(NEXT) | instid1(VALU_DEP_2)
	v_add_co_u32 v11, vcc_lo, v11, v42
	v_add_co_ci_u32_e32 v33, vcc_lo, 0, v28, vcc_lo
	s_delay_alu instid0(VALU_DEP_2) | instskip(SKIP_1) | instid1(VALU_DEP_3)
	v_mul_lo_u32 v40, s25, v11
	v_mad_u64_u32 v[28:29], null, s24, v11, 0
	v_mul_lo_u32 v41, s24, v33
	s_delay_alu instid0(VALU_DEP_2) | instskip(NEXT) | instid1(VALU_DEP_2)
	v_sub_co_u32 v28, vcc_lo, v45, v28
	v_add3_u32 v29, v29, v41, v40
	s_delay_alu instid0(VALU_DEP_1) | instskip(NEXT) | instid1(VALU_DEP_1)
	v_sub_nc_u32_e32 v40, v46, v29
	v_subrev_co_ci_u32_e64 v40, s1, s25, v40, vcc_lo
	v_add_co_u32 v41, s1, v11, 2
	s_delay_alu instid0(VALU_DEP_1) | instskip(SKIP_3) | instid1(VALU_DEP_3)
	v_add_co_ci_u32_e64 v42, s1, 0, v33, s1
	v_sub_co_u32 v43, s1, v28, s24
	v_sub_co_ci_u32_e32 v29, vcc_lo, v46, v29, vcc_lo
	v_subrev_co_ci_u32_e64 v40, s1, 0, v40, s1
	v_cmp_le_u32_e32 vcc_lo, s24, v43
	s_delay_alu instid0(VALU_DEP_3) | instskip(SKIP_1) | instid1(VALU_DEP_4)
	v_cmp_eq_u32_e64 s1, s25, v29
	v_cndmask_b32_e64 v43, 0, -1, vcc_lo
	v_cmp_le_u32_e32 vcc_lo, s25, v40
	v_cndmask_b32_e64 v45, 0, -1, vcc_lo
	v_cmp_le_u32_e32 vcc_lo, s24, v28
	v_cndmask_b32_e64 v28, 0, -1, vcc_lo
	v_cmp_le_u32_e32 vcc_lo, s25, v29
	v_cndmask_b32_e64 v46, 0, -1, vcc_lo
	v_cmp_eq_u32_e32 vcc_lo, s25, v40
	s_delay_alu instid0(VALU_DEP_2) | instskip(SKIP_3) | instid1(VALU_DEP_3)
	v_cndmask_b32_e64 v28, v46, v28, s1
	v_cndmask_b32_e32 v40, v45, v43, vcc_lo
	v_add_co_u32 v43, vcc_lo, v11, 1
	v_add_co_ci_u32_e32 v45, vcc_lo, 0, v33, vcc_lo
	v_cmp_ne_u32_e32 vcc_lo, 0, v40
	s_delay_alu instid0(VALU_DEP_2) | instskip(SKIP_2) | instid1(VALU_DEP_3)
	v_dual_cndmask_b32 v29, v45, v42 :: v_dual_cndmask_b32 v40, v43, v41
	v_cmp_ne_u32_e32 vcc_lo, 0, v28
	v_xor_b32_e32 v41, s18, v44
	v_dual_cndmask_b32 v28, v33, v29 :: v_dual_cndmask_b32 v11, v11, v40
	s_delay_alu instid0(VALU_DEP_1) | instskip(NEXT) | instid1(VALU_DEP_2)
	v_xor_b32_e32 v29, v28, v41
	v_xor_b32_e32 v11, v11, v41
	s_delay_alu instid0(VALU_DEP_1) | instskip(NEXT) | instid1(VALU_DEP_3)
	v_sub_co_u32 v28, vcc_lo, v11, v41
	v_sub_co_ci_u32_e32 v29, vcc_lo, v29, v41, vcc_lo
	s_and_not1_saveexec_b32 s1, s37
	s_cbranch_execz .LBB98_41
.LBB98_43:                              ;   in Loop: Header=BB98_34 Depth=2
	v_cvt_f32_u32_e32 v11, s8
	s_sub_i32 s19, 0, s8
	s_delay_alu instid0(VALU_DEP_1) | instskip(SKIP_2) | instid1(VALU_DEP_1)
	v_rcp_iflag_f32_e32 v11, v11
	s_waitcnt_depctr 0xfff
	v_mul_f32_e32 v11, 0x4f7ffffe, v11
	v_cvt_u32_f32_e32 v11, v11
	s_delay_alu instid0(VALU_DEP_1) | instskip(NEXT) | instid1(VALU_DEP_1)
	v_mul_lo_u32 v28, s19, v11
	v_mul_hi_u32 v28, v11, v28
	s_delay_alu instid0(VALU_DEP_1) | instskip(NEXT) | instid1(VALU_DEP_1)
	v_add_nc_u32_e32 v11, v11, v28
	v_mul_hi_u32 v11, v30, v11
	s_delay_alu instid0(VALU_DEP_1) | instskip(SKIP_1) | instid1(VALU_DEP_2)
	v_mul_lo_u32 v28, v11, s8
	v_add_nc_u32_e32 v29, 1, v11
	v_sub_nc_u32_e32 v28, v30, v28
	s_delay_alu instid0(VALU_DEP_1) | instskip(SKIP_1) | instid1(VALU_DEP_2)
	v_subrev_nc_u32_e32 v33, s8, v28
	v_cmp_le_u32_e32 vcc_lo, s8, v28
	v_cndmask_b32_e32 v28, v28, v33, vcc_lo
	v_cndmask_b32_e32 v11, v11, v29, vcc_lo
	s_delay_alu instid0(VALU_DEP_2) | instskip(NEXT) | instid1(VALU_DEP_2)
	v_cmp_le_u32_e32 vcc_lo, s8, v28
	v_add_nc_u32_e32 v29, 1, v11
	s_delay_alu instid0(VALU_DEP_1) | instskip(SKIP_1) | instid1(VALU_DEP_1)
	v_dual_cndmask_b32 v28, v11, v29 :: v_dual_mov_b32 v29, v10
	s_or_b32 exec_lo, exec_lo, s1
	v_cmp_eq_u64_e32 vcc_lo, v[26:27], v[28:29]
	s_and_b32 exec_lo, exec_lo, vcc_lo
	s_cbranch_execz .LBB98_33
.LBB98_44:                              ;   in Loop: Header=BB98_34 Depth=2
	s_and_b32 vcc_lo, exec_lo, s33
	s_cbranch_vccz .LBB98_46
; %bb.45:                               ;   in Loop: Header=BB98_34 Depth=2
	v_mul_lo_u32 v11, v27, s8
	v_mul_lo_u32 v29, v26, s9
	v_mad_u64_u32 v[27:28], null, v26, s8, 0
	s_lshl_b64 s[24:25], s[20:21], 8
	s_delay_alu instid0(SALU_CYCLE_1) | instskip(SKIP_1) | instid1(VALU_DEP_1)
	s_add_u32 s1, s24, s2
	s_addc_u32 s19, s25, s3
	v_add3_u32 v11, v28, v29, v11
	s_delay_alu instid0(VALU_DEP_2) | instskip(NEXT) | instid1(VALU_DEP_2)
	v_sub_co_u32 v26, vcc_lo, v24, v27
	v_sub_co_ci_u32_e32 v11, vcc_lo, v25, v11, vcc_lo
	s_delay_alu instid0(VALU_DEP_2) | instskip(NEXT) | instid1(VALU_DEP_2)
	v_add_co_u32 v28, vcc_lo, v26, v16
	v_add_co_ci_u32_e32 v11, vcc_lo, v11, v17, vcc_lo
	s_delay_alu instid0(VALU_DEP_2) | instskip(SKIP_1) | instid1(VALU_DEP_3)
	v_mul_lo_u32 v29, v28, s9
	v_mad_u64_u32 v[26:27], null, v28, s8, 0
	v_mul_lo_u32 v11, v11, s8
	s_delay_alu instid0(VALU_DEP_1) | instskip(SKIP_1) | instid1(VALU_DEP_2)
	v_add3_u32 v27, v27, v29, v11
	v_lshlrev_b32_e32 v11, 3, v0
	v_lshlrev_b64 v[26:27], 3, v[26:27]
	s_delay_alu instid0(VALU_DEP_1) | instskip(NEXT) | instid1(VALU_DEP_2)
	v_add_co_u32 v26, vcc_lo, s1, v26
	v_add_co_ci_u32_e32 v27, vcc_lo, s19, v27, vcc_lo
	s_delay_alu instid0(VALU_DEP_2) | instskip(NEXT) | instid1(VALU_DEP_2)
	v_add_co_u32 v26, vcc_lo, v26, v11
	v_add_co_ci_u32_e32 v27, vcc_lo, 0, v27, vcc_lo
	s_cbranch_execnz .LBB98_32
	s_branch .LBB98_47
.LBB98_46:                              ;   in Loop: Header=BB98_34 Depth=2
                                        ; implicit-def: $vgpr26_vgpr27
.LBB98_47:                              ;   in Loop: Header=BB98_34 Depth=2
	v_mov_b32_e32 v11, v32
                                        ; implicit-def: $vgpr26_vgpr27
	s_mov_b32 s1, exec_lo
	s_delay_alu instid0(VALU_DEP_1)
	v_cmpx_ne_u64_e32 0, v[10:11]
	s_xor_b32 s37, exec_lo, s1
	s_cbranch_execz .LBB98_49
; %bb.48:                               ;   in Loop: Header=BB98_34 Depth=2
	s_add_u32 s24, s8, s18
	s_mov_b32 s19, s18
	s_addc_u32 s25, s9, s18
	s_delay_alu instid0(SALU_CYCLE_1) | instskip(NEXT) | instid1(SALU_CYCLE_1)
	s_xor_b64 s[24:25], s[24:25], s[18:19]
	v_cvt_f32_u32_e32 v11, s24
	v_cvt_f32_u32_e32 v26, s25
	s_sub_u32 s1, 0, s24
	s_subb_u32 s19, 0, s25
	s_delay_alu instid0(VALU_DEP_1) | instskip(NEXT) | instid1(VALU_DEP_1)
	v_fmac_f32_e32 v11, 0x4f800000, v26
	v_rcp_f32_e32 v11, v11
	s_waitcnt_depctr 0xfff
	v_mul_f32_e32 v11, 0x5f7ffffc, v11
	s_delay_alu instid0(VALU_DEP_1) | instskip(NEXT) | instid1(VALU_DEP_1)
	v_mul_f32_e32 v26, 0x2f800000, v11
	v_trunc_f32_e32 v26, v26
	s_delay_alu instid0(VALU_DEP_1) | instskip(SKIP_1) | instid1(VALU_DEP_2)
	v_fmac_f32_e32 v11, 0xcf800000, v26
	v_cvt_u32_f32_e32 v26, v26
	v_cvt_u32_f32_e32 v11, v11
	s_delay_alu instid0(VALU_DEP_2) | instskip(NEXT) | instid1(VALU_DEP_2)
	v_mul_lo_u32 v27, s1, v26
	v_mul_hi_u32 v28, s1, v11
	v_mul_lo_u32 v29, s19, v11
	s_delay_alu instid0(VALU_DEP_2) | instskip(SKIP_1) | instid1(VALU_DEP_2)
	v_add_nc_u32_e32 v27, v28, v27
	v_mul_lo_u32 v28, s1, v11
	v_add_nc_u32_e32 v27, v27, v29
	s_delay_alu instid0(VALU_DEP_2) | instskip(NEXT) | instid1(VALU_DEP_2)
	v_mul_hi_u32 v29, v11, v28
	v_mul_lo_u32 v32, v11, v27
	v_mul_hi_u32 v33, v11, v27
	v_mul_hi_u32 v40, v26, v28
	v_mul_lo_u32 v28, v26, v28
	v_mul_hi_u32 v41, v26, v27
	v_mul_lo_u32 v27, v26, v27
	v_add_co_u32 v29, vcc_lo, v29, v32
	v_add_co_ci_u32_e32 v32, vcc_lo, 0, v33, vcc_lo
	s_delay_alu instid0(VALU_DEP_2) | instskip(NEXT) | instid1(VALU_DEP_2)
	v_add_co_u32 v28, vcc_lo, v29, v28
	v_add_co_ci_u32_e32 v28, vcc_lo, v32, v40, vcc_lo
	v_add_co_ci_u32_e32 v29, vcc_lo, 0, v41, vcc_lo
	v_ashrrev_i32_e32 v40, 31, v25
	s_delay_alu instid0(VALU_DEP_3) | instskip(NEXT) | instid1(VALU_DEP_3)
	v_add_co_u32 v27, vcc_lo, v28, v27
	v_add_co_ci_u32_e32 v28, vcc_lo, 0, v29, vcc_lo
	s_delay_alu instid0(VALU_DEP_2) | instskip(NEXT) | instid1(VALU_DEP_2)
	v_add_co_u32 v11, vcc_lo, v11, v27
	v_add_co_ci_u32_e32 v26, vcc_lo, v26, v28, vcc_lo
	s_delay_alu instid0(VALU_DEP_2) | instskip(SKIP_1) | instid1(VALU_DEP_3)
	v_mul_hi_u32 v27, s1, v11
	v_mul_lo_u32 v29, s19, v11
	v_mul_lo_u32 v28, s1, v26
	s_delay_alu instid0(VALU_DEP_1) | instskip(SKIP_1) | instid1(VALU_DEP_2)
	v_add_nc_u32_e32 v27, v27, v28
	v_mul_lo_u32 v28, s1, v11
	v_add_nc_u32_e32 v27, v27, v29
	s_delay_alu instid0(VALU_DEP_2) | instskip(NEXT) | instid1(VALU_DEP_2)
	v_mul_hi_u32 v29, v11, v28
	v_mul_lo_u32 v32, v11, v27
	v_mul_hi_u32 v33, v11, v27
	v_mul_hi_u32 v41, v26, v28
	v_mul_lo_u32 v28, v26, v28
	v_mul_hi_u32 v42, v26, v27
	v_mul_lo_u32 v27, v26, v27
	v_add_co_u32 v29, vcc_lo, v29, v32
	v_add_co_ci_u32_e32 v32, vcc_lo, 0, v33, vcc_lo
	s_delay_alu instid0(VALU_DEP_2) | instskip(NEXT) | instid1(VALU_DEP_2)
	v_add_co_u32 v28, vcc_lo, v29, v28
	v_add_co_ci_u32_e32 v28, vcc_lo, v32, v41, vcc_lo
	v_add_co_ci_u32_e32 v29, vcc_lo, 0, v42, vcc_lo
	v_add_co_u32 v24, vcc_lo, v24, v40
	v_add_co_ci_u32_e32 v25, vcc_lo, v25, v40, vcc_lo
	s_delay_alu instid0(VALU_DEP_4) | instskip(NEXT) | instid1(VALU_DEP_4)
	v_add_co_u32 v27, vcc_lo, v28, v27
	v_add_co_ci_u32_e32 v28, vcc_lo, 0, v29, vcc_lo
	s_delay_alu instid0(VALU_DEP_4) | instskip(NEXT) | instid1(VALU_DEP_3)
	v_xor_b32_e32 v32, v24, v40
	v_add_co_u32 v11, vcc_lo, v11, v27
	s_delay_alu instid0(VALU_DEP_3) | instskip(SKIP_1) | instid1(VALU_DEP_3)
	v_add_co_ci_u32_e32 v33, vcc_lo, v26, v28, vcc_lo
	v_xor_b32_e32 v41, v25, v40
	v_mul_hi_u32 v42, v32, v11
	s_delay_alu instid0(VALU_DEP_3) | instskip(NEXT) | instid1(VALU_DEP_3)
	v_mad_u64_u32 v[24:25], null, v32, v33, 0
	v_mad_u64_u32 v[26:27], null, v41, v11, 0
	;; [unrolled: 1-line block ×3, first 2 shown]
	s_delay_alu instid0(VALU_DEP_3) | instskip(NEXT) | instid1(VALU_DEP_4)
	v_add_co_u32 v11, vcc_lo, v42, v24
	v_add_co_ci_u32_e32 v24, vcc_lo, 0, v25, vcc_lo
	s_delay_alu instid0(VALU_DEP_2) | instskip(NEXT) | instid1(VALU_DEP_2)
	v_add_co_u32 v11, vcc_lo, v11, v26
	v_add_co_ci_u32_e32 v11, vcc_lo, v24, v27, vcc_lo
	v_add_co_ci_u32_e32 v24, vcc_lo, 0, v29, vcc_lo
	s_delay_alu instid0(VALU_DEP_2) | instskip(NEXT) | instid1(VALU_DEP_2)
	v_add_co_u32 v11, vcc_lo, v11, v28
	v_add_co_ci_u32_e32 v26, vcc_lo, 0, v24, vcc_lo
	s_delay_alu instid0(VALU_DEP_2) | instskip(SKIP_1) | instid1(VALU_DEP_3)
	v_mul_lo_u32 v27, s25, v11
	v_mad_u64_u32 v[24:25], null, s24, v11, 0
	v_mul_lo_u32 v11, s24, v26
	s_delay_alu instid0(VALU_DEP_2) | instskip(NEXT) | instid1(VALU_DEP_2)
	v_sub_co_u32 v24, vcc_lo, v32, v24
	v_add3_u32 v11, v25, v11, v27
	s_delay_alu instid0(VALU_DEP_1) | instskip(NEXT) | instid1(VALU_DEP_1)
	v_sub_nc_u32_e32 v25, v41, v11
	v_subrev_co_ci_u32_e64 v25, s1, s25, v25, vcc_lo
	v_sub_co_ci_u32_e32 v11, vcc_lo, v41, v11, vcc_lo
	v_sub_co_u32 v26, vcc_lo, v24, s24
	s_delay_alu instid0(VALU_DEP_1) | instskip(SKIP_3) | instid1(VALU_DEP_3)
	v_subrev_co_ci_u32_e64 v27, s1, 0, v25, vcc_lo
	v_cmp_le_u32_e64 s1, s24, v24
	v_subrev_co_ci_u32_e32 v25, vcc_lo, s25, v25, vcc_lo
	v_cmp_le_u32_e32 vcc_lo, s25, v11
	v_cndmask_b32_e64 v28, 0, -1, s1
	v_cmp_le_u32_e64 s1, s24, v26
	v_cndmask_b32_e64 v33, 0, -1, vcc_lo
	v_cmp_eq_u32_e32 vcc_lo, s25, v27
	s_delay_alu instid0(VALU_DEP_3) | instskip(SKIP_1) | instid1(VALU_DEP_1)
	v_cndmask_b32_e64 v29, 0, -1, s1
	v_cmp_le_u32_e64 s1, s25, v27
	v_cndmask_b32_e64 v32, 0, -1, s1
	v_cmp_eq_u32_e64 s1, s25, v11
	s_delay_alu instid0(VALU_DEP_2) | instskip(SKIP_2) | instid1(VALU_DEP_3)
	v_cndmask_b32_e32 v29, v32, v29, vcc_lo
	v_sub_co_u32 v32, vcc_lo, v26, s24
	v_subrev_co_ci_u32_e32 v25, vcc_lo, 0, v25, vcc_lo
	v_cmp_ne_u32_e32 vcc_lo, 0, v29
	v_cndmask_b32_e64 v28, v33, v28, s1
	s_delay_alu instid0(VALU_DEP_3) | instskip(NEXT) | instid1(VALU_DEP_2)
	v_dual_cndmask_b32 v25, v27, v25 :: v_dual_cndmask_b32 v26, v26, v32
	v_cmp_ne_u32_e32 vcc_lo, 0, v28
	s_delay_alu instid0(VALU_DEP_2) | instskip(NEXT) | instid1(VALU_DEP_1)
	v_dual_cndmask_b32 v24, v24, v26 :: v_dual_cndmask_b32 v11, v11, v25
	v_xor_b32_e32 v24, v24, v40
	s_delay_alu instid0(VALU_DEP_2) | instskip(NEXT) | instid1(VALU_DEP_2)
	v_xor_b32_e32 v11, v11, v40
	v_sub_co_u32 v26, vcc_lo, v24, v40
	s_delay_alu instid0(VALU_DEP_2)
	v_sub_co_ci_u32_e32 v27, vcc_lo, v11, v40, vcc_lo
                                        ; implicit-def: $vgpr24_vgpr25
.LBB98_49:                              ;   in Loop: Header=BB98_34 Depth=2
	s_and_not1_saveexec_b32 s1, s37
	s_cbranch_execz .LBB98_31
; %bb.50:                               ;   in Loop: Header=BB98_34 Depth=2
	v_cvt_f32_u32_e32 v11, s8
	s_sub_i32 s19, 0, s8
	v_mov_b32_e32 v27, v10
	s_delay_alu instid0(VALU_DEP_2) | instskip(SKIP_2) | instid1(VALU_DEP_1)
	v_rcp_iflag_f32_e32 v11, v11
	s_waitcnt_depctr 0xfff
	v_mul_f32_e32 v11, 0x4f7ffffe, v11
	v_cvt_u32_f32_e32 v11, v11
	s_delay_alu instid0(VALU_DEP_1) | instskip(NEXT) | instid1(VALU_DEP_1)
	v_mul_lo_u32 v25, s19, v11
	v_mul_hi_u32 v25, v11, v25
	s_delay_alu instid0(VALU_DEP_1) | instskip(NEXT) | instid1(VALU_DEP_1)
	v_add_nc_u32_e32 v11, v11, v25
	v_mul_hi_u32 v11, v24, v11
	s_delay_alu instid0(VALU_DEP_1) | instskip(NEXT) | instid1(VALU_DEP_1)
	v_mul_lo_u32 v11, v11, s8
	v_sub_nc_u32_e32 v11, v24, v11
	s_delay_alu instid0(VALU_DEP_1) | instskip(SKIP_1) | instid1(VALU_DEP_2)
	v_subrev_nc_u32_e32 v24, s8, v11
	v_cmp_le_u32_e32 vcc_lo, s8, v11
	v_cndmask_b32_e32 v11, v11, v24, vcc_lo
	s_delay_alu instid0(VALU_DEP_1) | instskip(SKIP_1) | instid1(VALU_DEP_2)
	v_subrev_nc_u32_e32 v24, s8, v11
	v_cmp_le_u32_e32 vcc_lo, s8, v11
	v_cndmask_b32_e32 v26, v11, v24, vcc_lo
	s_branch .LBB98_31
.LBB98_51:                              ;   in Loop: Header=BB98_10 Depth=1
	s_add_u32 s20, s8, s18
	s_mov_b32 s19, s18
	s_addc_u32 s21, s9, s18
	s_delay_alu instid0(SALU_CYCLE_1) | instskip(NEXT) | instid1(SALU_CYCLE_1)
	s_xor_b64 s[20:21], s[20:21], s[18:19]
	v_cvt_f32_u32_e32 v11, s20
	v_cvt_f32_u32_e32 v18, s21
	s_sub_u32 s1, 0, s20
	s_subb_u32 s19, 0, s21
	s_delay_alu instid0(VALU_DEP_1) | instskip(NEXT) | instid1(VALU_DEP_1)
	v_fmac_f32_e32 v11, 0x4f800000, v18
	v_rcp_f32_e32 v11, v11
	s_waitcnt_depctr 0xfff
	v_mul_f32_e32 v11, 0x5f7ffffc, v11
	s_delay_alu instid0(VALU_DEP_1) | instskip(NEXT) | instid1(VALU_DEP_1)
	v_mul_f32_e32 v18, 0x2f800000, v11
	v_trunc_f32_e32 v18, v18
	s_delay_alu instid0(VALU_DEP_1) | instskip(SKIP_1) | instid1(VALU_DEP_2)
	v_fmac_f32_e32 v11, 0xcf800000, v18
	v_cvt_u32_f32_e32 v18, v18
	v_cvt_u32_f32_e32 v11, v11
	s_delay_alu instid0(VALU_DEP_2) | instskip(NEXT) | instid1(VALU_DEP_2)
	v_mul_lo_u32 v19, s1, v18
	v_mul_hi_u32 v20, s1, v11
	v_mul_lo_u32 v21, s19, v11
	s_delay_alu instid0(VALU_DEP_2) | instskip(SKIP_1) | instid1(VALU_DEP_2)
	v_add_nc_u32_e32 v19, v20, v19
	v_mul_lo_u32 v20, s1, v11
	v_add_nc_u32_e32 v19, v19, v21
	s_delay_alu instid0(VALU_DEP_2) | instskip(NEXT) | instid1(VALU_DEP_2)
	v_mul_hi_u32 v21, v11, v20
	v_mul_lo_u32 v22, v11, v19
	v_mul_hi_u32 v23, v11, v19
	v_mul_hi_u32 v24, v18, v20
	v_mul_lo_u32 v20, v18, v20
	v_mul_hi_u32 v25, v18, v19
	v_mul_lo_u32 v19, v18, v19
	v_add_co_u32 v21, vcc_lo, v21, v22
	v_add_co_ci_u32_e32 v22, vcc_lo, 0, v23, vcc_lo
	s_delay_alu instid0(VALU_DEP_2) | instskip(NEXT) | instid1(VALU_DEP_2)
	v_add_co_u32 v20, vcc_lo, v21, v20
	v_add_co_ci_u32_e32 v20, vcc_lo, v22, v24, vcc_lo
	v_add_co_ci_u32_e32 v21, vcc_lo, 0, v25, vcc_lo
	v_ashrrev_i32_e32 v24, 31, v17
	s_delay_alu instid0(VALU_DEP_3) | instskip(NEXT) | instid1(VALU_DEP_3)
	v_add_co_u32 v19, vcc_lo, v20, v19
	v_add_co_ci_u32_e32 v20, vcc_lo, 0, v21, vcc_lo
	s_delay_alu instid0(VALU_DEP_2) | instskip(NEXT) | instid1(VALU_DEP_2)
	v_add_co_u32 v11, vcc_lo, v11, v19
	v_add_co_ci_u32_e32 v18, vcc_lo, v18, v20, vcc_lo
	s_delay_alu instid0(VALU_DEP_2) | instskip(SKIP_1) | instid1(VALU_DEP_3)
	v_mul_hi_u32 v19, s1, v11
	v_mul_lo_u32 v21, s19, v11
	v_mul_lo_u32 v20, s1, v18
	s_delay_alu instid0(VALU_DEP_1) | instskip(SKIP_1) | instid1(VALU_DEP_2)
	v_add_nc_u32_e32 v19, v19, v20
	v_mul_lo_u32 v20, s1, v11
	v_add_nc_u32_e32 v19, v19, v21
	s_delay_alu instid0(VALU_DEP_2) | instskip(NEXT) | instid1(VALU_DEP_2)
	v_mul_hi_u32 v21, v11, v20
	v_mul_lo_u32 v22, v11, v19
	v_mul_hi_u32 v23, v11, v19
	v_mul_hi_u32 v25, v18, v20
	v_mul_lo_u32 v20, v18, v20
	v_mul_hi_u32 v26, v18, v19
	v_mul_lo_u32 v19, v18, v19
	v_add_co_u32 v21, vcc_lo, v21, v22
	v_add_co_ci_u32_e32 v22, vcc_lo, 0, v23, vcc_lo
	s_delay_alu instid0(VALU_DEP_2) | instskip(NEXT) | instid1(VALU_DEP_2)
	v_add_co_u32 v20, vcc_lo, v21, v20
	v_add_co_ci_u32_e32 v20, vcc_lo, v22, v25, vcc_lo
	v_add_co_ci_u32_e32 v21, vcc_lo, 0, v26, vcc_lo
	v_add_co_u32 v22, vcc_lo, v16, v24
	v_add_co_ci_u32_e32 v23, vcc_lo, v17, v24, vcc_lo
	s_delay_alu instid0(VALU_DEP_4) | instskip(NEXT) | instid1(VALU_DEP_4)
	v_add_co_u32 v19, vcc_lo, v20, v19
	v_add_co_ci_u32_e32 v20, vcc_lo, 0, v21, vcc_lo
	s_delay_alu instid0(VALU_DEP_4) | instskip(NEXT) | instid1(VALU_DEP_3)
	v_xor_b32_e32 v25, v22, v24
	v_add_co_u32 v11, vcc_lo, v11, v19
	s_delay_alu instid0(VALU_DEP_3) | instskip(SKIP_1) | instid1(VALU_DEP_3)
	v_add_co_ci_u32_e32 v26, vcc_lo, v18, v20, vcc_lo
	v_xor_b32_e32 v27, v23, v24
	v_mul_hi_u32 v28, v25, v11
	s_delay_alu instid0(VALU_DEP_3) | instskip(NEXT) | instid1(VALU_DEP_3)
	v_mad_u64_u32 v[18:19], null, v25, v26, 0
	v_mad_u64_u32 v[20:21], null, v27, v11, 0
	;; [unrolled: 1-line block ×3, first 2 shown]
	s_delay_alu instid0(VALU_DEP_3) | instskip(NEXT) | instid1(VALU_DEP_4)
	v_add_co_u32 v11, vcc_lo, v28, v18
	v_add_co_ci_u32_e32 v18, vcc_lo, 0, v19, vcc_lo
	s_delay_alu instid0(VALU_DEP_2) | instskip(NEXT) | instid1(VALU_DEP_2)
	v_add_co_u32 v11, vcc_lo, v11, v20
	v_add_co_ci_u32_e32 v11, vcc_lo, v18, v21, vcc_lo
	v_add_co_ci_u32_e32 v18, vcc_lo, 0, v23, vcc_lo
	s_delay_alu instid0(VALU_DEP_2) | instskip(NEXT) | instid1(VALU_DEP_2)
	v_add_co_u32 v11, vcc_lo, v11, v22
	v_add_co_ci_u32_e32 v20, vcc_lo, 0, v18, vcc_lo
	s_delay_alu instid0(VALU_DEP_2) | instskip(SKIP_1) | instid1(VALU_DEP_3)
	v_mul_lo_u32 v21, s21, v11
	v_mad_u64_u32 v[18:19], null, s20, v11, 0
	v_mul_lo_u32 v22, s20, v20
	s_delay_alu instid0(VALU_DEP_2) | instskip(NEXT) | instid1(VALU_DEP_2)
	v_sub_co_u32 v18, vcc_lo, v25, v18
	v_add3_u32 v19, v19, v22, v21
	s_delay_alu instid0(VALU_DEP_1) | instskip(NEXT) | instid1(VALU_DEP_1)
	v_sub_nc_u32_e32 v21, v27, v19
	v_subrev_co_ci_u32_e64 v21, s1, s21, v21, vcc_lo
	v_add_co_u32 v22, s1, v11, 2
	s_delay_alu instid0(VALU_DEP_1) | instskip(SKIP_3) | instid1(VALU_DEP_3)
	v_add_co_ci_u32_e64 v23, s1, 0, v20, s1
	v_sub_co_u32 v25, s1, v18, s20
	v_sub_co_ci_u32_e32 v19, vcc_lo, v27, v19, vcc_lo
	v_subrev_co_ci_u32_e64 v21, s1, 0, v21, s1
	v_cmp_le_u32_e32 vcc_lo, s20, v25
	s_delay_alu instid0(VALU_DEP_3) | instskip(SKIP_1) | instid1(VALU_DEP_4)
	v_cmp_eq_u32_e64 s1, s21, v19
	v_cndmask_b32_e64 v25, 0, -1, vcc_lo
	v_cmp_le_u32_e32 vcc_lo, s21, v21
	v_cndmask_b32_e64 v26, 0, -1, vcc_lo
	v_cmp_le_u32_e32 vcc_lo, s20, v18
	;; [unrolled: 2-line block ×3, first 2 shown]
	v_cndmask_b32_e64 v27, 0, -1, vcc_lo
	v_cmp_eq_u32_e32 vcc_lo, s21, v21
	s_delay_alu instid0(VALU_DEP_2) | instskip(SKIP_3) | instid1(VALU_DEP_3)
	v_cndmask_b32_e64 v18, v27, v18, s1
	v_cndmask_b32_e32 v21, v26, v25, vcc_lo
	v_add_co_u32 v25, vcc_lo, v11, 1
	v_add_co_ci_u32_e32 v26, vcc_lo, 0, v20, vcc_lo
	v_cmp_ne_u32_e32 vcc_lo, 0, v21
	s_delay_alu instid0(VALU_DEP_2) | instskip(NEXT) | instid1(VALU_DEP_4)
	v_cndmask_b32_e32 v19, v26, v23, vcc_lo
	v_cndmask_b32_e32 v21, v25, v22, vcc_lo
	v_cmp_ne_u32_e32 vcc_lo, 0, v18
	v_xor_b32_e32 v22, s18, v24
	s_delay_alu instid0(VALU_DEP_3) | instskip(NEXT) | instid1(VALU_DEP_1)
	v_dual_cndmask_b32 v11, v11, v21 :: v_dual_cndmask_b32 v18, v20, v19
	v_xor_b32_e32 v11, v11, v22
	s_delay_alu instid0(VALU_DEP_2) | instskip(NEXT) | instid1(VALU_DEP_2)
	v_xor_b32_e32 v19, v18, v22
	v_sub_co_u32 v18, vcc_lo, v11, v22
	s_delay_alu instid0(VALU_DEP_2)
	v_sub_co_ci_u32_e32 v19, vcc_lo, v19, v22, vcc_lo
	s_and_not1_saveexec_b32 s1, s23
	s_cbranch_execz .LBB98_26
.LBB98_52:                              ;   in Loop: Header=BB98_10 Depth=1
	v_cvt_f32_u32_e32 v11, s8
	s_sub_i32 s19, 0, s8
	s_delay_alu instid0(VALU_DEP_1) | instskip(SKIP_2) | instid1(VALU_DEP_1)
	v_rcp_iflag_f32_e32 v11, v11
	s_waitcnt_depctr 0xfff
	v_mul_f32_e32 v11, 0x4f7ffffe, v11
	v_cvt_u32_f32_e32 v11, v11
	s_delay_alu instid0(VALU_DEP_1) | instskip(NEXT) | instid1(VALU_DEP_1)
	v_mul_lo_u32 v18, s19, v11
	v_mul_hi_u32 v18, v11, v18
	s_delay_alu instid0(VALU_DEP_1) | instskip(NEXT) | instid1(VALU_DEP_1)
	v_add_nc_u32_e32 v11, v11, v18
	v_mul_hi_u32 v11, v16, v11
	s_delay_alu instid0(VALU_DEP_1) | instskip(SKIP_1) | instid1(VALU_DEP_2)
	v_mul_lo_u32 v18, v11, s8
	v_add_nc_u32_e32 v19, 1, v11
	v_sub_nc_u32_e32 v18, v16, v18
	s_delay_alu instid0(VALU_DEP_1) | instskip(SKIP_1) | instid1(VALU_DEP_2)
	v_subrev_nc_u32_e32 v20, s8, v18
	v_cmp_le_u32_e32 vcc_lo, s8, v18
	v_dual_cndmask_b32 v18, v18, v20 :: v_dual_cndmask_b32 v11, v11, v19
	s_delay_alu instid0(VALU_DEP_1) | instskip(NEXT) | instid1(VALU_DEP_2)
	v_cmp_le_u32_e32 vcc_lo, s8, v18
	v_add_nc_u32_e32 v19, 1, v11
	s_delay_alu instid0(VALU_DEP_1) | instskip(SKIP_1) | instid1(SALU_CYCLE_1)
	v_dual_cndmask_b32 v18, v11, v19 :: v_dual_mov_b32 v19, v10
	s_or_b32 exec_lo, exec_lo, s1
	s_mov_b32 s1, exec_lo
	s_delay_alu instid0(VALU_DEP_1)
	v_cmpx_ge_i64_e64 v[18:19], v[14:15]
	s_cbranch_execnz .LBB98_27
	s_branch .LBB98_28
.LBB98_53:
	s_nop 0
	s_sendmsg sendmsg(MSG_DEALLOC_VGPRS)
	s_endpgm
	.section	.rodata,"a",@progbits
	.p2align	6, 0x0
	.amdhsa_kernel _ZN9rocsparseL21csr2bsr_65_inf_kernelILj32E21rocsparse_complex_numIfEilEEv20rocsparse_direction_T2_S4_S4_S4_S4_S4_21rocsparse_index_base_PKT0_PKT1_PKS4_S5_PS6_PS9_PS4_SF_SG_SE_
		.amdhsa_group_segment_fixed_size 0
		.amdhsa_private_segment_fixed_size 0
		.amdhsa_kernarg_size 144
		.amdhsa_user_sgpr_count 15
		.amdhsa_user_sgpr_dispatch_ptr 0
		.amdhsa_user_sgpr_queue_ptr 0
		.amdhsa_user_sgpr_kernarg_segment_ptr 1
		.amdhsa_user_sgpr_dispatch_id 0
		.amdhsa_user_sgpr_private_segment_size 0
		.amdhsa_wavefront_size32 1
		.amdhsa_uses_dynamic_stack 0
		.amdhsa_enable_private_segment 0
		.amdhsa_system_sgpr_workgroup_id_x 1
		.amdhsa_system_sgpr_workgroup_id_y 0
		.amdhsa_system_sgpr_workgroup_id_z 0
		.amdhsa_system_sgpr_workgroup_info 0
		.amdhsa_system_vgpr_workitem_id 0
		.amdhsa_next_free_vgpr 48
		.amdhsa_next_free_sgpr 38
		.amdhsa_reserve_vcc 1
		.amdhsa_float_round_mode_32 0
		.amdhsa_float_round_mode_16_64 0
		.amdhsa_float_denorm_mode_32 3
		.amdhsa_float_denorm_mode_16_64 3
		.amdhsa_dx10_clamp 1
		.amdhsa_ieee_mode 1
		.amdhsa_fp16_overflow 0
		.amdhsa_workgroup_processor_mode 1
		.amdhsa_memory_ordered 1
		.amdhsa_forward_progress 0
		.amdhsa_shared_vgpr_count 0
		.amdhsa_exception_fp_ieee_invalid_op 0
		.amdhsa_exception_fp_denorm_src 0
		.amdhsa_exception_fp_ieee_div_zero 0
		.amdhsa_exception_fp_ieee_overflow 0
		.amdhsa_exception_fp_ieee_underflow 0
		.amdhsa_exception_fp_ieee_inexact 0
		.amdhsa_exception_int_div_zero 0
	.end_amdhsa_kernel
	.section	.text._ZN9rocsparseL21csr2bsr_65_inf_kernelILj32E21rocsparse_complex_numIfEilEEv20rocsparse_direction_T2_S4_S4_S4_S4_S4_21rocsparse_index_base_PKT0_PKT1_PKS4_S5_PS6_PS9_PS4_SF_SG_SE_,"axG",@progbits,_ZN9rocsparseL21csr2bsr_65_inf_kernelILj32E21rocsparse_complex_numIfEilEEv20rocsparse_direction_T2_S4_S4_S4_S4_S4_21rocsparse_index_base_PKT0_PKT1_PKS4_S5_PS6_PS9_PS4_SF_SG_SE_,comdat
.Lfunc_end98:
	.size	_ZN9rocsparseL21csr2bsr_65_inf_kernelILj32E21rocsparse_complex_numIfEilEEv20rocsparse_direction_T2_S4_S4_S4_S4_S4_21rocsparse_index_base_PKT0_PKT1_PKS4_S5_PS6_PS9_PS4_SF_SG_SE_, .Lfunc_end98-_ZN9rocsparseL21csr2bsr_65_inf_kernelILj32E21rocsparse_complex_numIfEilEEv20rocsparse_direction_T2_S4_S4_S4_S4_S4_21rocsparse_index_base_PKT0_PKT1_PKS4_S5_PS6_PS9_PS4_SF_SG_SE_
                                        ; -- End function
	.section	.AMDGPU.csdata,"",@progbits
; Kernel info:
; codeLenInByte = 6364
; NumSgprs: 40
; NumVgprs: 48
; ScratchSize: 0
; MemoryBound: 1
; FloatMode: 240
; IeeeMode: 1
; LDSByteSize: 0 bytes/workgroup (compile time only)
; SGPRBlocks: 4
; VGPRBlocks: 5
; NumSGPRsForWavesPerEU: 40
; NumVGPRsForWavesPerEU: 48
; Occupancy: 16
; WaveLimiterHint : 1
; COMPUTE_PGM_RSRC2:SCRATCH_EN: 0
; COMPUTE_PGM_RSRC2:USER_SGPR: 15
; COMPUTE_PGM_RSRC2:TRAP_HANDLER: 0
; COMPUTE_PGM_RSRC2:TGID_X_EN: 1
; COMPUTE_PGM_RSRC2:TGID_Y_EN: 0
; COMPUTE_PGM_RSRC2:TGID_Z_EN: 0
; COMPUTE_PGM_RSRC2:TIDIG_COMP_CNT: 0
	.section	.text._ZN9rocsparseL35csr2bsr_block_dim_equals_one_kernelILj256E21rocsparse_complex_numIfEllEEvT2_S3_S3_S3_21rocsparse_index_base_PKT0_PKT1_PKS3_S4_PS5_PS8_PS3_,"axG",@progbits,_ZN9rocsparseL35csr2bsr_block_dim_equals_one_kernelILj256E21rocsparse_complex_numIfEllEEvT2_S3_S3_S3_21rocsparse_index_base_PKT0_PKT1_PKS3_S4_PS5_PS8_PS3_,comdat
	.globl	_ZN9rocsparseL35csr2bsr_block_dim_equals_one_kernelILj256E21rocsparse_complex_numIfEllEEvT2_S3_S3_S3_21rocsparse_index_base_PKT0_PKT1_PKS3_S4_PS5_PS8_PS3_ ; -- Begin function _ZN9rocsparseL35csr2bsr_block_dim_equals_one_kernelILj256E21rocsparse_complex_numIfEllEEvT2_S3_S3_S3_21rocsparse_index_base_PKT0_PKT1_PKS3_S4_PS5_PS8_PS3_
	.p2align	8
	.type	_ZN9rocsparseL35csr2bsr_block_dim_equals_one_kernelILj256E21rocsparse_complex_numIfEllEEvT2_S3_S3_S3_21rocsparse_index_base_PKT0_PKT1_PKS3_S4_PS5_PS8_PS3_,@function
_ZN9rocsparseL35csr2bsr_block_dim_equals_one_kernelILj256E21rocsparse_complex_numIfEllEEvT2_S3_S3_S3_21rocsparse_index_base_PKT0_PKT1_PKS3_S4_PS5_PS8_PS3_: ; @_ZN9rocsparseL35csr2bsr_block_dim_equals_one_kernelILj256E21rocsparse_complex_numIfEllEEvT2_S3_S3_S3_21rocsparse_index_base_PKT0_PKT1_PKS3_S4_PS5_PS8_PS3_
; %bb.0:
	s_clause 0x1
	s_load_b64 s[2:3], s[0:1], 0x0
	s_load_b128 s[4:7], s[0:1], 0x28
	v_lshl_or_b32 v0, s15, 8, v0
	v_mov_b32_e32 v1, 0
	s_waitcnt lgkmcnt(0)
	s_lshl_b64 s[2:3], s[2:3], 3
	s_delay_alu instid0(SALU_CYCLE_1)
	s_add_u32 s2, s6, s2
	s_addc_u32 s3, s7, s3
	s_clause 0x1
	s_load_b64 s[2:3], s[2:3], 0x0
	s_load_b64 s[6:7], s[6:7], 0x0
	s_waitcnt lgkmcnt(0)
	s_sub_u32 s2, s2, s6
	s_subb_u32 s3, s3, s7
	s_mov_b32 s6, exec_lo
	v_cmpx_gt_i64_e64 s[2:3], v[0:1]
	s_cbranch_execz .LBB99_3
; %bb.1:
	s_clause 0x5
	s_load_b32 s12, s[0:1], 0x40
	s_load_b64 s[6:7], s[0:1], 0x48
	s_load_b32 s14, s[0:1], 0x20
	s_load_b32 s15, s[0:1], 0x60
	s_load_b64 s[8:9], s[0:1], 0x38
	s_load_b64 s[10:11], s[0:1], 0x58
	v_lshlrev_b64 v[2:3], 3, v[0:1]
	s_mov_b32 s13, 0
	s_waitcnt lgkmcnt(0)
	s_sub_u32 s1, s12, s14
	s_subb_u32 s16, 0, 0
	s_lshl_b32 s12, s15, 8
	s_delay_alu instid0(SALU_CYCLE_1)
	s_lshl_b64 s[14:15], s[12:13], 3
	s_set_inst_prefetch_distance 0x1
	.p2align	6
.LBB99_2:                               ; =>This Inner Loop Header: Depth=1
	v_add_co_u32 v4, vcc_lo, s8, v2
	v_add_co_ci_u32_e32 v5, vcc_lo, s9, v3, vcc_lo
	v_add_co_u32 v6, vcc_lo, s10, v2
	v_add_co_ci_u32_e32 v7, vcc_lo, s11, v3, vcc_lo
	global_load_b64 v[4:5], v[4:5], off
	v_add_co_u32 v8, vcc_lo, s4, v2
	v_add_co_ci_u32_e32 v9, vcc_lo, s5, v3, vcc_lo
	v_add_co_u32 v0, vcc_lo, v0, s12
	v_add_co_ci_u32_e32 v1, vcc_lo, 0, v1, vcc_lo
	s_waitcnt vmcnt(0)
	v_add_co_u32 v4, s0, s1, v4
	s_delay_alu instid0(VALU_DEP_1)
	v_add_co_ci_u32_e64 v5, s0, s16, v5, s0
	global_store_b64 v[6:7], v[4:5], off
	global_load_b64 v[4:5], v[8:9], off
	v_add_co_u32 v6, vcc_lo, s6, v2
	v_add_co_ci_u32_e32 v7, vcc_lo, s7, v3, vcc_lo
	v_cmp_le_i64_e32 vcc_lo, s[2:3], v[0:1]
	v_add_co_u32 v2, s0, v2, s14
	s_delay_alu instid0(VALU_DEP_1)
	v_add_co_ci_u32_e64 v3, s0, s15, v3, s0
	s_or_b32 s13, vcc_lo, s13
	s_waitcnt vmcnt(0)
	global_store_b64 v[6:7], v[4:5], off
	s_and_not1_b32 exec_lo, exec_lo, s13
	s_cbranch_execnz .LBB99_2
.LBB99_3:
	s_set_inst_prefetch_distance 0x2
	s_nop 0
	s_sendmsg sendmsg(MSG_DEALLOC_VGPRS)
	s_endpgm
	.section	.rodata,"a",@progbits
	.p2align	6, 0x0
	.amdhsa_kernel _ZN9rocsparseL35csr2bsr_block_dim_equals_one_kernelILj256E21rocsparse_complex_numIfEllEEvT2_S3_S3_S3_21rocsparse_index_base_PKT0_PKT1_PKS3_S4_PS5_PS8_PS3_
		.amdhsa_group_segment_fixed_size 0
		.amdhsa_private_segment_fixed_size 0
		.amdhsa_kernarg_size 352
		.amdhsa_user_sgpr_count 15
		.amdhsa_user_sgpr_dispatch_ptr 0
		.amdhsa_user_sgpr_queue_ptr 0
		.amdhsa_user_sgpr_kernarg_segment_ptr 1
		.amdhsa_user_sgpr_dispatch_id 0
		.amdhsa_user_sgpr_private_segment_size 0
		.amdhsa_wavefront_size32 1
		.amdhsa_uses_dynamic_stack 0
		.amdhsa_enable_private_segment 0
		.amdhsa_system_sgpr_workgroup_id_x 1
		.amdhsa_system_sgpr_workgroup_id_y 0
		.amdhsa_system_sgpr_workgroup_id_z 0
		.amdhsa_system_sgpr_workgroup_info 0
		.amdhsa_system_vgpr_workitem_id 0
		.amdhsa_next_free_vgpr 10
		.amdhsa_next_free_sgpr 17
		.amdhsa_reserve_vcc 1
		.amdhsa_float_round_mode_32 0
		.amdhsa_float_round_mode_16_64 0
		.amdhsa_float_denorm_mode_32 3
		.amdhsa_float_denorm_mode_16_64 3
		.amdhsa_dx10_clamp 1
		.amdhsa_ieee_mode 1
		.amdhsa_fp16_overflow 0
		.amdhsa_workgroup_processor_mode 1
		.amdhsa_memory_ordered 1
		.amdhsa_forward_progress 0
		.amdhsa_shared_vgpr_count 0
		.amdhsa_exception_fp_ieee_invalid_op 0
		.amdhsa_exception_fp_denorm_src 0
		.amdhsa_exception_fp_ieee_div_zero 0
		.amdhsa_exception_fp_ieee_overflow 0
		.amdhsa_exception_fp_ieee_underflow 0
		.amdhsa_exception_fp_ieee_inexact 0
		.amdhsa_exception_int_div_zero 0
	.end_amdhsa_kernel
	.section	.text._ZN9rocsparseL35csr2bsr_block_dim_equals_one_kernelILj256E21rocsparse_complex_numIfEllEEvT2_S3_S3_S3_21rocsparse_index_base_PKT0_PKT1_PKS3_S4_PS5_PS8_PS3_,"axG",@progbits,_ZN9rocsparseL35csr2bsr_block_dim_equals_one_kernelILj256E21rocsparse_complex_numIfEllEEvT2_S3_S3_S3_21rocsparse_index_base_PKT0_PKT1_PKS3_S4_PS5_PS8_PS3_,comdat
.Lfunc_end99:
	.size	_ZN9rocsparseL35csr2bsr_block_dim_equals_one_kernelILj256E21rocsparse_complex_numIfEllEEvT2_S3_S3_S3_21rocsparse_index_base_PKT0_PKT1_PKS3_S4_PS5_PS8_PS3_, .Lfunc_end99-_ZN9rocsparseL35csr2bsr_block_dim_equals_one_kernelILj256E21rocsparse_complex_numIfEllEEvT2_S3_S3_S3_21rocsparse_index_base_PKT0_PKT1_PKS3_S4_PS5_PS8_PS3_
                                        ; -- End function
	.section	.AMDGPU.csdata,"",@progbits
; Kernel info:
; codeLenInByte = 364
; NumSgprs: 19
; NumVgprs: 10
; ScratchSize: 0
; MemoryBound: 0
; FloatMode: 240
; IeeeMode: 1
; LDSByteSize: 0 bytes/workgroup (compile time only)
; SGPRBlocks: 2
; VGPRBlocks: 1
; NumSGPRsForWavesPerEU: 19
; NumVGPRsForWavesPerEU: 10
; Occupancy: 16
; WaveLimiterHint : 0
; COMPUTE_PGM_RSRC2:SCRATCH_EN: 0
; COMPUTE_PGM_RSRC2:USER_SGPR: 15
; COMPUTE_PGM_RSRC2:TRAP_HANDLER: 0
; COMPUTE_PGM_RSRC2:TGID_X_EN: 1
; COMPUTE_PGM_RSRC2:TGID_Y_EN: 0
; COMPUTE_PGM_RSRC2:TGID_Z_EN: 0
; COMPUTE_PGM_RSRC2:TIDIG_COMP_CNT: 0
	.section	.text._ZN9rocsparseL42csr2bsr_wavefront_per_row_multipass_kernelILj256ELj16ELj4E21rocsparse_complex_numIfEllEEv20rocsparse_direction_T4_S4_S4_S4_S4_21rocsparse_index_base_PKT2_PKT3_PKS4_S5_PS6_PS9_PS4_,"axG",@progbits,_ZN9rocsparseL42csr2bsr_wavefront_per_row_multipass_kernelILj256ELj16ELj4E21rocsparse_complex_numIfEllEEv20rocsparse_direction_T4_S4_S4_S4_S4_21rocsparse_index_base_PKT2_PKT3_PKS4_S5_PS6_PS9_PS4_,comdat
	.globl	_ZN9rocsparseL42csr2bsr_wavefront_per_row_multipass_kernelILj256ELj16ELj4E21rocsparse_complex_numIfEllEEv20rocsparse_direction_T4_S4_S4_S4_S4_21rocsparse_index_base_PKT2_PKT3_PKS4_S5_PS6_PS9_PS4_ ; -- Begin function _ZN9rocsparseL42csr2bsr_wavefront_per_row_multipass_kernelILj256ELj16ELj4E21rocsparse_complex_numIfEllEEv20rocsparse_direction_T4_S4_S4_S4_S4_21rocsparse_index_base_PKT2_PKT3_PKS4_S5_PS6_PS9_PS4_
	.p2align	8
	.type	_ZN9rocsparseL42csr2bsr_wavefront_per_row_multipass_kernelILj256ELj16ELj4E21rocsparse_complex_numIfEllEEv20rocsparse_direction_T4_S4_S4_S4_S4_21rocsparse_index_base_PKT2_PKT3_PKS4_S5_PS6_PS9_PS4_,@function
_ZN9rocsparseL42csr2bsr_wavefront_per_row_multipass_kernelILj256ELj16ELj4E21rocsparse_complex_numIfEllEEv20rocsparse_direction_T4_S4_S4_S4_S4_21rocsparse_index_base_PKT2_PKT3_PKS4_S5_PS6_PS9_PS4_: ; @_ZN9rocsparseL42csr2bsr_wavefront_per_row_multipass_kernelILj256ELj16ELj4E21rocsparse_complex_numIfEllEEv20rocsparse_direction_T4_S4_S4_S4_S4_21rocsparse_index_base_PKT2_PKT3_PKS4_S5_PS6_PS9_PS4_
; %bb.0:
	s_load_b64 s[8:9], s[0:1], 0x28
	v_lshrrev_b32_e32 v26, 4, v0
	s_mov_b32 s10, s15
	s_ashr_i32 s11, s15, 31
	s_clause 0x1
	s_load_b64 s[14:15], s[0:1], 0x8
	s_load_b128 s[4:7], s[0:1], 0x18
	s_lshl_b64 s[2:3], s[10:11], 4
	v_mov_b32_e32 v9, 0
	v_or_b32_e32 v1, s2, v26
	v_bfe_u32 v8, v0, 2, 2
	s_clause 0x1
	s_load_b32 s16, s[0:1], 0x30
	s_load_b64 s[12:13], s[0:1], 0x40
	s_waitcnt lgkmcnt(0)
	v_mul_lo_u32 v2, v1, s9
	v_mad_u64_u32 v[3:4], null, v1, s8, v[8:9]
	s_mul_i32 s2, s3, s8
	s_delay_alu instid0(VALU_DEP_1) | instid1(SALU_CYCLE_1)
	v_add3_u32 v4, s2, v4, v2
	v_mov_b32_e32 v1, 0
	v_mov_b32_e32 v2, 0
	v_cmp_gt_i64_e64 s2, s[8:9], v[8:9]
	s_delay_alu instid0(VALU_DEP_4) | instskip(NEXT) | instid1(VALU_DEP_3)
	v_cmp_gt_i64_e32 vcc_lo, s[14:15], v[3:4]
	v_dual_mov_b32 v16, v2 :: v_dual_mov_b32 v15, v1
	s_delay_alu instid0(VALU_DEP_3) | instskip(NEXT) | instid1(SALU_CYCLE_1)
	s_and_b32 s3, s2, vcc_lo
	s_and_saveexec_b32 s11, s3
	s_cbranch_execz .LBB100_2
; %bb.1:
	v_lshlrev_b64 v[5:6], 3, v[3:4]
	s_delay_alu instid0(VALU_DEP_1) | instskip(NEXT) | instid1(VALU_DEP_2)
	v_add_co_u32 v5, vcc_lo, s12, v5
	v_add_co_ci_u32_e32 v6, vcc_lo, s13, v6, vcc_lo
	global_load_b64 v[5:6], v[5:6], off
	s_waitcnt vmcnt(0)
	v_sub_co_u32 v15, vcc_lo, v5, s16
	v_subrev_co_ci_u32_e32 v16, vcc_lo, 0, v6, vcc_lo
.LBB100_2:
	s_or_b32 exec_lo, exec_lo, s11
	s_and_saveexec_b32 s11, s3
	s_cbranch_execz .LBB100_4
; %bb.3:
	v_lshlrev_b64 v[1:2], 3, v[3:4]
	s_delay_alu instid0(VALU_DEP_1) | instskip(NEXT) | instid1(VALU_DEP_2)
	v_add_co_u32 v1, vcc_lo, s12, v1
	v_add_co_ci_u32_e32 v2, vcc_lo, s13, v2, vcc_lo
	global_load_b64 v[1:2], v[1:2], off offset:8
	s_waitcnt vmcnt(0)
	v_sub_co_u32 v1, vcc_lo, v1, s16
	v_subrev_co_ci_u32_e32 v2, vcc_lo, 0, v2, vcc_lo
.LBB100_4:
	s_or_b32 exec_lo, exec_lo, s11
	s_load_b32 s17, s[0:1], 0x50
	v_dual_mov_b32 v6, 0 :: v_dual_mov_b32 v3, 0
	v_lshl_or_b32 v5, s10, 4, v26
	v_mov_b32_e32 v4, 0
	s_mov_b32 s3, exec_lo
	s_delay_alu instid0(VALU_DEP_2)
	v_cmpx_gt_i64_e64 s[4:5], v[5:6]
	s_cbranch_execz .LBB100_6
; %bb.5:
	s_load_b64 s[4:5], s[0:1], 0x60
	v_lshlrev_b64 v[3:4], 3, v[5:6]
	s_waitcnt lgkmcnt(0)
	s_delay_alu instid0(VALU_DEP_1) | instskip(NEXT) | instid1(VALU_DEP_2)
	v_add_co_u32 v3, vcc_lo, s4, v3
	v_add_co_ci_u32_e32 v4, vcc_lo, s5, v4, vcc_lo
	global_load_b64 v[3:4], v[3:4], off
	s_waitcnt vmcnt(0)
	v_sub_co_u32 v3, vcc_lo, v3, s17
	v_subrev_co_ci_u32_e32 v4, vcc_lo, 0, v4, vcc_lo
.LBB100_6:
	s_or_b32 exec_lo, exec_lo, s3
	v_cmp_lt_i64_e64 s3, s[6:7], 1
	s_delay_alu instid0(VALU_DEP_1)
	s_and_b32 vcc_lo, exec_lo, s3
	s_cbranch_vccnz .LBB100_25
; %bb.7:
	v_dual_mov_b32 v7, 0 :: v_dual_and_b32 v6, 0x3f0, v0
	v_mbcnt_lo_u32_b32 v17, -1, 0
	v_and_b32_e32 v5, 3, v0
	s_load_b64 s[4:5], s[0:1], 0x68
	s_delay_alu instid0(VALU_DEP_3)
	v_lshl_or_b32 v0, v8, 2, v6
	v_mov_b32_e32 v6, v7
	v_xor_b32_e32 v13, 2, v17
	v_xor_b32_e32 v18, 1, v17
	v_mad_u64_u32 v[9:10], null, v5, s8, 0
	v_or_b32_e32 v11, v0, v5
	s_delay_alu instid0(VALU_DEP_4)
	v_cmp_gt_i32_e32 vcc_lo, 32, v13
	s_clause 0x3
	s_load_b64 s[14:15], s[0:1], 0x58
	s_load_b64 s[10:11], s[0:1], 0x48
	;; [unrolled: 1-line block ×3, first 2 shown]
	s_load_b32 s0, s[0:1], 0x0
	s_mov_b32 s1, 0
	s_mul_i32 s20, s8, s8
	v_mov_b32_e32 v35, 1
	v_cndmask_b32_e32 v19, v17, v13, vcc_lo
	v_cmp_gt_i32_e32 vcc_lo, 32, v18
	v_lshlrev_b32_e32 v27, 3, v11
	v_mad_u64_u32 v[11:12], null, v8, s8, 0
	s_delay_alu instid0(VALU_DEP_1) | instskip(SKIP_3) | instid1(VALU_DEP_3)
	v_mad_u64_u32 v[13:14], null, v5, s9, v[10:11]
	v_cndmask_b32_e32 v10, v17, v18, vcc_lo
	v_cmp_gt_i64_e32 vcc_lo, s[8:9], v[5:6]
	v_lshlrev_b32_e32 v18, 3, v8
	v_lshlrev_b32_e32 v6, 2, v10
	v_mov_b32_e32 v10, v13
	v_mad_u64_u32 v[13:14], null, v8, s9, v[12:13]
	s_and_b32 s18, s2, vcc_lo
	v_lshlrev_b32_e32 v14, 2, v17
	s_delay_alu instid0(VALU_DEP_3)
	v_lshlrev_b64 v[9:10], 3, v[9:10]
	s_waitcnt lgkmcnt(0)
	s_cmp_eq_u32 s0, 0
	s_mul_i32 s0, s8, s9
	s_mul_hi_u32 s2, s8, s8
	v_mov_b32_e32 v12, v13
	v_add_co_u32 v13, vcc_lo, s14, v9
	v_add_co_ci_u32_e32 v10, vcc_lo, s15, v10, vcc_lo
	s_delay_alu instid0(VALU_DEP_3) | instskip(NEXT) | instid1(VALU_DEP_3)
	v_lshlrev_b64 v[8:9], 3, v[11:12]
	v_add_co_u32 v11, vcc_lo, v13, v18
	s_delay_alu instid0(VALU_DEP_3) | instskip(SKIP_1) | instid1(VALU_DEP_4)
	v_add_co_ci_u32_e32 v10, vcc_lo, 0, v10, vcc_lo
	v_lshlrev_b32_e32 v12, 3, v5
	v_add_co_u32 v8, vcc_lo, s14, v8
	v_add_co_ci_u32_e32 v9, vcc_lo, s15, v9, vcc_lo
	v_xor_b32_e32 v13, 8, v17
	s_delay_alu instid0(VALU_DEP_3) | instskip(NEXT) | instid1(VALU_DEP_3)
	v_add_co_u32 v8, vcc_lo, v8, v12
	v_add_co_ci_u32_e32 v9, vcc_lo, 0, v9, vcc_lo
	v_xor_b32_e32 v18, 4, v17
	s_delay_alu instid0(VALU_DEP_4) | instskip(SKIP_1) | instid1(VALU_DEP_3)
	v_cmp_gt_i32_e32 vcc_lo, 32, v13
	v_cndmask_b32_e32 v12, v17, v13, vcc_lo
	v_cmp_gt_i32_e32 vcc_lo, 32, v18
	v_lshlrev_b32_e32 v28, 2, v19
	s_delay_alu instid0(VALU_DEP_3)
	v_dual_cndmask_b32 v13, v17, v18 :: v_dual_lshlrev_b32 v30, 2, v12
	s_cselect_b32 vcc_lo, -1, 0
	s_add_i32 s2, s2, s0
	v_dual_cndmask_b32 v34, v11, v8 :: v_dual_mov_b32 v11, 0
	v_or_b32_e32 v29, 12, v14
	v_lshlrev_b32_e32 v31, 2, v13
	v_or_b32_e32 v32, 60, v14
	v_dual_cndmask_b32 v33, v10, v9 :: v_dual_mov_b32 v12, 0
	v_dual_mov_b32 v9, 0 :: v_dual_mov_b32 v10, v7
	s_add_i32 s19, s2, s0
	s_ashr_i32 s2, s9, 31
	s_sub_i32 s21, 0, s8
	s_branch .LBB100_10
.LBB100_8:                              ;   in Loop: Header=BB100_10 Depth=1
	s_or_b32 exec_lo, exec_lo, s3
	v_mov_b32_e32 v17, 1
	v_mov_b32_e32 v18, 0
.LBB100_9:                              ;   in Loop: Header=BB100_10 Depth=1
	s_or_b32 exec_lo, exec_lo, s0
	ds_bpermute_b32 v11, v30, v13
	ds_bpermute_b32 v12, v30, v14
	v_add_co_u32 v3, s0, v17, v3
	s_delay_alu instid0(VALU_DEP_1)
	v_add_co_ci_u32_e64 v4, s0, v18, v4, s0
	s_waitcnt lgkmcnt(0)
	s_waitcnt_vscnt null, 0x0
	buffer_gl0_inv
	buffer_gl0_inv
	v_cmp_lt_i64_e32 vcc_lo, v[11:12], v[13:14]
	v_dual_cndmask_b32 v12, v14, v12 :: v_dual_cndmask_b32 v11, v13, v11
	ds_bpermute_b32 v14, v31, v12
	ds_bpermute_b32 v13, v31, v11
	s_waitcnt lgkmcnt(0)
	v_cmp_lt_i64_e32 vcc_lo, v[13:14], v[11:12]
	v_dual_cndmask_b32 v12, v12, v14 :: v_dual_cndmask_b32 v11, v11, v13
	ds_bpermute_b32 v14, v28, v12
	ds_bpermute_b32 v13, v28, v11
	s_waitcnt lgkmcnt(0)
	;; [unrolled: 5-line block ×4, first 2 shown]
	v_cmp_le_i64_e32 vcc_lo, s[6:7], v[11:12]
	s_or_b32 s1, vcc_lo, s1
	s_delay_alu instid0(SALU_CYCLE_1)
	s_and_not1_b32 exec_lo, exec_lo, s1
	s_cbranch_execz .LBB100_25
.LBB100_10:                             ; =>This Loop Header: Depth=1
                                        ;     Child Loop BB100_13 Depth 2
	v_add_co_u32 v15, vcc_lo, v15, v5
	v_add_co_ci_u32_e32 v16, vcc_lo, 0, v16, vcc_lo
	v_dual_mov_b32 v14, s7 :: v_dual_mov_b32 v13, s6
	v_dual_mov_b32 v25, v2 :: v_dual_mov_b32 v24, v1
	s_mov_b32 s22, exec_lo
	ds_store_b8 v26, v7 offset:2048
	ds_store_b64 v27, v[9:10]
	s_waitcnt lgkmcnt(0)
	buffer_gl0_inv
	v_cmpx_lt_i64_e64 v[15:16], v[1:2]
	s_cbranch_execz .LBB100_22
; %bb.11:                               ;   in Loop: Header=BB100_10 Depth=1
	v_lshlrev_b64 v[13:14], 3, v[15:16]
	v_mad_u64_u32 v[17:18], null, v11, s8, 0
	v_dual_mov_b32 v23, v2 :: v_dual_mov_b32 v22, v1
	s_mov_b32 s23, 0
	s_delay_alu instid0(VALU_DEP_3) | instskip(NEXT) | instid1(VALU_DEP_4)
	v_add_co_u32 v18, vcc_lo, s12, v13
	v_add_co_ci_u32_e32 v19, vcc_lo, s13, v14, vcc_lo
	v_add_co_u32 v20, vcc_lo, s10, v13
	v_add_co_ci_u32_e32 v21, vcc_lo, s11, v14, vcc_lo
	v_dual_mov_b32 v14, s7 :: v_dual_mov_b32 v13, s6
	s_branch .LBB100_13
.LBB100_12:                             ;   in Loop: Header=BB100_13 Depth=2
	s_or_b32 exec_lo, exec_lo, s0
	v_add_co_u32 v15, s0, v15, 4
	s_delay_alu instid0(VALU_DEP_1) | instskip(SKIP_2) | instid1(VALU_DEP_2)
	v_add_co_ci_u32_e64 v16, s0, 0, v16, s0
	s_xor_b32 s3, vcc_lo, -1
	v_add_co_u32 v18, vcc_lo, v18, 32
	v_cmp_ge_i64_e64 s0, v[15:16], v[1:2]
	v_add_co_ci_u32_e32 v19, vcc_lo, 0, v19, vcc_lo
	v_add_co_u32 v20, vcc_lo, v20, 32
	v_add_co_ci_u32_e32 v21, vcc_lo, 0, v21, vcc_lo
	s_delay_alu instid0(VALU_DEP_4) | instskip(SKIP_2) | instid1(SALU_CYCLE_1)
	s_or_b32 s0, s3, s0
	v_dual_mov_b32 v22, v24 :: v_dual_mov_b32 v23, v25
	s_and_b32 s0, exec_lo, s0
	s_or_b32 s23, s0, s23
	s_delay_alu instid0(SALU_CYCLE_1)
	s_and_not1_b32 exec_lo, exec_lo, s23
	s_cbranch_execz .LBB100_21
.LBB100_13:                             ;   Parent Loop BB100_10 Depth=1
                                        ; =>  This Inner Loop Header: Depth=2
	global_load_b64 v[24:25], v[20:21], off
	s_mov_b32 s0, exec_lo
	s_waitcnt vmcnt(0)
	v_sub_co_u32 v36, vcc_lo, v24, s16
	v_subrev_co_ci_u32_e32 v37, vcc_lo, 0, v25, vcc_lo
                                        ; implicit-def: $vgpr24_vgpr25
	s_delay_alu instid0(VALU_DEP_1) | instskip(NEXT) | instid1(VALU_DEP_1)
	v_or_b32_e32 v8, s9, v37
	v_cmpx_ne_u64_e32 0, v[7:8]
	s_xor_b32 s24, exec_lo, s0
	s_cbranch_execz .LBB100_15
; %bb.14:                               ;   in Loop: Header=BB100_13 Depth=2
	s_add_u32 s14, s8, s2
	s_mov_b32 s3, s2
	s_addc_u32 s15, s9, s2
	s_delay_alu instid0(SALU_CYCLE_1) | instskip(NEXT) | instid1(SALU_CYCLE_1)
	s_xor_b64 s[14:15], s[14:15], s[2:3]
	v_cvt_f32_u32_e32 v8, s14
	v_cvt_f32_u32_e32 v24, s15
	s_sub_u32 s0, 0, s14
	s_subb_u32 s3, 0, s15
	s_delay_alu instid0(VALU_DEP_1) | instskip(NEXT) | instid1(VALU_DEP_1)
	v_fmac_f32_e32 v8, 0x4f800000, v24
	v_rcp_f32_e32 v8, v8
	s_waitcnt_depctr 0xfff
	v_mul_f32_e32 v8, 0x5f7ffffc, v8
	s_delay_alu instid0(VALU_DEP_1) | instskip(NEXT) | instid1(VALU_DEP_1)
	v_mul_f32_e32 v24, 0x2f800000, v8
	v_trunc_f32_e32 v24, v24
	s_delay_alu instid0(VALU_DEP_1) | instskip(SKIP_1) | instid1(VALU_DEP_2)
	v_fmac_f32_e32 v8, 0xcf800000, v24
	v_cvt_u32_f32_e32 v24, v24
	v_cvt_u32_f32_e32 v8, v8
	s_delay_alu instid0(VALU_DEP_2) | instskip(NEXT) | instid1(VALU_DEP_2)
	v_mul_lo_u32 v25, s0, v24
	v_mul_hi_u32 v38, s0, v8
	v_mul_lo_u32 v39, s3, v8
	s_delay_alu instid0(VALU_DEP_2) | instskip(SKIP_1) | instid1(VALU_DEP_2)
	v_add_nc_u32_e32 v25, v38, v25
	v_mul_lo_u32 v38, s0, v8
	v_add_nc_u32_e32 v25, v25, v39
	s_delay_alu instid0(VALU_DEP_2) | instskip(NEXT) | instid1(VALU_DEP_2)
	v_mul_hi_u32 v39, v8, v38
	v_mul_lo_u32 v40, v8, v25
	v_mul_hi_u32 v41, v8, v25
	v_mul_hi_u32 v42, v24, v38
	v_mul_lo_u32 v38, v24, v38
	v_mul_hi_u32 v43, v24, v25
	v_mul_lo_u32 v25, v24, v25
	v_add_co_u32 v39, vcc_lo, v39, v40
	v_add_co_ci_u32_e32 v40, vcc_lo, 0, v41, vcc_lo
	s_delay_alu instid0(VALU_DEP_2) | instskip(NEXT) | instid1(VALU_DEP_2)
	v_add_co_u32 v38, vcc_lo, v39, v38
	v_add_co_ci_u32_e32 v38, vcc_lo, v40, v42, vcc_lo
	v_add_co_ci_u32_e32 v39, vcc_lo, 0, v43, vcc_lo
	v_ashrrev_i32_e32 v42, 31, v37
	s_delay_alu instid0(VALU_DEP_3) | instskip(NEXT) | instid1(VALU_DEP_3)
	v_add_co_u32 v25, vcc_lo, v38, v25
	v_add_co_ci_u32_e32 v38, vcc_lo, 0, v39, vcc_lo
	s_delay_alu instid0(VALU_DEP_2) | instskip(NEXT) | instid1(VALU_DEP_2)
	v_add_co_u32 v8, vcc_lo, v8, v25
	v_add_co_ci_u32_e32 v24, vcc_lo, v24, v38, vcc_lo
	s_delay_alu instid0(VALU_DEP_2) | instskip(SKIP_1) | instid1(VALU_DEP_3)
	v_mul_hi_u32 v25, s0, v8
	v_mul_lo_u32 v39, s3, v8
	v_mul_lo_u32 v38, s0, v24
	s_delay_alu instid0(VALU_DEP_1) | instskip(SKIP_1) | instid1(VALU_DEP_2)
	v_add_nc_u32_e32 v25, v25, v38
	v_mul_lo_u32 v38, s0, v8
	v_add_nc_u32_e32 v25, v25, v39
	s_delay_alu instid0(VALU_DEP_2) | instskip(NEXT) | instid1(VALU_DEP_2)
	v_mul_hi_u32 v39, v8, v38
	v_mul_lo_u32 v40, v8, v25
	v_mul_hi_u32 v41, v8, v25
	v_mul_hi_u32 v43, v24, v38
	v_mul_lo_u32 v38, v24, v38
	v_mul_hi_u32 v44, v24, v25
	v_mul_lo_u32 v25, v24, v25
	v_add_co_u32 v39, vcc_lo, v39, v40
	v_add_co_ci_u32_e32 v40, vcc_lo, 0, v41, vcc_lo
	s_delay_alu instid0(VALU_DEP_2) | instskip(NEXT) | instid1(VALU_DEP_2)
	v_add_co_u32 v38, vcc_lo, v39, v38
	v_add_co_ci_u32_e32 v38, vcc_lo, v40, v43, vcc_lo
	v_add_co_ci_u32_e32 v39, vcc_lo, 0, v44, vcc_lo
	v_add_co_u32 v40, vcc_lo, v36, v42
	v_add_co_ci_u32_e32 v37, vcc_lo, v37, v42, vcc_lo
	s_delay_alu instid0(VALU_DEP_4) | instskip(NEXT) | instid1(VALU_DEP_4)
	v_add_co_u32 v25, vcc_lo, v38, v25
	v_add_co_ci_u32_e32 v38, vcc_lo, 0, v39, vcc_lo
	s_delay_alu instid0(VALU_DEP_4) | instskip(NEXT) | instid1(VALU_DEP_3)
	v_xor_b32_e32 v41, v40, v42
	v_add_co_u32 v8, vcc_lo, v8, v25
	s_delay_alu instid0(VALU_DEP_3) | instskip(SKIP_1) | instid1(VALU_DEP_3)
	v_add_co_ci_u32_e32 v43, vcc_lo, v24, v38, vcc_lo
	v_xor_b32_e32 v44, v37, v42
	v_mul_hi_u32 v45, v41, v8
	s_delay_alu instid0(VALU_DEP_3) | instskip(NEXT) | instid1(VALU_DEP_3)
	v_mad_u64_u32 v[24:25], null, v41, v43, 0
	v_mad_u64_u32 v[37:38], null, v44, v8, 0
	;; [unrolled: 1-line block ×3, first 2 shown]
	s_delay_alu instid0(VALU_DEP_3) | instskip(NEXT) | instid1(VALU_DEP_4)
	v_add_co_u32 v8, vcc_lo, v45, v24
	v_add_co_ci_u32_e32 v24, vcc_lo, 0, v25, vcc_lo
	s_delay_alu instid0(VALU_DEP_2) | instskip(NEXT) | instid1(VALU_DEP_2)
	v_add_co_u32 v8, vcc_lo, v8, v37
	v_add_co_ci_u32_e32 v8, vcc_lo, v24, v38, vcc_lo
	v_add_co_ci_u32_e32 v24, vcc_lo, 0, v40, vcc_lo
	s_delay_alu instid0(VALU_DEP_2) | instskip(NEXT) | instid1(VALU_DEP_2)
	v_add_co_u32 v8, vcc_lo, v8, v39
	v_add_co_ci_u32_e32 v37, vcc_lo, 0, v24, vcc_lo
	s_delay_alu instid0(VALU_DEP_2) | instskip(SKIP_1) | instid1(VALU_DEP_3)
	v_mul_lo_u32 v38, s15, v8
	v_mad_u64_u32 v[24:25], null, s14, v8, 0
	v_mul_lo_u32 v39, s14, v37
	s_delay_alu instid0(VALU_DEP_2) | instskip(NEXT) | instid1(VALU_DEP_2)
	v_sub_co_u32 v24, vcc_lo, v41, v24
	v_add3_u32 v25, v25, v39, v38
	s_delay_alu instid0(VALU_DEP_1) | instskip(NEXT) | instid1(VALU_DEP_1)
	v_sub_nc_u32_e32 v38, v44, v25
	v_subrev_co_ci_u32_e64 v38, s0, s15, v38, vcc_lo
	v_add_co_u32 v39, s0, v8, 2
	s_delay_alu instid0(VALU_DEP_1) | instskip(SKIP_3) | instid1(VALU_DEP_3)
	v_add_co_ci_u32_e64 v40, s0, 0, v37, s0
	v_sub_co_u32 v41, s0, v24, s14
	v_sub_co_ci_u32_e32 v25, vcc_lo, v44, v25, vcc_lo
	v_subrev_co_ci_u32_e64 v38, s0, 0, v38, s0
	v_cmp_le_u32_e32 vcc_lo, s14, v41
	s_delay_alu instid0(VALU_DEP_3) | instskip(SKIP_1) | instid1(VALU_DEP_4)
	v_cmp_eq_u32_e64 s0, s15, v25
	v_cndmask_b32_e64 v41, 0, -1, vcc_lo
	v_cmp_le_u32_e32 vcc_lo, s15, v38
	v_cndmask_b32_e64 v43, 0, -1, vcc_lo
	v_cmp_le_u32_e32 vcc_lo, s14, v24
	;; [unrolled: 2-line block ×3, first 2 shown]
	v_cndmask_b32_e64 v44, 0, -1, vcc_lo
	v_cmp_eq_u32_e32 vcc_lo, s15, v38
	s_delay_alu instid0(VALU_DEP_2) | instskip(SKIP_3) | instid1(VALU_DEP_3)
	v_cndmask_b32_e64 v24, v44, v24, s0
	v_cndmask_b32_e32 v38, v43, v41, vcc_lo
	v_add_co_u32 v41, vcc_lo, v8, 1
	v_add_co_ci_u32_e32 v43, vcc_lo, 0, v37, vcc_lo
	v_cmp_ne_u32_e32 vcc_lo, 0, v38
	s_delay_alu instid0(VALU_DEP_2) | instskip(SKIP_2) | instid1(VALU_DEP_3)
	v_dual_cndmask_b32 v25, v43, v40 :: v_dual_cndmask_b32 v38, v41, v39
	v_cmp_ne_u32_e32 vcc_lo, 0, v24
	v_xor_b32_e32 v39, s2, v42
	v_cndmask_b32_e32 v8, v8, v38, vcc_lo
	s_delay_alu instid0(VALU_DEP_4) | instskip(NEXT) | instid1(VALU_DEP_2)
	v_cndmask_b32_e32 v24, v37, v25, vcc_lo
	v_xor_b32_e32 v8, v8, v39
	s_delay_alu instid0(VALU_DEP_2) | instskip(NEXT) | instid1(VALU_DEP_2)
	v_xor_b32_e32 v25, v24, v39
	v_sub_co_u32 v24, vcc_lo, v8, v39
	s_delay_alu instid0(VALU_DEP_2)
	v_sub_co_ci_u32_e32 v25, vcc_lo, v25, v39, vcc_lo
.LBB100_15:                             ;   in Loop: Header=BB100_13 Depth=2
	s_and_not1_saveexec_b32 s0, s24
	s_cbranch_execz .LBB100_17
; %bb.16:                               ;   in Loop: Header=BB100_13 Depth=2
	v_cvt_f32_u32_e32 v8, s8
	s_delay_alu instid0(VALU_DEP_1) | instskip(SKIP_2) | instid1(VALU_DEP_1)
	v_rcp_iflag_f32_e32 v8, v8
	s_waitcnt_depctr 0xfff
	v_mul_f32_e32 v8, 0x4f7ffffe, v8
	v_cvt_u32_f32_e32 v8, v8
	s_delay_alu instid0(VALU_DEP_1) | instskip(NEXT) | instid1(VALU_DEP_1)
	v_mul_lo_u32 v24, s21, v8
	v_mul_hi_u32 v24, v8, v24
	s_delay_alu instid0(VALU_DEP_1) | instskip(NEXT) | instid1(VALU_DEP_1)
	v_add_nc_u32_e32 v8, v8, v24
	v_mul_hi_u32 v8, v36, v8
	s_delay_alu instid0(VALU_DEP_1) | instskip(NEXT) | instid1(VALU_DEP_1)
	v_mul_lo_u32 v24, v8, s8
	v_sub_nc_u32_e32 v24, v36, v24
	s_delay_alu instid0(VALU_DEP_1) | instskip(SKIP_1) | instid1(VALU_DEP_2)
	v_subrev_nc_u32_e32 v37, s8, v24
	v_cmp_le_u32_e32 vcc_lo, s8, v24
	v_dual_cndmask_b32 v24, v24, v37 :: v_dual_add_nc_u32 v25, 1, v8
	s_delay_alu instid0(VALU_DEP_1) | instskip(NEXT) | instid1(VALU_DEP_2)
	v_cndmask_b32_e32 v8, v8, v25, vcc_lo
	v_cmp_le_u32_e32 vcc_lo, s8, v24
	s_delay_alu instid0(VALU_DEP_2) | instskip(NEXT) | instid1(VALU_DEP_1)
	v_add_nc_u32_e32 v25, 1, v8
	v_dual_cndmask_b32 v24, v8, v25 :: v_dual_mov_b32 v25, v7
.LBB100_17:                             ;   in Loop: Header=BB100_13 Depth=2
	s_or_b32 exec_lo, exec_lo, s0
	s_delay_alu instid0(VALU_DEP_1)
	v_cmp_eq_u64_e32 vcc_lo, v[24:25], v[11:12]
	s_mov_b32 s3, exec_lo
	v_cmpx_ne_u64_e64 v[24:25], v[11:12]
	s_xor_b32 s3, exec_lo, s3
; %bb.18:                               ;   in Loop: Header=BB100_13 Depth=2
	v_cmp_lt_i64_e64 s0, v[24:25], v[13:14]
                                        ; implicit-def: $vgpr36
                                        ; implicit-def: $vgpr22_vgpr23
	s_delay_alu instid0(VALU_DEP_1)
	v_cndmask_b32_e64 v14, v14, v25, s0
	v_cndmask_b32_e64 v13, v13, v24, s0
; %bb.19:                               ;   in Loop: Header=BB100_13 Depth=2
	s_or_saveexec_b32 s0, s3
	v_dual_mov_b32 v25, v16 :: v_dual_mov_b32 v24, v15
	s_xor_b32 exec_lo, exec_lo, s0
	s_cbranch_execz .LBB100_12
; %bb.20:                               ;   in Loop: Header=BB100_13 Depth=2
	global_load_b64 v[37:38], v[18:19], off
	v_sub_nc_u32_e32 v8, v36, v17
	v_dual_mov_b32 v25, v23 :: v_dual_mov_b32 v24, v22
	s_delay_alu instid0(VALU_DEP_2)
	v_add_lshl_u32 v8, v0, v8, 3
	ds_store_b8 v26, v35 offset:2048
	s_waitcnt vmcnt(0)
	ds_store_b64 v8, v[37:38]
	s_branch .LBB100_12
.LBB100_21:                             ;   in Loop: Header=BB100_10 Depth=1
	s_or_b32 exec_lo, exec_lo, s23
.LBB100_22:                             ;   in Loop: Header=BB100_10 Depth=1
	s_delay_alu instid0(SALU_CYCLE_1)
	s_or_b32 exec_lo, exec_lo, s22
	ds_bpermute_b32 v15, v28, v24
	ds_bpermute_b32 v16, v28, v25
	s_waitcnt lgkmcnt(0)
	buffer_gl0_inv
	ds_load_u8 v8, v26 offset:2048
	s_mov_b32 s0, exec_lo
	v_cmp_lt_i64_e32 vcc_lo, v[15:16], v[24:25]
	s_waitcnt lgkmcnt(0)
	v_and_b32_e32 v8, 1, v8
	v_dual_cndmask_b32 v16, v25, v16 :: v_dual_cndmask_b32 v15, v24, v15
	ds_bpermute_b32 v18, v6, v16
	ds_bpermute_b32 v17, v6, v15
	s_waitcnt lgkmcnt(0)
	v_cmp_lt_i64_e32 vcc_lo, v[17:18], v[15:16]
	v_dual_cndmask_b32 v16, v16, v18 :: v_dual_cndmask_b32 v15, v15, v17
	v_mov_b32_e32 v17, 0
	v_mov_b32_e32 v18, 0
	ds_bpermute_b32 v16, v29, v16
	ds_bpermute_b32 v15, v29, v15
	v_cmpx_eq_u32_e32 1, v8
	s_cbranch_execz .LBB100_9
; %bb.23:                               ;   in Loop: Header=BB100_10 Depth=1
	v_lshlrev_b64 v[17:18], 3, v[3:4]
	v_add_co_u32 v11, vcc_lo, v11, s17
	v_add_co_ci_u32_e32 v12, vcc_lo, 0, v12, vcc_lo
	s_delay_alu instid0(VALU_DEP_3) | instskip(NEXT) | instid1(VALU_DEP_4)
	v_add_co_u32 v17, vcc_lo, s4, v17
	v_add_co_ci_u32_e32 v18, vcc_lo, s5, v18, vcc_lo
	global_store_b64 v[17:18], v[11:12], off
	s_and_saveexec_b32 s3, s18
	s_cbranch_execz .LBB100_8
; %bb.24:                               ;   in Loop: Header=BB100_10 Depth=1
	v_mul_lo_u32 v8, s19, v3
	v_mul_lo_u32 v19, s20, v4
	v_mad_u64_u32 v[11:12], null, s20, v3, 0
	ds_load_b64 v[17:18], v27
	v_add3_u32 v12, v12, v19, v8
	s_delay_alu instid0(VALU_DEP_1) | instskip(NEXT) | instid1(VALU_DEP_1)
	v_lshlrev_b64 v[11:12], 3, v[11:12]
	v_add_co_u32 v11, vcc_lo, v34, v11
	s_delay_alu instid0(VALU_DEP_2)
	v_add_co_ci_u32_e32 v12, vcc_lo, v33, v12, vcc_lo
	s_waitcnt lgkmcnt(0)
	global_store_b64 v[11:12], v[17:18], off
	s_branch .LBB100_8
.LBB100_25:
	s_endpgm
	.section	.rodata,"a",@progbits
	.p2align	6, 0x0
	.amdhsa_kernel _ZN9rocsparseL42csr2bsr_wavefront_per_row_multipass_kernelILj256ELj16ELj4E21rocsparse_complex_numIfEllEEv20rocsparse_direction_T4_S4_S4_S4_S4_21rocsparse_index_base_PKT2_PKT3_PKS4_S5_PS6_PS9_PS4_
		.amdhsa_group_segment_fixed_size 2064
		.amdhsa_private_segment_fixed_size 0
		.amdhsa_kernarg_size 112
		.amdhsa_user_sgpr_count 15
		.amdhsa_user_sgpr_dispatch_ptr 0
		.amdhsa_user_sgpr_queue_ptr 0
		.amdhsa_user_sgpr_kernarg_segment_ptr 1
		.amdhsa_user_sgpr_dispatch_id 0
		.amdhsa_user_sgpr_private_segment_size 0
		.amdhsa_wavefront_size32 1
		.amdhsa_uses_dynamic_stack 0
		.amdhsa_enable_private_segment 0
		.amdhsa_system_sgpr_workgroup_id_x 1
		.amdhsa_system_sgpr_workgroup_id_y 0
		.amdhsa_system_sgpr_workgroup_id_z 0
		.amdhsa_system_sgpr_workgroup_info 0
		.amdhsa_system_vgpr_workitem_id 0
		.amdhsa_next_free_vgpr 46
		.amdhsa_next_free_sgpr 25
		.amdhsa_reserve_vcc 1
		.amdhsa_float_round_mode_32 0
		.amdhsa_float_round_mode_16_64 0
		.amdhsa_float_denorm_mode_32 3
		.amdhsa_float_denorm_mode_16_64 3
		.amdhsa_dx10_clamp 1
		.amdhsa_ieee_mode 1
		.amdhsa_fp16_overflow 0
		.amdhsa_workgroup_processor_mode 1
		.amdhsa_memory_ordered 1
		.amdhsa_forward_progress 0
		.amdhsa_shared_vgpr_count 0
		.amdhsa_exception_fp_ieee_invalid_op 0
		.amdhsa_exception_fp_denorm_src 0
		.amdhsa_exception_fp_ieee_div_zero 0
		.amdhsa_exception_fp_ieee_overflow 0
		.amdhsa_exception_fp_ieee_underflow 0
		.amdhsa_exception_fp_ieee_inexact 0
		.amdhsa_exception_int_div_zero 0
	.end_amdhsa_kernel
	.section	.text._ZN9rocsparseL42csr2bsr_wavefront_per_row_multipass_kernelILj256ELj16ELj4E21rocsparse_complex_numIfEllEEv20rocsparse_direction_T4_S4_S4_S4_S4_21rocsparse_index_base_PKT2_PKT3_PKS4_S5_PS6_PS9_PS4_,"axG",@progbits,_ZN9rocsparseL42csr2bsr_wavefront_per_row_multipass_kernelILj256ELj16ELj4E21rocsparse_complex_numIfEllEEv20rocsparse_direction_T4_S4_S4_S4_S4_21rocsparse_index_base_PKT2_PKT3_PKS4_S5_PS6_PS9_PS4_,comdat
.Lfunc_end100:
	.size	_ZN9rocsparseL42csr2bsr_wavefront_per_row_multipass_kernelILj256ELj16ELj4E21rocsparse_complex_numIfEllEEv20rocsparse_direction_T4_S4_S4_S4_S4_21rocsparse_index_base_PKT2_PKT3_PKS4_S5_PS6_PS9_PS4_, .Lfunc_end100-_ZN9rocsparseL42csr2bsr_wavefront_per_row_multipass_kernelILj256ELj16ELj4E21rocsparse_complex_numIfEllEEv20rocsparse_direction_T4_S4_S4_S4_S4_21rocsparse_index_base_PKT2_PKT3_PKS4_S5_PS6_PS9_PS4_
                                        ; -- End function
	.section	.AMDGPU.csdata,"",@progbits
; Kernel info:
; codeLenInByte = 2676
; NumSgprs: 27
; NumVgprs: 46
; ScratchSize: 0
; MemoryBound: 0
; FloatMode: 240
; IeeeMode: 1
; LDSByteSize: 2064 bytes/workgroup (compile time only)
; SGPRBlocks: 3
; VGPRBlocks: 5
; NumSGPRsForWavesPerEU: 27
; NumVGPRsForWavesPerEU: 46
; Occupancy: 16
; WaveLimiterHint : 0
; COMPUTE_PGM_RSRC2:SCRATCH_EN: 0
; COMPUTE_PGM_RSRC2:USER_SGPR: 15
; COMPUTE_PGM_RSRC2:TRAP_HANDLER: 0
; COMPUTE_PGM_RSRC2:TGID_X_EN: 1
; COMPUTE_PGM_RSRC2:TGID_Y_EN: 0
; COMPUTE_PGM_RSRC2:TGID_Z_EN: 0
; COMPUTE_PGM_RSRC2:TIDIG_COMP_CNT: 0
	.section	.text._ZN9rocsparseL42csr2bsr_wavefront_per_row_multipass_kernelILj256ELj64ELj8E21rocsparse_complex_numIfEllEEv20rocsparse_direction_T4_S4_S4_S4_S4_21rocsparse_index_base_PKT2_PKT3_PKS4_S5_PS6_PS9_PS4_,"axG",@progbits,_ZN9rocsparseL42csr2bsr_wavefront_per_row_multipass_kernelILj256ELj64ELj8E21rocsparse_complex_numIfEllEEv20rocsparse_direction_T4_S4_S4_S4_S4_21rocsparse_index_base_PKT2_PKT3_PKS4_S5_PS6_PS9_PS4_,comdat
	.globl	_ZN9rocsparseL42csr2bsr_wavefront_per_row_multipass_kernelILj256ELj64ELj8E21rocsparse_complex_numIfEllEEv20rocsparse_direction_T4_S4_S4_S4_S4_21rocsparse_index_base_PKT2_PKT3_PKS4_S5_PS6_PS9_PS4_ ; -- Begin function _ZN9rocsparseL42csr2bsr_wavefront_per_row_multipass_kernelILj256ELj64ELj8E21rocsparse_complex_numIfEllEEv20rocsparse_direction_T4_S4_S4_S4_S4_21rocsparse_index_base_PKT2_PKT3_PKS4_S5_PS6_PS9_PS4_
	.p2align	8
	.type	_ZN9rocsparseL42csr2bsr_wavefront_per_row_multipass_kernelILj256ELj64ELj8E21rocsparse_complex_numIfEllEEv20rocsparse_direction_T4_S4_S4_S4_S4_21rocsparse_index_base_PKT2_PKT3_PKS4_S5_PS6_PS9_PS4_,@function
_ZN9rocsparseL42csr2bsr_wavefront_per_row_multipass_kernelILj256ELj64ELj8E21rocsparse_complex_numIfEllEEv20rocsparse_direction_T4_S4_S4_S4_S4_21rocsparse_index_base_PKT2_PKT3_PKS4_S5_PS6_PS9_PS4_: ; @_ZN9rocsparseL42csr2bsr_wavefront_per_row_multipass_kernelILj256ELj64ELj8E21rocsparse_complex_numIfEllEEv20rocsparse_direction_T4_S4_S4_S4_S4_21rocsparse_index_base_PKT2_PKT3_PKS4_S5_PS6_PS9_PS4_
; %bb.0:
	s_load_b64 s[8:9], s[0:1], 0x28
	v_lshrrev_b32_e32 v26, 6, v0
	s_mov_b32 s10, s15
	s_ashr_i32 s11, s15, 31
	s_clause 0x1
	s_load_b64 s[14:15], s[0:1], 0x8
	s_load_b128 s[4:7], s[0:1], 0x18
	s_lshl_b64 s[2:3], s[10:11], 2
	v_mov_b32_e32 v9, 0
	v_or_b32_e32 v1, s2, v26
	v_bfe_u32 v8, v0, 3, 3
	s_clause 0x1
	s_load_b32 s16, s[0:1], 0x30
	s_load_b64 s[12:13], s[0:1], 0x40
	s_waitcnt lgkmcnt(0)
	v_mul_lo_u32 v2, v1, s9
	v_mad_u64_u32 v[3:4], null, v1, s8, v[8:9]
	s_mul_i32 s2, s3, s8
	s_delay_alu instid0(VALU_DEP_1) | instid1(SALU_CYCLE_1)
	v_add3_u32 v4, s2, v4, v2
	v_mov_b32_e32 v1, 0
	v_mov_b32_e32 v2, 0
	v_cmp_gt_i64_e64 s2, s[8:9], v[8:9]
	s_delay_alu instid0(VALU_DEP_4) | instskip(NEXT) | instid1(VALU_DEP_3)
	v_cmp_gt_i64_e32 vcc_lo, s[14:15], v[3:4]
	v_dual_mov_b32 v16, v2 :: v_dual_mov_b32 v15, v1
	s_delay_alu instid0(VALU_DEP_3) | instskip(NEXT) | instid1(SALU_CYCLE_1)
	s_and_b32 s3, s2, vcc_lo
	s_and_saveexec_b32 s11, s3
	s_cbranch_execz .LBB101_2
; %bb.1:
	v_lshlrev_b64 v[5:6], 3, v[3:4]
	s_delay_alu instid0(VALU_DEP_1) | instskip(NEXT) | instid1(VALU_DEP_2)
	v_add_co_u32 v5, vcc_lo, s12, v5
	v_add_co_ci_u32_e32 v6, vcc_lo, s13, v6, vcc_lo
	global_load_b64 v[5:6], v[5:6], off
	s_waitcnt vmcnt(0)
	v_sub_co_u32 v15, vcc_lo, v5, s16
	v_subrev_co_ci_u32_e32 v16, vcc_lo, 0, v6, vcc_lo
.LBB101_2:
	s_or_b32 exec_lo, exec_lo, s11
	s_and_saveexec_b32 s11, s3
	s_cbranch_execz .LBB101_4
; %bb.3:
	v_lshlrev_b64 v[1:2], 3, v[3:4]
	s_delay_alu instid0(VALU_DEP_1) | instskip(NEXT) | instid1(VALU_DEP_2)
	v_add_co_u32 v1, vcc_lo, s12, v1
	v_add_co_ci_u32_e32 v2, vcc_lo, s13, v2, vcc_lo
	global_load_b64 v[1:2], v[1:2], off offset:8
	s_waitcnt vmcnt(0)
	v_sub_co_u32 v1, vcc_lo, v1, s16
	v_subrev_co_ci_u32_e32 v2, vcc_lo, 0, v2, vcc_lo
.LBB101_4:
	s_or_b32 exec_lo, exec_lo, s11
	s_load_b32 s17, s[0:1], 0x50
	v_dual_mov_b32 v6, 0 :: v_dual_mov_b32 v3, 0
	v_lshl_or_b32 v5, s10, 2, v26
	v_mov_b32_e32 v4, 0
	s_mov_b32 s3, exec_lo
	s_delay_alu instid0(VALU_DEP_2)
	v_cmpx_gt_i64_e64 s[4:5], v[5:6]
	s_cbranch_execz .LBB101_6
; %bb.5:
	s_load_b64 s[4:5], s[0:1], 0x60
	v_lshlrev_b64 v[3:4], 3, v[5:6]
	s_waitcnt lgkmcnt(0)
	s_delay_alu instid0(VALU_DEP_1) | instskip(NEXT) | instid1(VALU_DEP_2)
	v_add_co_u32 v3, vcc_lo, s4, v3
	v_add_co_ci_u32_e32 v4, vcc_lo, s5, v4, vcc_lo
	global_load_b64 v[3:4], v[3:4], off
	s_waitcnt vmcnt(0)
	v_sub_co_u32 v3, vcc_lo, v3, s17
	v_subrev_co_ci_u32_e32 v4, vcc_lo, 0, v4, vcc_lo
.LBB101_6:
	s_or_b32 exec_lo, exec_lo, s3
	v_cmp_lt_i64_e64 s3, s[6:7], 1
	s_delay_alu instid0(VALU_DEP_1)
	s_and_b32 vcc_lo, exec_lo, s3
	s_cbranch_vccnz .LBB101_25
; %bb.7:
	v_mbcnt_lo_u32_b32 v20, -1, 0
	v_mad_u64_u32 v[11:12], null, v8, s8, 0
	s_clause 0x4
	s_load_b64 s[4:5], s[0:1], 0x68
	s_load_b64 s[14:15], s[0:1], 0x58
	;; [unrolled: 1-line block ×4, first 2 shown]
	s_load_b32 s0, s[0:1], 0x0
	v_xor_b32_e32 v13, 4, v20
	v_xor_b32_e32 v22, 2, v20
	v_lshl_or_b32 v30, v20, 2, 28
	v_bfrev_b32_e32 v34, 0.5
	s_mov_b32 s1, 0
	v_cmp_gt_i32_e32 vcc_lo, 32, v13
	s_mul_i32 s20, s8, s8
	v_mov_b32_e32 v37, 1
	v_cndmask_b32_e32 v21, v20, v13, vcc_lo
	v_cmp_gt_i32_e32 vcc_lo, 32, v22
	v_and_b32_e32 v5, 7, v0
	s_delay_alu instid0(VALU_DEP_1) | instskip(NEXT) | instid1(VALU_DEP_1)
	v_mad_u64_u32 v[9:10], null, v5, s8, 0
	v_mad_u64_u32 v[13:14], null, v5, s9, v[10:11]
	v_xor_b32_e32 v10, 1, v20
	v_mov_b32_e32 v7, 0
	v_lshlrev_b32_e32 v19, 3, v8
	s_delay_alu instid0(VALU_DEP_4) | instskip(NEXT) | instid1(VALU_DEP_2)
	v_mad_u64_u32 v[17:18], null, v8, s9, v[12:13]
	v_and_or_b32 v0, 0x3c0, v0, v19
	v_cndmask_b32_e32 v8, v20, v22, vcc_lo
	v_cmp_gt_i32_e32 vcc_lo, 32, v10
	s_delay_alu instid0(VALU_DEP_3) | instskip(NEXT) | instid1(VALU_DEP_3)
	v_or_b32_e32 v6, v0, v5
	v_lshlrev_b32_e32 v28, 2, v8
	v_cndmask_b32_e32 v14, v20, v10, vcc_lo
	v_mov_b32_e32 v10, v13
	s_delay_alu instid0(VALU_DEP_4) | instskip(NEXT) | instid1(VALU_DEP_3)
	v_dual_mov_b32 v12, v17 :: v_dual_lshlrev_b32 v27, 3, v6
	v_dual_mov_b32 v6, v7 :: v_dual_lshlrev_b32 v29, 2, v14
	s_delay_alu instid0(VALU_DEP_3) | instskip(NEXT) | instid1(VALU_DEP_3)
	v_lshlrev_b64 v[8:9], 3, v[9:10]
	v_lshlrev_b64 v[10:11], 3, v[11:12]
	v_lshlrev_b32_e32 v12, 3, v5
	s_delay_alu instid0(VALU_DEP_4)
	v_cmp_gt_i64_e32 vcc_lo, s[8:9], v[5:6]
	v_xor_b32_e32 v13, 16, v20
	v_xor_b32_e32 v14, 8, v20
	s_and_b32 s18, s2, vcc_lo
	s_waitcnt lgkmcnt(0)
	v_add_co_u32 v8, vcc_lo, s14, v8
	v_add_co_ci_u32_e32 v9, vcc_lo, s15, v9, vcc_lo
	v_add_co_u32 v10, vcc_lo, s14, v10
	v_add_co_ci_u32_e32 v11, vcc_lo, s15, v11, vcc_lo
	s_delay_alu instid0(VALU_DEP_4) | instskip(NEXT) | instid1(VALU_DEP_4)
	v_add_co_u32 v8, vcc_lo, v8, v19
	v_add_co_ci_u32_e32 v9, vcc_lo, 0, v9, vcc_lo
	s_delay_alu instid0(VALU_DEP_4)
	v_add_co_u32 v10, vcc_lo, v10, v12
	v_or_b32_e32 v12, 32, v20
	s_cmp_eq_u32 s0, 0
	s_mul_i32 s2, s8, s9
	s_mul_hi_u32 s0, s8, s8
	v_add_co_ci_u32_e32 v11, vcc_lo, 0, v11, vcc_lo
	s_cselect_b32 vcc_lo, -1, 0
	s_add_i32 s3, s0, s2
	v_cmp_gt_i32_e64 s0, 32, v12
	s_delay_alu instid0(VALU_DEP_2) | instskip(SKIP_1) | instid1(VALU_DEP_3)
	v_dual_cndmask_b32 v35, v9, v11 :: v_dual_lshlrev_b32 v6, 2, v21
	v_dual_cndmask_b32 v36, v8, v10 :: v_dual_mov_b32 v9, 0
	v_cndmask_b32_e64 v12, v20, v12, s0
	v_cmp_gt_i32_e64 s0, 32, v13
	v_mov_b32_e32 v10, v7
	s_add_i32 s19, s3, s2
	s_ashr_i32 s2, s9, 31
	v_lshlrev_b32_e32 v31, 2, v12
	v_cndmask_b32_e64 v13, v20, v13, s0
	v_cmp_gt_i32_e64 s0, 32, v14
	v_mov_b32_e32 v11, 0
	v_mov_b32_e32 v12, 0
	s_sub_i32 s21, 0, s8
	v_lshlrev_b32_e32 v32, 2, v13
	v_cndmask_b32_e64 v14, v20, v14, s0
	s_delay_alu instid0(VALU_DEP_1)
	v_lshlrev_b32_e32 v33, 2, v14
	s_branch .LBB101_10
.LBB101_8:                              ;   in Loop: Header=BB101_10 Depth=1
	s_or_b32 exec_lo, exec_lo, s3
	v_mov_b32_e32 v17, 1
	v_mov_b32_e32 v18, 0
.LBB101_9:                              ;   in Loop: Header=BB101_10 Depth=1
	s_or_b32 exec_lo, exec_lo, s0
	ds_bpermute_b32 v11, v31, v13
	ds_bpermute_b32 v12, v31, v14
	v_add_co_u32 v3, s0, v17, v3
	s_delay_alu instid0(VALU_DEP_1)
	v_add_co_ci_u32_e64 v4, s0, v18, v4, s0
	s_waitcnt lgkmcnt(0)
	s_waitcnt_vscnt null, 0x0
	buffer_gl0_inv
	buffer_gl0_inv
	v_cmp_lt_i64_e32 vcc_lo, v[11:12], v[13:14]
	v_dual_cndmask_b32 v12, v14, v12 :: v_dual_cndmask_b32 v11, v13, v11
	ds_bpermute_b32 v14, v32, v12
	ds_bpermute_b32 v13, v32, v11
	s_waitcnt lgkmcnt(0)
	v_cmp_lt_i64_e32 vcc_lo, v[13:14], v[11:12]
	v_dual_cndmask_b32 v12, v12, v14 :: v_dual_cndmask_b32 v11, v11, v13
	ds_bpermute_b32 v14, v33, v12
	ds_bpermute_b32 v13, v33, v11
	s_waitcnt lgkmcnt(0)
	;; [unrolled: 5-line block ×6, first 2 shown]
	v_cmp_le_i64_e32 vcc_lo, s[6:7], v[11:12]
	s_or_b32 s1, vcc_lo, s1
	s_delay_alu instid0(SALU_CYCLE_1)
	s_and_not1_b32 exec_lo, exec_lo, s1
	s_cbranch_execz .LBB101_25
.LBB101_10:                             ; =>This Loop Header: Depth=1
                                        ;     Child Loop BB101_13 Depth 2
	v_add_co_u32 v15, vcc_lo, v15, v5
	v_add_co_ci_u32_e32 v16, vcc_lo, 0, v16, vcc_lo
	v_dual_mov_b32 v14, s7 :: v_dual_mov_b32 v13, s6
	v_dual_mov_b32 v25, v2 :: v_dual_mov_b32 v24, v1
	s_mov_b32 s22, exec_lo
	ds_store_b8 v26, v7 offset:2048
	ds_store_b64 v27, v[9:10]
	s_waitcnt lgkmcnt(0)
	buffer_gl0_inv
	v_cmpx_lt_i64_e64 v[15:16], v[1:2]
	s_cbranch_execz .LBB101_22
; %bb.11:                               ;   in Loop: Header=BB101_10 Depth=1
	v_lshlrev_b64 v[13:14], 3, v[15:16]
	v_mad_u64_u32 v[17:18], null, v11, s8, 0
	v_dual_mov_b32 v23, v2 :: v_dual_mov_b32 v22, v1
	s_mov_b32 s23, 0
	s_delay_alu instid0(VALU_DEP_3) | instskip(NEXT) | instid1(VALU_DEP_4)
	v_add_co_u32 v18, vcc_lo, s12, v13
	v_add_co_ci_u32_e32 v19, vcc_lo, s13, v14, vcc_lo
	v_add_co_u32 v20, vcc_lo, s10, v13
	v_add_co_ci_u32_e32 v21, vcc_lo, s11, v14, vcc_lo
	v_dual_mov_b32 v14, s7 :: v_dual_mov_b32 v13, s6
	s_branch .LBB101_13
.LBB101_12:                             ;   in Loop: Header=BB101_13 Depth=2
	s_or_b32 exec_lo, exec_lo, s0
	v_add_co_u32 v15, s0, v15, 8
	s_delay_alu instid0(VALU_DEP_1) | instskip(SKIP_2) | instid1(VALU_DEP_2)
	v_add_co_ci_u32_e64 v16, s0, 0, v16, s0
	s_xor_b32 s3, vcc_lo, -1
	v_add_co_u32 v18, vcc_lo, v18, 64
	v_cmp_ge_i64_e64 s0, v[15:16], v[1:2]
	v_add_co_ci_u32_e32 v19, vcc_lo, 0, v19, vcc_lo
	v_add_co_u32 v20, vcc_lo, v20, 64
	v_add_co_ci_u32_e32 v21, vcc_lo, 0, v21, vcc_lo
	s_delay_alu instid0(VALU_DEP_4) | instskip(SKIP_2) | instid1(SALU_CYCLE_1)
	s_or_b32 s0, s3, s0
	v_dual_mov_b32 v22, v24 :: v_dual_mov_b32 v23, v25
	s_and_b32 s0, exec_lo, s0
	s_or_b32 s23, s0, s23
	s_delay_alu instid0(SALU_CYCLE_1)
	s_and_not1_b32 exec_lo, exec_lo, s23
	s_cbranch_execz .LBB101_21
.LBB101_13:                             ;   Parent Loop BB101_10 Depth=1
                                        ; =>  This Inner Loop Header: Depth=2
	global_load_b64 v[24:25], v[20:21], off
	s_mov_b32 s0, exec_lo
	s_waitcnt vmcnt(0)
	v_sub_co_u32 v38, vcc_lo, v24, s16
	v_subrev_co_ci_u32_e32 v39, vcc_lo, 0, v25, vcc_lo
                                        ; implicit-def: $vgpr24_vgpr25
	s_delay_alu instid0(VALU_DEP_1) | instskip(NEXT) | instid1(VALU_DEP_1)
	v_or_b32_e32 v8, s9, v39
	v_cmpx_ne_u64_e32 0, v[7:8]
	s_xor_b32 s24, exec_lo, s0
	s_cbranch_execz .LBB101_15
; %bb.14:                               ;   in Loop: Header=BB101_13 Depth=2
	s_add_u32 s14, s8, s2
	s_mov_b32 s3, s2
	s_addc_u32 s15, s9, s2
	s_delay_alu instid0(SALU_CYCLE_1) | instskip(NEXT) | instid1(SALU_CYCLE_1)
	s_xor_b64 s[14:15], s[14:15], s[2:3]
	v_cvt_f32_u32_e32 v8, s14
	v_cvt_f32_u32_e32 v24, s15
	s_sub_u32 s0, 0, s14
	s_subb_u32 s3, 0, s15
	s_delay_alu instid0(VALU_DEP_1) | instskip(NEXT) | instid1(VALU_DEP_1)
	v_fmac_f32_e32 v8, 0x4f800000, v24
	v_rcp_f32_e32 v8, v8
	s_waitcnt_depctr 0xfff
	v_mul_f32_e32 v8, 0x5f7ffffc, v8
	s_delay_alu instid0(VALU_DEP_1) | instskip(NEXT) | instid1(VALU_DEP_1)
	v_mul_f32_e32 v24, 0x2f800000, v8
	v_trunc_f32_e32 v24, v24
	s_delay_alu instid0(VALU_DEP_1) | instskip(SKIP_1) | instid1(VALU_DEP_2)
	v_fmac_f32_e32 v8, 0xcf800000, v24
	v_cvt_u32_f32_e32 v24, v24
	v_cvt_u32_f32_e32 v8, v8
	s_delay_alu instid0(VALU_DEP_2) | instskip(NEXT) | instid1(VALU_DEP_2)
	v_mul_lo_u32 v25, s0, v24
	v_mul_hi_u32 v40, s0, v8
	v_mul_lo_u32 v41, s3, v8
	s_delay_alu instid0(VALU_DEP_2) | instskip(SKIP_1) | instid1(VALU_DEP_2)
	v_add_nc_u32_e32 v25, v40, v25
	v_mul_lo_u32 v40, s0, v8
	v_add_nc_u32_e32 v25, v25, v41
	s_delay_alu instid0(VALU_DEP_2) | instskip(NEXT) | instid1(VALU_DEP_2)
	v_mul_hi_u32 v41, v8, v40
	v_mul_lo_u32 v42, v8, v25
	v_mul_hi_u32 v43, v8, v25
	v_mul_hi_u32 v44, v24, v40
	v_mul_lo_u32 v40, v24, v40
	v_mul_hi_u32 v45, v24, v25
	v_mul_lo_u32 v25, v24, v25
	v_add_co_u32 v41, vcc_lo, v41, v42
	v_add_co_ci_u32_e32 v42, vcc_lo, 0, v43, vcc_lo
	s_delay_alu instid0(VALU_DEP_2) | instskip(NEXT) | instid1(VALU_DEP_2)
	v_add_co_u32 v40, vcc_lo, v41, v40
	v_add_co_ci_u32_e32 v40, vcc_lo, v42, v44, vcc_lo
	v_add_co_ci_u32_e32 v41, vcc_lo, 0, v45, vcc_lo
	v_ashrrev_i32_e32 v44, 31, v39
	s_delay_alu instid0(VALU_DEP_3) | instskip(NEXT) | instid1(VALU_DEP_3)
	v_add_co_u32 v25, vcc_lo, v40, v25
	v_add_co_ci_u32_e32 v40, vcc_lo, 0, v41, vcc_lo
	s_delay_alu instid0(VALU_DEP_2) | instskip(NEXT) | instid1(VALU_DEP_2)
	v_add_co_u32 v8, vcc_lo, v8, v25
	v_add_co_ci_u32_e32 v24, vcc_lo, v24, v40, vcc_lo
	s_delay_alu instid0(VALU_DEP_2) | instskip(SKIP_1) | instid1(VALU_DEP_3)
	v_mul_hi_u32 v25, s0, v8
	v_mul_lo_u32 v41, s3, v8
	v_mul_lo_u32 v40, s0, v24
	s_delay_alu instid0(VALU_DEP_1) | instskip(SKIP_1) | instid1(VALU_DEP_2)
	v_add_nc_u32_e32 v25, v25, v40
	v_mul_lo_u32 v40, s0, v8
	v_add_nc_u32_e32 v25, v25, v41
	s_delay_alu instid0(VALU_DEP_2) | instskip(NEXT) | instid1(VALU_DEP_2)
	v_mul_hi_u32 v41, v8, v40
	v_mul_lo_u32 v42, v8, v25
	v_mul_hi_u32 v43, v8, v25
	v_mul_hi_u32 v45, v24, v40
	v_mul_lo_u32 v40, v24, v40
	v_mul_hi_u32 v46, v24, v25
	v_mul_lo_u32 v25, v24, v25
	v_add_co_u32 v41, vcc_lo, v41, v42
	v_add_co_ci_u32_e32 v42, vcc_lo, 0, v43, vcc_lo
	s_delay_alu instid0(VALU_DEP_2) | instskip(NEXT) | instid1(VALU_DEP_2)
	v_add_co_u32 v40, vcc_lo, v41, v40
	v_add_co_ci_u32_e32 v40, vcc_lo, v42, v45, vcc_lo
	v_add_co_ci_u32_e32 v41, vcc_lo, 0, v46, vcc_lo
	v_add_co_u32 v42, vcc_lo, v38, v44
	v_add_co_ci_u32_e32 v39, vcc_lo, v39, v44, vcc_lo
	s_delay_alu instid0(VALU_DEP_4) | instskip(NEXT) | instid1(VALU_DEP_4)
	v_add_co_u32 v25, vcc_lo, v40, v25
	v_add_co_ci_u32_e32 v40, vcc_lo, 0, v41, vcc_lo
	s_delay_alu instid0(VALU_DEP_4) | instskip(NEXT) | instid1(VALU_DEP_3)
	v_xor_b32_e32 v43, v42, v44
	v_add_co_u32 v8, vcc_lo, v8, v25
	s_delay_alu instid0(VALU_DEP_3) | instskip(SKIP_1) | instid1(VALU_DEP_3)
	v_add_co_ci_u32_e32 v45, vcc_lo, v24, v40, vcc_lo
	v_xor_b32_e32 v46, v39, v44
	v_mul_hi_u32 v47, v43, v8
	s_delay_alu instid0(VALU_DEP_3) | instskip(NEXT) | instid1(VALU_DEP_3)
	v_mad_u64_u32 v[24:25], null, v43, v45, 0
	v_mad_u64_u32 v[39:40], null, v46, v8, 0
	;; [unrolled: 1-line block ×3, first 2 shown]
	s_delay_alu instid0(VALU_DEP_3) | instskip(NEXT) | instid1(VALU_DEP_4)
	v_add_co_u32 v8, vcc_lo, v47, v24
	v_add_co_ci_u32_e32 v24, vcc_lo, 0, v25, vcc_lo
	s_delay_alu instid0(VALU_DEP_2) | instskip(NEXT) | instid1(VALU_DEP_2)
	v_add_co_u32 v8, vcc_lo, v8, v39
	v_add_co_ci_u32_e32 v8, vcc_lo, v24, v40, vcc_lo
	v_add_co_ci_u32_e32 v24, vcc_lo, 0, v42, vcc_lo
	s_delay_alu instid0(VALU_DEP_2) | instskip(NEXT) | instid1(VALU_DEP_2)
	v_add_co_u32 v8, vcc_lo, v8, v41
	v_add_co_ci_u32_e32 v39, vcc_lo, 0, v24, vcc_lo
	s_delay_alu instid0(VALU_DEP_2) | instskip(SKIP_1) | instid1(VALU_DEP_3)
	v_mul_lo_u32 v40, s15, v8
	v_mad_u64_u32 v[24:25], null, s14, v8, 0
	v_mul_lo_u32 v41, s14, v39
	s_delay_alu instid0(VALU_DEP_2) | instskip(NEXT) | instid1(VALU_DEP_2)
	v_sub_co_u32 v24, vcc_lo, v43, v24
	v_add3_u32 v25, v25, v41, v40
	s_delay_alu instid0(VALU_DEP_1) | instskip(NEXT) | instid1(VALU_DEP_1)
	v_sub_nc_u32_e32 v40, v46, v25
	v_subrev_co_ci_u32_e64 v40, s0, s15, v40, vcc_lo
	v_add_co_u32 v41, s0, v8, 2
	s_delay_alu instid0(VALU_DEP_1) | instskip(SKIP_3) | instid1(VALU_DEP_3)
	v_add_co_ci_u32_e64 v42, s0, 0, v39, s0
	v_sub_co_u32 v43, s0, v24, s14
	v_sub_co_ci_u32_e32 v25, vcc_lo, v46, v25, vcc_lo
	v_subrev_co_ci_u32_e64 v40, s0, 0, v40, s0
	v_cmp_le_u32_e32 vcc_lo, s14, v43
	s_delay_alu instid0(VALU_DEP_3) | instskip(SKIP_1) | instid1(VALU_DEP_4)
	v_cmp_eq_u32_e64 s0, s15, v25
	v_cndmask_b32_e64 v43, 0, -1, vcc_lo
	v_cmp_le_u32_e32 vcc_lo, s15, v40
	v_cndmask_b32_e64 v45, 0, -1, vcc_lo
	v_cmp_le_u32_e32 vcc_lo, s14, v24
	;; [unrolled: 2-line block ×3, first 2 shown]
	v_cndmask_b32_e64 v46, 0, -1, vcc_lo
	v_cmp_eq_u32_e32 vcc_lo, s15, v40
	s_delay_alu instid0(VALU_DEP_2) | instskip(SKIP_3) | instid1(VALU_DEP_3)
	v_cndmask_b32_e64 v24, v46, v24, s0
	v_cndmask_b32_e32 v40, v45, v43, vcc_lo
	v_add_co_u32 v43, vcc_lo, v8, 1
	v_add_co_ci_u32_e32 v45, vcc_lo, 0, v39, vcc_lo
	v_cmp_ne_u32_e32 vcc_lo, 0, v40
	s_delay_alu instid0(VALU_DEP_2) | instskip(SKIP_2) | instid1(VALU_DEP_3)
	v_dual_cndmask_b32 v40, v43, v41 :: v_dual_cndmask_b32 v25, v45, v42
	v_cmp_ne_u32_e32 vcc_lo, 0, v24
	v_xor_b32_e32 v41, s2, v44
	v_cndmask_b32_e32 v8, v8, v40, vcc_lo
	s_delay_alu instid0(VALU_DEP_4) | instskip(NEXT) | instid1(VALU_DEP_2)
	v_cndmask_b32_e32 v24, v39, v25, vcc_lo
	v_xor_b32_e32 v8, v8, v41
	s_delay_alu instid0(VALU_DEP_2) | instskip(NEXT) | instid1(VALU_DEP_2)
	v_xor_b32_e32 v25, v24, v41
	v_sub_co_u32 v24, vcc_lo, v8, v41
	s_delay_alu instid0(VALU_DEP_2)
	v_sub_co_ci_u32_e32 v25, vcc_lo, v25, v41, vcc_lo
.LBB101_15:                             ;   in Loop: Header=BB101_13 Depth=2
	s_and_not1_saveexec_b32 s0, s24
	s_cbranch_execz .LBB101_17
; %bb.16:                               ;   in Loop: Header=BB101_13 Depth=2
	v_cvt_f32_u32_e32 v8, s8
	s_delay_alu instid0(VALU_DEP_1) | instskip(SKIP_2) | instid1(VALU_DEP_1)
	v_rcp_iflag_f32_e32 v8, v8
	s_waitcnt_depctr 0xfff
	v_mul_f32_e32 v8, 0x4f7ffffe, v8
	v_cvt_u32_f32_e32 v8, v8
	s_delay_alu instid0(VALU_DEP_1) | instskip(NEXT) | instid1(VALU_DEP_1)
	v_mul_lo_u32 v24, s21, v8
	v_mul_hi_u32 v24, v8, v24
	s_delay_alu instid0(VALU_DEP_1) | instskip(NEXT) | instid1(VALU_DEP_1)
	v_add_nc_u32_e32 v8, v8, v24
	v_mul_hi_u32 v8, v38, v8
	s_delay_alu instid0(VALU_DEP_1) | instskip(NEXT) | instid1(VALU_DEP_1)
	v_mul_lo_u32 v24, v8, s8
	v_sub_nc_u32_e32 v24, v38, v24
	s_delay_alu instid0(VALU_DEP_1) | instskip(SKIP_1) | instid1(VALU_DEP_2)
	v_subrev_nc_u32_e32 v39, s8, v24
	v_cmp_le_u32_e32 vcc_lo, s8, v24
	v_dual_cndmask_b32 v24, v24, v39 :: v_dual_add_nc_u32 v25, 1, v8
	s_delay_alu instid0(VALU_DEP_1) | instskip(NEXT) | instid1(VALU_DEP_2)
	v_cndmask_b32_e32 v8, v8, v25, vcc_lo
	v_cmp_le_u32_e32 vcc_lo, s8, v24
	s_delay_alu instid0(VALU_DEP_2) | instskip(NEXT) | instid1(VALU_DEP_1)
	v_add_nc_u32_e32 v25, 1, v8
	v_dual_cndmask_b32 v24, v8, v25 :: v_dual_mov_b32 v25, v7
.LBB101_17:                             ;   in Loop: Header=BB101_13 Depth=2
	s_or_b32 exec_lo, exec_lo, s0
	s_delay_alu instid0(VALU_DEP_1)
	v_cmp_eq_u64_e32 vcc_lo, v[24:25], v[11:12]
	s_mov_b32 s3, exec_lo
	v_cmpx_ne_u64_e64 v[24:25], v[11:12]
	s_xor_b32 s3, exec_lo, s3
; %bb.18:                               ;   in Loop: Header=BB101_13 Depth=2
	v_cmp_lt_i64_e64 s0, v[24:25], v[13:14]
                                        ; implicit-def: $vgpr38
                                        ; implicit-def: $vgpr22_vgpr23
	s_delay_alu instid0(VALU_DEP_1)
	v_cndmask_b32_e64 v14, v14, v25, s0
	v_cndmask_b32_e64 v13, v13, v24, s0
; %bb.19:                               ;   in Loop: Header=BB101_13 Depth=2
	s_or_saveexec_b32 s0, s3
	v_dual_mov_b32 v25, v16 :: v_dual_mov_b32 v24, v15
	s_xor_b32 exec_lo, exec_lo, s0
	s_cbranch_execz .LBB101_12
; %bb.20:                               ;   in Loop: Header=BB101_13 Depth=2
	global_load_b64 v[39:40], v[18:19], off
	v_sub_nc_u32_e32 v8, v38, v17
	v_dual_mov_b32 v25, v23 :: v_dual_mov_b32 v24, v22
	s_delay_alu instid0(VALU_DEP_2)
	v_add_lshl_u32 v8, v0, v8, 3
	ds_store_b8 v26, v37 offset:2048
	s_waitcnt vmcnt(0)
	ds_store_b64 v8, v[39:40]
	s_branch .LBB101_12
.LBB101_21:                             ;   in Loop: Header=BB101_10 Depth=1
	s_or_b32 exec_lo, exec_lo, s23
.LBB101_22:                             ;   in Loop: Header=BB101_10 Depth=1
	s_delay_alu instid0(SALU_CYCLE_1)
	s_or_b32 exec_lo, exec_lo, s22
	ds_bpermute_b32 v15, v6, v24
	ds_bpermute_b32 v16, v6, v25
	s_waitcnt lgkmcnt(0)
	buffer_gl0_inv
	ds_load_u8 v8, v26 offset:2048
	s_mov_b32 s0, exec_lo
	v_cmp_lt_i64_e32 vcc_lo, v[15:16], v[24:25]
	s_waitcnt lgkmcnt(0)
	v_and_b32_e32 v8, 1, v8
	v_dual_cndmask_b32 v16, v25, v16 :: v_dual_cndmask_b32 v15, v24, v15
	ds_bpermute_b32 v18, v28, v16
	ds_bpermute_b32 v17, v28, v15
	s_waitcnt lgkmcnt(0)
	v_cmp_lt_i64_e32 vcc_lo, v[17:18], v[15:16]
	v_dual_cndmask_b32 v16, v16, v18 :: v_dual_cndmask_b32 v15, v15, v17
	ds_bpermute_b32 v18, v29, v16
	ds_bpermute_b32 v17, v29, v15
	s_waitcnt lgkmcnt(0)
	v_cmp_lt_i64_e32 vcc_lo, v[17:18], v[15:16]
	v_dual_cndmask_b32 v16, v16, v18 :: v_dual_cndmask_b32 v15, v15, v17
	v_mov_b32_e32 v17, 0
	v_mov_b32_e32 v18, 0
	ds_bpermute_b32 v16, v30, v16
	ds_bpermute_b32 v15, v30, v15
	v_cmpx_eq_u32_e32 1, v8
	s_cbranch_execz .LBB101_9
; %bb.23:                               ;   in Loop: Header=BB101_10 Depth=1
	v_lshlrev_b64 v[17:18], 3, v[3:4]
	v_add_co_u32 v11, vcc_lo, v11, s17
	v_add_co_ci_u32_e32 v12, vcc_lo, 0, v12, vcc_lo
	s_delay_alu instid0(VALU_DEP_3) | instskip(NEXT) | instid1(VALU_DEP_4)
	v_add_co_u32 v17, vcc_lo, s4, v17
	v_add_co_ci_u32_e32 v18, vcc_lo, s5, v18, vcc_lo
	global_store_b64 v[17:18], v[11:12], off
	s_and_saveexec_b32 s3, s18
	s_cbranch_execz .LBB101_8
; %bb.24:                               ;   in Loop: Header=BB101_10 Depth=1
	v_mul_lo_u32 v8, s19, v3
	v_mul_lo_u32 v19, s20, v4
	v_mad_u64_u32 v[11:12], null, s20, v3, 0
	ds_load_b64 v[17:18], v27
	v_add3_u32 v12, v12, v19, v8
	s_delay_alu instid0(VALU_DEP_1) | instskip(NEXT) | instid1(VALU_DEP_1)
	v_lshlrev_b64 v[11:12], 3, v[11:12]
	v_add_co_u32 v11, vcc_lo, v36, v11
	s_delay_alu instid0(VALU_DEP_2)
	v_add_co_ci_u32_e32 v12, vcc_lo, v35, v12, vcc_lo
	s_waitcnt lgkmcnt(0)
	global_store_b64 v[11:12], v[17:18], off
	s_branch .LBB101_8
.LBB101_25:
	s_endpgm
	.section	.rodata,"a",@progbits
	.p2align	6, 0x0
	.amdhsa_kernel _ZN9rocsparseL42csr2bsr_wavefront_per_row_multipass_kernelILj256ELj64ELj8E21rocsparse_complex_numIfEllEEv20rocsparse_direction_T4_S4_S4_S4_S4_21rocsparse_index_base_PKT2_PKT3_PKS4_S5_PS6_PS9_PS4_
		.amdhsa_group_segment_fixed_size 2052
		.amdhsa_private_segment_fixed_size 0
		.amdhsa_kernarg_size 112
		.amdhsa_user_sgpr_count 15
		.amdhsa_user_sgpr_dispatch_ptr 0
		.amdhsa_user_sgpr_queue_ptr 0
		.amdhsa_user_sgpr_kernarg_segment_ptr 1
		.amdhsa_user_sgpr_dispatch_id 0
		.amdhsa_user_sgpr_private_segment_size 0
		.amdhsa_wavefront_size32 1
		.amdhsa_uses_dynamic_stack 0
		.amdhsa_enable_private_segment 0
		.amdhsa_system_sgpr_workgroup_id_x 1
		.amdhsa_system_sgpr_workgroup_id_y 0
		.amdhsa_system_sgpr_workgroup_id_z 0
		.amdhsa_system_sgpr_workgroup_info 0
		.amdhsa_system_vgpr_workitem_id 0
		.amdhsa_next_free_vgpr 48
		.amdhsa_next_free_sgpr 25
		.amdhsa_reserve_vcc 1
		.amdhsa_float_round_mode_32 0
		.amdhsa_float_round_mode_16_64 0
		.amdhsa_float_denorm_mode_32 3
		.amdhsa_float_denorm_mode_16_64 3
		.amdhsa_dx10_clamp 1
		.amdhsa_ieee_mode 1
		.amdhsa_fp16_overflow 0
		.amdhsa_workgroup_processor_mode 1
		.amdhsa_memory_ordered 1
		.amdhsa_forward_progress 0
		.amdhsa_shared_vgpr_count 0
		.amdhsa_exception_fp_ieee_invalid_op 0
		.amdhsa_exception_fp_denorm_src 0
		.amdhsa_exception_fp_ieee_div_zero 0
		.amdhsa_exception_fp_ieee_overflow 0
		.amdhsa_exception_fp_ieee_underflow 0
		.amdhsa_exception_fp_ieee_inexact 0
		.amdhsa_exception_int_div_zero 0
	.end_amdhsa_kernel
	.section	.text._ZN9rocsparseL42csr2bsr_wavefront_per_row_multipass_kernelILj256ELj64ELj8E21rocsparse_complex_numIfEllEEv20rocsparse_direction_T4_S4_S4_S4_S4_21rocsparse_index_base_PKT2_PKT3_PKS4_S5_PS6_PS9_PS4_,"axG",@progbits,_ZN9rocsparseL42csr2bsr_wavefront_per_row_multipass_kernelILj256ELj64ELj8E21rocsparse_complex_numIfEllEEv20rocsparse_direction_T4_S4_S4_S4_S4_21rocsparse_index_base_PKT2_PKT3_PKS4_S5_PS6_PS9_PS4_,comdat
.Lfunc_end101:
	.size	_ZN9rocsparseL42csr2bsr_wavefront_per_row_multipass_kernelILj256ELj64ELj8E21rocsparse_complex_numIfEllEEv20rocsparse_direction_T4_S4_S4_S4_S4_21rocsparse_index_base_PKT2_PKT3_PKS4_S5_PS6_PS9_PS4_, .Lfunc_end101-_ZN9rocsparseL42csr2bsr_wavefront_per_row_multipass_kernelILj256ELj64ELj8E21rocsparse_complex_numIfEllEEv20rocsparse_direction_T4_S4_S4_S4_S4_21rocsparse_index_base_PKT2_PKT3_PKS4_S5_PS6_PS9_PS4_
                                        ; -- End function
	.section	.AMDGPU.csdata,"",@progbits
; Kernel info:
; codeLenInByte = 2828
; NumSgprs: 27
; NumVgprs: 48
; ScratchSize: 0
; MemoryBound: 0
; FloatMode: 240
; IeeeMode: 1
; LDSByteSize: 2052 bytes/workgroup (compile time only)
; SGPRBlocks: 3
; VGPRBlocks: 5
; NumSGPRsForWavesPerEU: 27
; NumVGPRsForWavesPerEU: 48
; Occupancy: 16
; WaveLimiterHint : 0
; COMPUTE_PGM_RSRC2:SCRATCH_EN: 0
; COMPUTE_PGM_RSRC2:USER_SGPR: 15
; COMPUTE_PGM_RSRC2:TRAP_HANDLER: 0
; COMPUTE_PGM_RSRC2:TGID_X_EN: 1
; COMPUTE_PGM_RSRC2:TGID_Y_EN: 0
; COMPUTE_PGM_RSRC2:TGID_Z_EN: 0
; COMPUTE_PGM_RSRC2:TIDIG_COMP_CNT: 0
	.section	.text._ZN9rocsparseL42csr2bsr_wavefront_per_row_multipass_kernelILj256ELj32ELj8E21rocsparse_complex_numIfEllEEv20rocsparse_direction_T4_S4_S4_S4_S4_21rocsparse_index_base_PKT2_PKT3_PKS4_S5_PS6_PS9_PS4_,"axG",@progbits,_ZN9rocsparseL42csr2bsr_wavefront_per_row_multipass_kernelILj256ELj32ELj8E21rocsparse_complex_numIfEllEEv20rocsparse_direction_T4_S4_S4_S4_S4_21rocsparse_index_base_PKT2_PKT3_PKS4_S5_PS6_PS9_PS4_,comdat
	.globl	_ZN9rocsparseL42csr2bsr_wavefront_per_row_multipass_kernelILj256ELj32ELj8E21rocsparse_complex_numIfEllEEv20rocsparse_direction_T4_S4_S4_S4_S4_21rocsparse_index_base_PKT2_PKT3_PKS4_S5_PS6_PS9_PS4_ ; -- Begin function _ZN9rocsparseL42csr2bsr_wavefront_per_row_multipass_kernelILj256ELj32ELj8E21rocsparse_complex_numIfEllEEv20rocsparse_direction_T4_S4_S4_S4_S4_21rocsparse_index_base_PKT2_PKT3_PKS4_S5_PS6_PS9_PS4_
	.p2align	8
	.type	_ZN9rocsparseL42csr2bsr_wavefront_per_row_multipass_kernelILj256ELj32ELj8E21rocsparse_complex_numIfEllEEv20rocsparse_direction_T4_S4_S4_S4_S4_21rocsparse_index_base_PKT2_PKT3_PKS4_S5_PS6_PS9_PS4_,@function
_ZN9rocsparseL42csr2bsr_wavefront_per_row_multipass_kernelILj256ELj32ELj8E21rocsparse_complex_numIfEllEEv20rocsparse_direction_T4_S4_S4_S4_S4_21rocsparse_index_base_PKT2_PKT3_PKS4_S5_PS6_PS9_PS4_: ; @_ZN9rocsparseL42csr2bsr_wavefront_per_row_multipass_kernelILj256ELj32ELj8E21rocsparse_complex_numIfEllEEv20rocsparse_direction_T4_S4_S4_S4_S4_21rocsparse_index_base_PKT2_PKT3_PKS4_S5_PS6_PS9_PS4_
; %bb.0:
	s_load_b64 s[8:9], s[0:1], 0x28
	v_lshrrev_b32_e32 v29, 5, v0
	s_mov_b32 s10, s15
	s_ashr_i32 s11, s15, 31
	s_clause 0x1
	s_load_b64 s[14:15], s[0:1], 0x8
	s_load_b128 s[4:7], s[0:1], 0x18
	s_lshl_b64 s[2:3], s[10:11], 3
	v_mov_b32_e32 v7, 0
	v_or_b32_e32 v1, s2, v29
	v_bfe_u32 v6, v0, 2, 3
	s_clause 0x1
	s_load_b32 s18, s[0:1], 0x30
	s_load_b64 s[12:13], s[0:1], 0x40
	s_waitcnt lgkmcnt(0)
	v_mul_lo_u32 v2, v1, s9
	v_mad_u64_u32 v[3:4], null, v1, s8, v[6:7]
	s_mul_i32 s2, s3, s8
	s_delay_alu instid0(VALU_DEP_1) | instid1(SALU_CYCLE_1)
	v_add3_u32 v4, s2, v4, v2
	v_mov_b32_e32 v1, 0
	v_mov_b32_e32 v2, 0
	v_cmp_gt_i64_e64 s2, s[8:9], v[6:7]
	s_delay_alu instid0(VALU_DEP_4) | instskip(NEXT) | instid1(VALU_DEP_3)
	v_cmp_gt_i64_e32 vcc_lo, s[14:15], v[3:4]
	v_dual_mov_b32 v19, v2 :: v_dual_mov_b32 v18, v1
	s_delay_alu instid0(VALU_DEP_3) | instskip(NEXT) | instid1(SALU_CYCLE_1)
	s_and_b32 s3, s2, vcc_lo
	s_and_saveexec_b32 s11, s3
	s_cbranch_execz .LBB102_2
; %bb.1:
	v_lshlrev_b64 v[7:8], 3, v[3:4]
	s_delay_alu instid0(VALU_DEP_1) | instskip(NEXT) | instid1(VALU_DEP_2)
	v_add_co_u32 v7, vcc_lo, s12, v7
	v_add_co_ci_u32_e32 v8, vcc_lo, s13, v8, vcc_lo
	global_load_b64 v[7:8], v[7:8], off
	s_waitcnt vmcnt(0)
	v_sub_co_u32 v18, vcc_lo, v7, s18
	v_subrev_co_ci_u32_e32 v19, vcc_lo, 0, v8, vcc_lo
.LBB102_2:
	s_or_b32 exec_lo, exec_lo, s11
	s_and_saveexec_b32 s11, s3
	s_cbranch_execz .LBB102_4
; %bb.3:
	v_lshlrev_b64 v[1:2], 3, v[3:4]
	s_delay_alu instid0(VALU_DEP_1) | instskip(NEXT) | instid1(VALU_DEP_2)
	v_add_co_u32 v1, vcc_lo, s12, v1
	v_add_co_ci_u32_e32 v2, vcc_lo, s13, v2, vcc_lo
	global_load_b64 v[1:2], v[1:2], off offset:8
	s_waitcnt vmcnt(0)
	v_sub_co_u32 v1, vcc_lo, v1, s18
	v_subrev_co_ci_u32_e32 v2, vcc_lo, 0, v2, vcc_lo
.LBB102_4:
	s_or_b32 exec_lo, exec_lo, s11
	s_load_b32 s19, s[0:1], 0x50
	v_dual_mov_b32 v8, 0 :: v_dual_mov_b32 v3, 0
	v_lshl_or_b32 v7, s10, 3, v29
	v_mov_b32_e32 v4, 0
	s_mov_b32 s3, exec_lo
	s_delay_alu instid0(VALU_DEP_2)
	v_cmpx_gt_i64_e64 s[4:5], v[7:8]
	s_cbranch_execz .LBB102_6
; %bb.5:
	s_load_b64 s[4:5], s[0:1], 0x60
	v_lshlrev_b64 v[3:4], 3, v[7:8]
	s_waitcnt lgkmcnt(0)
	s_delay_alu instid0(VALU_DEP_1) | instskip(NEXT) | instid1(VALU_DEP_2)
	v_add_co_u32 v3, vcc_lo, s4, v3
	v_add_co_ci_u32_e32 v4, vcc_lo, s5, v4, vcc_lo
	global_load_b64 v[3:4], v[3:4], off
	s_waitcnt vmcnt(0)
	v_sub_co_u32 v3, vcc_lo, v3, s19
	v_subrev_co_ci_u32_e32 v4, vcc_lo, 0, v4, vcc_lo
.LBB102_6:
	s_or_b32 exec_lo, exec_lo, s3
	v_cmp_lt_i64_e64 s3, s[6:7], 1
	s_delay_alu instid0(VALU_DEP_1)
	s_and_b32 vcc_lo, exec_lo, s3
	s_cbranch_vccnz .LBB102_27
; %bb.7:
	v_mbcnt_lo_u32_b32 v12, -1, 0
	s_clause 0x1
	s_load_b64 s[16:17], s[0:1], 0x58
	s_load_b64 s[4:5], s[0:1], 0x68
	v_mad_u64_u32 v[9:10], null, v6, s8, 0
	v_dual_mov_b32 v5, 0 :: v_dual_lshlrev_b32 v8, 3, v6
	v_xor_b32_e32 v11, 2, v12
	v_xor_b32_e32 v13, 1, v12
	s_clause 0x2
	s_load_b64 s[12:13], s[0:1], 0x48
	s_load_b64 s[14:15], s[0:1], 0x38
	s_load_b32 s0, s[0:1], 0x0
	v_xor_b32_e32 v16, 4, v12
	v_lshl_or_b32 v34, v12, 2, 12
	v_cmp_gt_i32_e32 vcc_lo, 32, v11
	v_mov_b32_e32 v7, v10
	s_mul_i32 s3, s8, s9
	s_mul_hi_u32 s11, s8, s8
	s_mov_b32 s10, 0
	v_cndmask_b32_e32 v14, v12, v11, vcc_lo
	v_cmp_gt_i32_e32 vcc_lo, 32, v13
	v_mad_u64_u32 v[10:11], null, v6, s9, v[7:8]
	s_waitcnt lgkmcnt(0)
	v_add_co_u32 v30, s1, s16, v8
	v_dual_cndmask_b32 v6, v12, v13 :: v_dual_and_b32 v7, 3, v0
	v_lshl_or_b32 v0, v29, 6, v8
	v_mov_b32_e32 v8, v5
	v_xor_b32_e32 v11, 8, v12
	s_delay_alu instid0(VALU_DEP_4)
	v_lshlrev_b32_e32 v33, 2, v6
	v_xor_b32_e32 v6, 16, v12
	v_lshlrev_b64 v[9:10], 3, v[9:10]
	v_or_b32_e32 v17, v0, v7
	s_add_i32 s11, s11, s3
	v_add_co_ci_u32_e64 v31, null, s17, 0, s1
	v_cmp_gt_i32_e32 vcc_lo, 32, v6
	s_add_i32 s21, s11, s3
	s_mov_b32 s11, s10
	v_mov_b32_e32 v40, 0x7c
	v_mov_b32_e32 v42, 1
	v_cndmask_b32_e32 v6, v12, v6, vcc_lo
	v_cmp_gt_i32_e32 vcc_lo, 32, v11
	v_lshlrev_b32_e32 v32, 2, v14
	v_mad_u64_u32 v[13:14], null, v7, s8, 0
	s_cmp_eq_u32 s0, 0
	v_cndmask_b32_e32 v15, v12, v11, vcc_lo
	v_or_b32_e32 v11, 4, v7
	v_add_co_u32 v35, vcc_lo, s16, v9
	v_add_co_ci_u32_e32 v36, vcc_lo, s17, v10, vcc_lo
	s_delay_alu instid0(VALU_DEP_3)
	v_mad_u64_u32 v[20:21], null, v11, s8, 0
	v_cmp_gt_i32_e32 vcc_lo, 32, v16
	v_lshlrev_b32_e32 v38, 2, v15
	v_lshlrev_b32_e32 v41, 3, v17
	s_mul_i32 s20, s8, s8
	s_cselect_b32 s0, -1, 0
	s_delay_alu instid0(VALU_DEP_4) | instskip(SKIP_1) | instid1(VALU_DEP_2)
	v_dual_cndmask_b32 v10, v12, v16 :: v_dual_mov_b32 v9, v21
	v_dual_mov_b32 v6, v14 :: v_dual_lshlrev_b32 v37, 2, v6
	v_dual_mov_b32 v12, v5 :: v_dual_lshlrev_b32 v39, 2, v10
	v_cmp_gt_u64_e32 vcc_lo, s[8:9], v[7:8]
	s_sub_i32 s23, 0, s8
	s_delay_alu instid0(VALU_DEP_3)
	v_mad_u64_u32 v[14:15], null, v7, s9, v[6:7]
	v_mad_u64_u32 v[15:16], null, v11, s9, v[9:10]
	v_cmp_gt_u64_e64 s1, s[8:9], v[11:12]
	v_mov_b32_e32 v16, 0
	v_dual_mov_b32 v8, s10 :: v_dual_mov_b32 v9, s11
	v_lshlrev_b64 v[10:11], 3, v[13:14]
	v_mov_b32_e32 v17, 0
	v_mov_b32_e32 v21, v15
	s_and_b32 s22, s2, vcc_lo
	s_and_b32 s11, s2, s1
	s_ashr_i32 s2, s9, 31
	s_delay_alu instid0(VALU_DEP_1)
	v_lshlrev_b64 v[12:13], 3, v[20:21]
	s_branch .LBB102_10
.LBB102_8:                              ;   in Loop: Header=BB102_10 Depth=1
	s_or_b32 exec_lo, exec_lo, s3
	v_mov_b32_e32 v20, 1
	v_mov_b32_e32 v21, 0
.LBB102_9:                              ;   in Loop: Header=BB102_10 Depth=1
	s_or_b32 exec_lo, exec_lo, s1
	ds_bpermute_b32 v16, v37, v14
	ds_bpermute_b32 v17, v37, v15
	v_add_co_u32 v3, s1, v20, v3
	s_delay_alu instid0(VALU_DEP_1)
	v_add_co_ci_u32_e64 v4, s1, v21, v4, s1
	s_waitcnt lgkmcnt(0)
	s_waitcnt_vscnt null, 0x0
	buffer_gl0_inv
	buffer_gl0_inv
	v_cmp_lt_i64_e32 vcc_lo, v[16:17], v[14:15]
	v_dual_cndmask_b32 v15, v15, v17 :: v_dual_cndmask_b32 v14, v14, v16
	ds_bpermute_b32 v17, v38, v15
	ds_bpermute_b32 v16, v38, v14
	s_waitcnt lgkmcnt(0)
	v_cmp_lt_i64_e32 vcc_lo, v[16:17], v[14:15]
	v_dual_cndmask_b32 v15, v15, v17 :: v_dual_cndmask_b32 v14, v14, v16
	ds_bpermute_b32 v17, v39, v15
	ds_bpermute_b32 v16, v39, v14
	s_waitcnt lgkmcnt(0)
	;; [unrolled: 5-line block ×4, first 2 shown]
	v_cmp_lt_i64_e32 vcc_lo, v[16:17], v[14:15]
	v_cndmask_b32_e32 v6, v15, v17, vcc_lo
	v_cndmask_b32_e32 v14, v14, v16, vcc_lo
	ds_bpermute_b32 v17, v40, v6
	ds_bpermute_b32 v16, v40, v14
	s_waitcnt lgkmcnt(0)
	v_cmp_le_i64_e32 vcc_lo, s[6:7], v[16:17]
	s_or_b32 s10, vcc_lo, s10
	s_delay_alu instid0(SALU_CYCLE_1)
	s_and_not1_b32 exec_lo, exec_lo, s10
	s_cbranch_execz .LBB102_27
.LBB102_10:                             ; =>This Loop Header: Depth=1
                                        ;     Child Loop BB102_13 Depth 2
	v_add_co_u32 v18, vcc_lo, v18, v7
	v_add_co_ci_u32_e32 v19, vcc_lo, 0, v19, vcc_lo
	v_dual_mov_b32 v15, s7 :: v_dual_mov_b32 v14, s6
	v_dual_mov_b32 v28, v2 :: v_dual_mov_b32 v27, v1
	s_mov_b32 s24, exec_lo
	ds_store_b8 v29, v5 offset:4096
	ds_store_2addr_b64 v41, v[8:9], v[8:9] offset1:4
	s_waitcnt lgkmcnt(0)
	buffer_gl0_inv
	v_cmpx_lt_i64_e64 v[18:19], v[1:2]
	s_cbranch_execz .LBB102_22
; %bb.11:                               ;   in Loop: Header=BB102_10 Depth=1
	v_lshlrev_b64 v[14:15], 3, v[18:19]
	v_mad_u64_u32 v[20:21], null, v16, s8, 0
	v_dual_mov_b32 v26, v2 :: v_dual_mov_b32 v25, v1
	s_mov_b32 s25, 0
	s_delay_alu instid0(VALU_DEP_3) | instskip(NEXT) | instid1(VALU_DEP_4)
	v_add_co_u32 v21, vcc_lo, s14, v14
	v_add_co_ci_u32_e32 v22, vcc_lo, s15, v15, vcc_lo
	v_add_co_u32 v23, vcc_lo, s12, v14
	v_add_co_ci_u32_e32 v24, vcc_lo, s13, v15, vcc_lo
	v_dual_mov_b32 v15, s7 :: v_dual_mov_b32 v14, s6
	s_branch .LBB102_13
.LBB102_12:                             ;   in Loop: Header=BB102_13 Depth=2
	s_or_b32 exec_lo, exec_lo, s1
	v_add_co_u32 v18, s1, v18, 4
	s_delay_alu instid0(VALU_DEP_1) | instskip(SKIP_2) | instid1(VALU_DEP_2)
	v_add_co_ci_u32_e64 v19, s1, 0, v19, s1
	s_xor_b32 s3, vcc_lo, -1
	v_add_co_u32 v21, vcc_lo, v21, 32
	v_cmp_ge_i64_e64 s1, v[18:19], v[1:2]
	v_add_co_ci_u32_e32 v22, vcc_lo, 0, v22, vcc_lo
	v_add_co_u32 v23, vcc_lo, v23, 32
	v_add_co_ci_u32_e32 v24, vcc_lo, 0, v24, vcc_lo
	s_delay_alu instid0(VALU_DEP_4) | instskip(SKIP_2) | instid1(SALU_CYCLE_1)
	s_or_b32 s1, s3, s1
	v_dual_mov_b32 v25, v27 :: v_dual_mov_b32 v26, v28
	s_and_b32 s1, exec_lo, s1
	s_or_b32 s25, s1, s25
	s_delay_alu instid0(SALU_CYCLE_1)
	s_and_not1_b32 exec_lo, exec_lo, s25
	s_cbranch_execz .LBB102_21
.LBB102_13:                             ;   Parent Loop BB102_10 Depth=1
                                        ; =>  This Inner Loop Header: Depth=2
	global_load_b64 v[27:28], v[23:24], off
	s_mov_b32 s1, exec_lo
	s_waitcnt vmcnt(0)
	v_sub_co_u32 v43, vcc_lo, v27, s18
	v_subrev_co_ci_u32_e32 v44, vcc_lo, 0, v28, vcc_lo
                                        ; implicit-def: $vgpr27_vgpr28
	s_delay_alu instid0(VALU_DEP_1) | instskip(NEXT) | instid1(VALU_DEP_1)
	v_or_b32_e32 v6, s9, v44
	v_cmpx_ne_u64_e32 0, v[5:6]
	s_xor_b32 s26, exec_lo, s1
	s_cbranch_execz .LBB102_15
; %bb.14:                               ;   in Loop: Header=BB102_13 Depth=2
	s_add_u32 s16, s8, s2
	s_mov_b32 s3, s2
	s_addc_u32 s17, s9, s2
	s_delay_alu instid0(SALU_CYCLE_1) | instskip(NEXT) | instid1(SALU_CYCLE_1)
	s_xor_b64 s[16:17], s[16:17], s[2:3]
	v_cvt_f32_u32_e32 v6, s16
	v_cvt_f32_u32_e32 v27, s17
	s_sub_u32 s1, 0, s16
	s_subb_u32 s3, 0, s17
	s_delay_alu instid0(VALU_DEP_1) | instskip(NEXT) | instid1(VALU_DEP_1)
	v_fmac_f32_e32 v6, 0x4f800000, v27
	v_rcp_f32_e32 v6, v6
	s_waitcnt_depctr 0xfff
	v_mul_f32_e32 v6, 0x5f7ffffc, v6
	s_delay_alu instid0(VALU_DEP_1) | instskip(NEXT) | instid1(VALU_DEP_1)
	v_mul_f32_e32 v27, 0x2f800000, v6
	v_trunc_f32_e32 v27, v27
	s_delay_alu instid0(VALU_DEP_1) | instskip(SKIP_1) | instid1(VALU_DEP_2)
	v_fmac_f32_e32 v6, 0xcf800000, v27
	v_cvt_u32_f32_e32 v27, v27
	v_cvt_u32_f32_e32 v6, v6
	s_delay_alu instid0(VALU_DEP_2) | instskip(NEXT) | instid1(VALU_DEP_2)
	v_mul_lo_u32 v28, s1, v27
	v_mul_hi_u32 v45, s1, v6
	v_mul_lo_u32 v46, s3, v6
	s_delay_alu instid0(VALU_DEP_2) | instskip(SKIP_1) | instid1(VALU_DEP_2)
	v_add_nc_u32_e32 v28, v45, v28
	v_mul_lo_u32 v45, s1, v6
	v_add_nc_u32_e32 v28, v28, v46
	s_delay_alu instid0(VALU_DEP_2) | instskip(NEXT) | instid1(VALU_DEP_2)
	v_mul_hi_u32 v46, v6, v45
	v_mul_lo_u32 v47, v6, v28
	v_mul_hi_u32 v48, v6, v28
	v_mul_hi_u32 v49, v27, v45
	v_mul_lo_u32 v45, v27, v45
	v_mul_hi_u32 v50, v27, v28
	v_mul_lo_u32 v28, v27, v28
	v_add_co_u32 v46, vcc_lo, v46, v47
	v_add_co_ci_u32_e32 v47, vcc_lo, 0, v48, vcc_lo
	s_delay_alu instid0(VALU_DEP_2) | instskip(NEXT) | instid1(VALU_DEP_2)
	v_add_co_u32 v45, vcc_lo, v46, v45
	v_add_co_ci_u32_e32 v45, vcc_lo, v47, v49, vcc_lo
	v_add_co_ci_u32_e32 v46, vcc_lo, 0, v50, vcc_lo
	v_ashrrev_i32_e32 v49, 31, v44
	s_delay_alu instid0(VALU_DEP_3) | instskip(NEXT) | instid1(VALU_DEP_3)
	v_add_co_u32 v28, vcc_lo, v45, v28
	v_add_co_ci_u32_e32 v45, vcc_lo, 0, v46, vcc_lo
	s_delay_alu instid0(VALU_DEP_2) | instskip(NEXT) | instid1(VALU_DEP_2)
	v_add_co_u32 v6, vcc_lo, v6, v28
	v_add_co_ci_u32_e32 v27, vcc_lo, v27, v45, vcc_lo
	s_delay_alu instid0(VALU_DEP_2) | instskip(SKIP_1) | instid1(VALU_DEP_3)
	v_mul_hi_u32 v28, s1, v6
	v_mul_lo_u32 v46, s3, v6
	v_mul_lo_u32 v45, s1, v27
	s_delay_alu instid0(VALU_DEP_1) | instskip(SKIP_1) | instid1(VALU_DEP_2)
	v_add_nc_u32_e32 v28, v28, v45
	v_mul_lo_u32 v45, s1, v6
	v_add_nc_u32_e32 v28, v28, v46
	s_delay_alu instid0(VALU_DEP_2) | instskip(NEXT) | instid1(VALU_DEP_2)
	v_mul_hi_u32 v46, v6, v45
	v_mul_lo_u32 v47, v6, v28
	v_mul_hi_u32 v48, v6, v28
	v_mul_hi_u32 v50, v27, v45
	v_mul_lo_u32 v45, v27, v45
	v_mul_hi_u32 v51, v27, v28
	v_mul_lo_u32 v28, v27, v28
	v_add_co_u32 v46, vcc_lo, v46, v47
	v_add_co_ci_u32_e32 v47, vcc_lo, 0, v48, vcc_lo
	s_delay_alu instid0(VALU_DEP_2) | instskip(NEXT) | instid1(VALU_DEP_2)
	v_add_co_u32 v45, vcc_lo, v46, v45
	v_add_co_ci_u32_e32 v45, vcc_lo, v47, v50, vcc_lo
	v_add_co_ci_u32_e32 v46, vcc_lo, 0, v51, vcc_lo
	v_add_co_u32 v47, vcc_lo, v43, v49
	v_add_co_ci_u32_e32 v44, vcc_lo, v44, v49, vcc_lo
	s_delay_alu instid0(VALU_DEP_4) | instskip(NEXT) | instid1(VALU_DEP_4)
	v_add_co_u32 v28, vcc_lo, v45, v28
	v_add_co_ci_u32_e32 v45, vcc_lo, 0, v46, vcc_lo
	s_delay_alu instid0(VALU_DEP_4) | instskip(NEXT) | instid1(VALU_DEP_3)
	v_xor_b32_e32 v48, v47, v49
	v_add_co_u32 v6, vcc_lo, v6, v28
	s_delay_alu instid0(VALU_DEP_3) | instskip(SKIP_1) | instid1(VALU_DEP_3)
	v_add_co_ci_u32_e32 v50, vcc_lo, v27, v45, vcc_lo
	v_xor_b32_e32 v51, v44, v49
	v_mul_hi_u32 v52, v48, v6
	s_delay_alu instid0(VALU_DEP_3) | instskip(NEXT) | instid1(VALU_DEP_3)
	v_mad_u64_u32 v[27:28], null, v48, v50, 0
	v_mad_u64_u32 v[44:45], null, v51, v6, 0
	;; [unrolled: 1-line block ×3, first 2 shown]
	s_delay_alu instid0(VALU_DEP_3) | instskip(NEXT) | instid1(VALU_DEP_4)
	v_add_co_u32 v6, vcc_lo, v52, v27
	v_add_co_ci_u32_e32 v27, vcc_lo, 0, v28, vcc_lo
	s_delay_alu instid0(VALU_DEP_2) | instskip(NEXT) | instid1(VALU_DEP_2)
	v_add_co_u32 v6, vcc_lo, v6, v44
	v_add_co_ci_u32_e32 v6, vcc_lo, v27, v45, vcc_lo
	v_add_co_ci_u32_e32 v27, vcc_lo, 0, v47, vcc_lo
	s_delay_alu instid0(VALU_DEP_2) | instskip(NEXT) | instid1(VALU_DEP_2)
	v_add_co_u32 v6, vcc_lo, v6, v46
	v_add_co_ci_u32_e32 v44, vcc_lo, 0, v27, vcc_lo
	s_delay_alu instid0(VALU_DEP_2) | instskip(SKIP_1) | instid1(VALU_DEP_3)
	v_mul_lo_u32 v45, s17, v6
	v_mad_u64_u32 v[27:28], null, s16, v6, 0
	v_mul_lo_u32 v46, s16, v44
	s_delay_alu instid0(VALU_DEP_2) | instskip(NEXT) | instid1(VALU_DEP_2)
	v_sub_co_u32 v27, vcc_lo, v48, v27
	v_add3_u32 v28, v28, v46, v45
	s_delay_alu instid0(VALU_DEP_1) | instskip(NEXT) | instid1(VALU_DEP_1)
	v_sub_nc_u32_e32 v45, v51, v28
	v_subrev_co_ci_u32_e64 v45, s1, s17, v45, vcc_lo
	v_add_co_u32 v46, s1, v6, 2
	s_delay_alu instid0(VALU_DEP_1) | instskip(SKIP_3) | instid1(VALU_DEP_3)
	v_add_co_ci_u32_e64 v47, s1, 0, v44, s1
	v_sub_co_u32 v48, s1, v27, s16
	v_sub_co_ci_u32_e32 v28, vcc_lo, v51, v28, vcc_lo
	v_subrev_co_ci_u32_e64 v45, s1, 0, v45, s1
	v_cmp_le_u32_e32 vcc_lo, s16, v48
	s_delay_alu instid0(VALU_DEP_3) | instskip(SKIP_1) | instid1(VALU_DEP_4)
	v_cmp_eq_u32_e64 s1, s17, v28
	v_cndmask_b32_e64 v48, 0, -1, vcc_lo
	v_cmp_le_u32_e32 vcc_lo, s17, v45
	v_cndmask_b32_e64 v50, 0, -1, vcc_lo
	v_cmp_le_u32_e32 vcc_lo, s16, v27
	v_cndmask_b32_e64 v27, 0, -1, vcc_lo
	v_cmp_le_u32_e32 vcc_lo, s17, v28
	v_cndmask_b32_e64 v51, 0, -1, vcc_lo
	v_cmp_eq_u32_e32 vcc_lo, s17, v45
	s_delay_alu instid0(VALU_DEP_2) | instskip(SKIP_3) | instid1(VALU_DEP_3)
	v_cndmask_b32_e64 v27, v51, v27, s1
	v_cndmask_b32_e32 v45, v50, v48, vcc_lo
	v_add_co_u32 v48, vcc_lo, v6, 1
	v_add_co_ci_u32_e32 v50, vcc_lo, 0, v44, vcc_lo
	v_cmp_ne_u32_e32 vcc_lo, 0, v45
	s_delay_alu instid0(VALU_DEP_2) | instskip(SKIP_2) | instid1(VALU_DEP_3)
	v_dual_cndmask_b32 v45, v48, v46 :: v_dual_cndmask_b32 v28, v50, v47
	v_cmp_ne_u32_e32 vcc_lo, 0, v27
	v_xor_b32_e32 v46, s2, v49
	v_dual_cndmask_b32 v6, v6, v45 :: v_dual_cndmask_b32 v27, v44, v28
	s_delay_alu instid0(VALU_DEP_1) | instskip(NEXT) | instid1(VALU_DEP_2)
	v_xor_b32_e32 v6, v6, v46
	v_xor_b32_e32 v28, v27, v46
	s_delay_alu instid0(VALU_DEP_2) | instskip(NEXT) | instid1(VALU_DEP_2)
	v_sub_co_u32 v27, vcc_lo, v6, v46
	v_sub_co_ci_u32_e32 v28, vcc_lo, v28, v46, vcc_lo
.LBB102_15:                             ;   in Loop: Header=BB102_13 Depth=2
	s_and_not1_saveexec_b32 s1, s26
	s_cbranch_execz .LBB102_17
; %bb.16:                               ;   in Loop: Header=BB102_13 Depth=2
	v_cvt_f32_u32_e32 v6, s8
	s_delay_alu instid0(VALU_DEP_1) | instskip(SKIP_2) | instid1(VALU_DEP_1)
	v_rcp_iflag_f32_e32 v6, v6
	s_waitcnt_depctr 0xfff
	v_mul_f32_e32 v6, 0x4f7ffffe, v6
	v_cvt_u32_f32_e32 v6, v6
	s_delay_alu instid0(VALU_DEP_1) | instskip(NEXT) | instid1(VALU_DEP_1)
	v_mul_lo_u32 v27, s23, v6
	v_mul_hi_u32 v27, v6, v27
	s_delay_alu instid0(VALU_DEP_1) | instskip(NEXT) | instid1(VALU_DEP_1)
	v_add_nc_u32_e32 v6, v6, v27
	v_mul_hi_u32 v6, v43, v6
	s_delay_alu instid0(VALU_DEP_1) | instskip(SKIP_1) | instid1(VALU_DEP_2)
	v_mul_lo_u32 v27, v6, s8
	v_add_nc_u32_e32 v28, 1, v6
	v_sub_nc_u32_e32 v27, v43, v27
	s_delay_alu instid0(VALU_DEP_1) | instskip(SKIP_1) | instid1(VALU_DEP_2)
	v_subrev_nc_u32_e32 v44, s8, v27
	v_cmp_le_u32_e32 vcc_lo, s8, v27
	v_cndmask_b32_e32 v27, v27, v44, vcc_lo
	v_cndmask_b32_e32 v6, v6, v28, vcc_lo
	s_delay_alu instid0(VALU_DEP_2) | instskip(NEXT) | instid1(VALU_DEP_2)
	v_cmp_le_u32_e32 vcc_lo, s8, v27
	v_add_nc_u32_e32 v28, 1, v6
	s_delay_alu instid0(VALU_DEP_1)
	v_dual_cndmask_b32 v27, v6, v28 :: v_dual_mov_b32 v28, v5
.LBB102_17:                             ;   in Loop: Header=BB102_13 Depth=2
	s_or_b32 exec_lo, exec_lo, s1
	s_delay_alu instid0(VALU_DEP_1)
	v_cmp_eq_u64_e32 vcc_lo, v[27:28], v[16:17]
	s_mov_b32 s3, exec_lo
	v_cmpx_ne_u64_e64 v[27:28], v[16:17]
	s_xor_b32 s3, exec_lo, s3
; %bb.18:                               ;   in Loop: Header=BB102_13 Depth=2
	v_cmp_lt_i64_e64 s1, v[27:28], v[14:15]
                                        ; implicit-def: $vgpr43
                                        ; implicit-def: $vgpr25_vgpr26
	s_delay_alu instid0(VALU_DEP_1)
	v_cndmask_b32_e64 v15, v15, v28, s1
	v_cndmask_b32_e64 v14, v14, v27, s1
; %bb.19:                               ;   in Loop: Header=BB102_13 Depth=2
	s_or_saveexec_b32 s1, s3
	v_dual_mov_b32 v28, v19 :: v_dual_mov_b32 v27, v18
	s_xor_b32 exec_lo, exec_lo, s1
	s_cbranch_execz .LBB102_12
; %bb.20:                               ;   in Loop: Header=BB102_13 Depth=2
	global_load_b64 v[44:45], v[21:22], off
	v_sub_nc_u32_e32 v6, v43, v20
	v_dual_mov_b32 v28, v26 :: v_dual_mov_b32 v27, v25
	s_delay_alu instid0(VALU_DEP_2)
	v_add_lshl_u32 v6, v0, v6, 3
	ds_store_b8 v29, v42 offset:4096
	s_waitcnt vmcnt(0)
	ds_store_b64 v6, v[44:45]
	s_branch .LBB102_12
.LBB102_21:                             ;   in Loop: Header=BB102_10 Depth=1
	s_or_b32 exec_lo, exec_lo, s25
.LBB102_22:                             ;   in Loop: Header=BB102_10 Depth=1
	s_delay_alu instid0(SALU_CYCLE_1)
	s_or_b32 exec_lo, exec_lo, s24
	ds_bpermute_b32 v18, v32, v27
	ds_bpermute_b32 v19, v32, v28
	s_waitcnt lgkmcnt(0)
	buffer_gl0_inv
	ds_load_u8 v6, v29 offset:4096
	s_mov_b32 s1, exec_lo
	v_cmp_lt_i64_e32 vcc_lo, v[18:19], v[27:28]
	s_waitcnt lgkmcnt(0)
	v_dual_cndmask_b32 v19, v28, v19 :: v_dual_and_b32 v6, 1, v6
	v_cndmask_b32_e32 v18, v27, v18, vcc_lo
	ds_bpermute_b32 v21, v33, v19
	ds_bpermute_b32 v20, v33, v18
	s_waitcnt lgkmcnt(0)
	v_cmp_lt_i64_e32 vcc_lo, v[20:21], v[18:19]
	v_dual_cndmask_b32 v19, v19, v21 :: v_dual_cndmask_b32 v18, v18, v20
	v_mov_b32_e32 v20, 0
	v_mov_b32_e32 v21, 0
	ds_bpermute_b32 v19, v34, v19
	ds_bpermute_b32 v18, v34, v18
	v_cmpx_eq_u32_e32 1, v6
	s_cbranch_execz .LBB102_9
; %bb.23:                               ;   in Loop: Header=BB102_10 Depth=1
	v_mul_lo_u32 v6, s21, v3
	v_mul_lo_u32 v24, s20, v4
	v_mad_u64_u32 v[20:21], null, s20, v3, 0
	v_lshlrev_b64 v[22:23], 3, v[3:4]
	s_delay_alu instid0(VALU_DEP_2) | instskip(SKIP_2) | instid1(VALU_DEP_3)
	v_add3_u32 v21, v21, v24, v6
	v_add_co_u32 v24, vcc_lo, v16, s19
	v_add_co_ci_u32_e32 v25, vcc_lo, 0, v17, vcc_lo
	v_lshlrev_b64 v[20:21], 3, v[20:21]
	v_add_co_u32 v22, vcc_lo, s4, v22
	v_add_co_ci_u32_e32 v23, vcc_lo, s5, v23, vcc_lo
	s_delay_alu instid0(VALU_DEP_3) | instskip(NEXT) | instid1(VALU_DEP_4)
	v_add_co_u32 v6, vcc_lo, v30, v20
	v_add_co_ci_u32_e32 v16, vcc_lo, v31, v21, vcc_lo
	v_add_co_u32 v17, vcc_lo, v35, v20
	v_add_co_ci_u32_e32 v20, vcc_lo, v36, v21, vcc_lo
	v_lshlrev_b32_e32 v21, 3, v7
	global_store_b64 v[22:23], v[24:25], off
	s_and_saveexec_b32 s3, s22
	s_cbranch_execz .LBB102_25
; %bb.24:                               ;   in Loop: Header=BB102_10 Depth=1
	ds_load_b64 v[22:23], v41
	v_add_co_u32 v24, vcc_lo, v6, v10
	v_add_co_ci_u32_e32 v25, vcc_lo, v16, v11, vcc_lo
	v_add_co_u32 v26, vcc_lo, v17, v21
	v_add_co_ci_u32_e32 v27, vcc_lo, 0, v20, vcc_lo
	s_delay_alu instid0(VALU_DEP_2) | instskip(NEXT) | instid1(VALU_DEP_2)
	v_cndmask_b32_e64 v24, v24, v26, s0
	v_cndmask_b32_e64 v25, v25, v27, s0
	s_waitcnt lgkmcnt(0)
	global_store_b64 v[24:25], v[22:23], off
.LBB102_25:                             ;   in Loop: Header=BB102_10 Depth=1
	s_or_b32 exec_lo, exec_lo, s3
	s_and_saveexec_b32 s3, s11
	s_cbranch_execz .LBB102_8
; %bb.26:                               ;   in Loop: Header=BB102_10 Depth=1
	v_add_co_u32 v17, vcc_lo, v17, v21
	v_add_co_ci_u32_e32 v22, vcc_lo, 0, v20, vcc_lo
	ds_load_b64 v[20:21], v41 offset:32
	v_add_co_u32 v23, vcc_lo, v17, 32
	v_add_co_ci_u32_e32 v17, vcc_lo, 0, v22, vcc_lo
	v_add_co_u32 v6, vcc_lo, v6, v12
	v_add_co_ci_u32_e32 v16, vcc_lo, v16, v13, vcc_lo
	s_delay_alu instid0(VALU_DEP_1) | instskip(NEXT) | instid1(VALU_DEP_3)
	v_cndmask_b32_e64 v17, v16, v17, s0
	v_cndmask_b32_e64 v16, v6, v23, s0
	s_waitcnt lgkmcnt(0)
	global_store_b64 v[16:17], v[20:21], off
	s_branch .LBB102_8
.LBB102_27:
	s_endpgm
	.section	.rodata,"a",@progbits
	.p2align	6, 0x0
	.amdhsa_kernel _ZN9rocsparseL42csr2bsr_wavefront_per_row_multipass_kernelILj256ELj32ELj8E21rocsparse_complex_numIfEllEEv20rocsparse_direction_T4_S4_S4_S4_S4_21rocsparse_index_base_PKT2_PKT3_PKS4_S5_PS6_PS9_PS4_
		.amdhsa_group_segment_fixed_size 4104
		.amdhsa_private_segment_fixed_size 0
		.amdhsa_kernarg_size 112
		.amdhsa_user_sgpr_count 15
		.amdhsa_user_sgpr_dispatch_ptr 0
		.amdhsa_user_sgpr_queue_ptr 0
		.amdhsa_user_sgpr_kernarg_segment_ptr 1
		.amdhsa_user_sgpr_dispatch_id 0
		.amdhsa_user_sgpr_private_segment_size 0
		.amdhsa_wavefront_size32 1
		.amdhsa_uses_dynamic_stack 0
		.amdhsa_enable_private_segment 0
		.amdhsa_system_sgpr_workgroup_id_x 1
		.amdhsa_system_sgpr_workgroup_id_y 0
		.amdhsa_system_sgpr_workgroup_id_z 0
		.amdhsa_system_sgpr_workgroup_info 0
		.amdhsa_system_vgpr_workitem_id 0
		.amdhsa_next_free_vgpr 53
		.amdhsa_next_free_sgpr 27
		.amdhsa_reserve_vcc 1
		.amdhsa_float_round_mode_32 0
		.amdhsa_float_round_mode_16_64 0
		.amdhsa_float_denorm_mode_32 3
		.amdhsa_float_denorm_mode_16_64 3
		.amdhsa_dx10_clamp 1
		.amdhsa_ieee_mode 1
		.amdhsa_fp16_overflow 0
		.amdhsa_workgroup_processor_mode 1
		.amdhsa_memory_ordered 1
		.amdhsa_forward_progress 0
		.amdhsa_shared_vgpr_count 0
		.amdhsa_exception_fp_ieee_invalid_op 0
		.amdhsa_exception_fp_denorm_src 0
		.amdhsa_exception_fp_ieee_div_zero 0
		.amdhsa_exception_fp_ieee_overflow 0
		.amdhsa_exception_fp_ieee_underflow 0
		.amdhsa_exception_fp_ieee_inexact 0
		.amdhsa_exception_int_div_zero 0
	.end_amdhsa_kernel
	.section	.text._ZN9rocsparseL42csr2bsr_wavefront_per_row_multipass_kernelILj256ELj32ELj8E21rocsparse_complex_numIfEllEEv20rocsparse_direction_T4_S4_S4_S4_S4_21rocsparse_index_base_PKT2_PKT3_PKS4_S5_PS6_PS9_PS4_,"axG",@progbits,_ZN9rocsparseL42csr2bsr_wavefront_per_row_multipass_kernelILj256ELj32ELj8E21rocsparse_complex_numIfEllEEv20rocsparse_direction_T4_S4_S4_S4_S4_21rocsparse_index_base_PKT2_PKT3_PKS4_S5_PS6_PS9_PS4_,comdat
.Lfunc_end102:
	.size	_ZN9rocsparseL42csr2bsr_wavefront_per_row_multipass_kernelILj256ELj32ELj8E21rocsparse_complex_numIfEllEEv20rocsparse_direction_T4_S4_S4_S4_S4_21rocsparse_index_base_PKT2_PKT3_PKS4_S5_PS6_PS9_PS4_, .Lfunc_end102-_ZN9rocsparseL42csr2bsr_wavefront_per_row_multipass_kernelILj256ELj32ELj8E21rocsparse_complex_numIfEllEEv20rocsparse_direction_T4_S4_S4_S4_S4_21rocsparse_index_base_PKT2_PKT3_PKS4_S5_PS6_PS9_PS4_
                                        ; -- End function
	.section	.AMDGPU.csdata,"",@progbits
; Kernel info:
; codeLenInByte = 2872
; NumSgprs: 29
; NumVgprs: 53
; ScratchSize: 0
; MemoryBound: 0
; FloatMode: 240
; IeeeMode: 1
; LDSByteSize: 4104 bytes/workgroup (compile time only)
; SGPRBlocks: 3
; VGPRBlocks: 6
; NumSGPRsForWavesPerEU: 29
; NumVGPRsForWavesPerEU: 53
; Occupancy: 16
; WaveLimiterHint : 0
; COMPUTE_PGM_RSRC2:SCRATCH_EN: 0
; COMPUTE_PGM_RSRC2:USER_SGPR: 15
; COMPUTE_PGM_RSRC2:TRAP_HANDLER: 0
; COMPUTE_PGM_RSRC2:TGID_X_EN: 1
; COMPUTE_PGM_RSRC2:TGID_Y_EN: 0
; COMPUTE_PGM_RSRC2:TGID_Z_EN: 0
; COMPUTE_PGM_RSRC2:TIDIG_COMP_CNT: 0
	.section	.text._ZN9rocsparseL42csr2bsr_wavefront_per_row_multipass_kernelILj256ELj64ELj16E21rocsparse_complex_numIfEllEEv20rocsparse_direction_T4_S4_S4_S4_S4_21rocsparse_index_base_PKT2_PKT3_PKS4_S5_PS6_PS9_PS4_,"axG",@progbits,_ZN9rocsparseL42csr2bsr_wavefront_per_row_multipass_kernelILj256ELj64ELj16E21rocsparse_complex_numIfEllEEv20rocsparse_direction_T4_S4_S4_S4_S4_21rocsparse_index_base_PKT2_PKT3_PKS4_S5_PS6_PS9_PS4_,comdat
	.globl	_ZN9rocsparseL42csr2bsr_wavefront_per_row_multipass_kernelILj256ELj64ELj16E21rocsparse_complex_numIfEllEEv20rocsparse_direction_T4_S4_S4_S4_S4_21rocsparse_index_base_PKT2_PKT3_PKS4_S5_PS6_PS9_PS4_ ; -- Begin function _ZN9rocsparseL42csr2bsr_wavefront_per_row_multipass_kernelILj256ELj64ELj16E21rocsparse_complex_numIfEllEEv20rocsparse_direction_T4_S4_S4_S4_S4_21rocsparse_index_base_PKT2_PKT3_PKS4_S5_PS6_PS9_PS4_
	.p2align	8
	.type	_ZN9rocsparseL42csr2bsr_wavefront_per_row_multipass_kernelILj256ELj64ELj16E21rocsparse_complex_numIfEllEEv20rocsparse_direction_T4_S4_S4_S4_S4_21rocsparse_index_base_PKT2_PKT3_PKS4_S5_PS6_PS9_PS4_,@function
_ZN9rocsparseL42csr2bsr_wavefront_per_row_multipass_kernelILj256ELj64ELj16E21rocsparse_complex_numIfEllEEv20rocsparse_direction_T4_S4_S4_S4_S4_21rocsparse_index_base_PKT2_PKT3_PKS4_S5_PS6_PS9_PS4_: ; @_ZN9rocsparseL42csr2bsr_wavefront_per_row_multipass_kernelILj256ELj64ELj16E21rocsparse_complex_numIfEllEEv20rocsparse_direction_T4_S4_S4_S4_S4_21rocsparse_index_base_PKT2_PKT3_PKS4_S5_PS6_PS9_PS4_
; %bb.0:
	s_load_b64 s[8:9], s[0:1], 0x28
	v_lshrrev_b32_e32 v33, 6, v0
	s_mov_b32 s10, s15
	s_ashr_i32 s11, s15, 31
	s_clause 0x1
	s_load_b64 s[14:15], s[0:1], 0x8
	s_load_b128 s[4:7], s[0:1], 0x18
	s_lshl_b64 s[2:3], s[10:11], 2
	v_mov_b32_e32 v7, 0
	v_or_b32_e32 v1, s2, v33
	v_bfe_u32 v6, v0, 2, 4
	s_clause 0x1
	s_load_b32 s18, s[0:1], 0x30
	s_load_b64 s[12:13], s[0:1], 0x40
	s_waitcnt lgkmcnt(0)
	v_mul_lo_u32 v2, v1, s9
	v_mad_u64_u32 v[3:4], null, v1, s8, v[6:7]
	s_mul_i32 s2, s3, s8
	s_delay_alu instid0(VALU_DEP_1) | instid1(SALU_CYCLE_1)
	v_add3_u32 v4, s2, v4, v2
	v_mov_b32_e32 v1, 0
	v_mov_b32_e32 v2, 0
	v_cmp_gt_i64_e64 s2, s[8:9], v[6:7]
	s_delay_alu instid0(VALU_DEP_4) | instskip(NEXT) | instid1(VALU_DEP_3)
	v_cmp_gt_i64_e32 vcc_lo, s[14:15], v[3:4]
	v_dual_mov_b32 v21, v2 :: v_dual_mov_b32 v20, v1
	s_delay_alu instid0(VALU_DEP_3) | instskip(NEXT) | instid1(SALU_CYCLE_1)
	s_and_b32 s3, s2, vcc_lo
	s_and_saveexec_b32 s11, s3
	s_cbranch_execz .LBB103_2
; %bb.1:
	v_lshlrev_b64 v[7:8], 3, v[3:4]
	s_delay_alu instid0(VALU_DEP_1) | instskip(NEXT) | instid1(VALU_DEP_2)
	v_add_co_u32 v7, vcc_lo, s12, v7
	v_add_co_ci_u32_e32 v8, vcc_lo, s13, v8, vcc_lo
	global_load_b64 v[7:8], v[7:8], off
	s_waitcnt vmcnt(0)
	v_sub_co_u32 v20, vcc_lo, v7, s18
	v_subrev_co_ci_u32_e32 v21, vcc_lo, 0, v8, vcc_lo
.LBB103_2:
	s_or_b32 exec_lo, exec_lo, s11
	s_and_saveexec_b32 s11, s3
	s_cbranch_execz .LBB103_4
; %bb.3:
	v_lshlrev_b64 v[1:2], 3, v[3:4]
	s_delay_alu instid0(VALU_DEP_1) | instskip(NEXT) | instid1(VALU_DEP_2)
	v_add_co_u32 v1, vcc_lo, s12, v1
	v_add_co_ci_u32_e32 v2, vcc_lo, s13, v2, vcc_lo
	global_load_b64 v[1:2], v[1:2], off offset:8
	s_waitcnt vmcnt(0)
	v_sub_co_u32 v1, vcc_lo, v1, s18
	v_subrev_co_ci_u32_e32 v2, vcc_lo, 0, v2, vcc_lo
.LBB103_4:
	s_or_b32 exec_lo, exec_lo, s11
	s_load_b32 s19, s[0:1], 0x50
	v_dual_mov_b32 v8, 0 :: v_dual_mov_b32 v3, 0
	v_lshl_or_b32 v7, s10, 2, v33
	v_mov_b32_e32 v4, 0
	s_mov_b32 s3, exec_lo
	s_delay_alu instid0(VALU_DEP_2)
	v_cmpx_gt_i64_e64 s[4:5], v[7:8]
	s_cbranch_execz .LBB103_6
; %bb.5:
	s_load_b64 s[4:5], s[0:1], 0x60
	v_lshlrev_b64 v[3:4], 3, v[7:8]
	s_waitcnt lgkmcnt(0)
	s_delay_alu instid0(VALU_DEP_1) | instskip(NEXT) | instid1(VALU_DEP_2)
	v_add_co_u32 v3, vcc_lo, s4, v3
	v_add_co_ci_u32_e32 v4, vcc_lo, s5, v4, vcc_lo
	global_load_b64 v[3:4], v[3:4], off
	s_waitcnt vmcnt(0)
	v_sub_co_u32 v3, vcc_lo, v3, s19
	v_subrev_co_ci_u32_e32 v4, vcc_lo, 0, v4, vcc_lo
.LBB103_6:
	s_or_b32 exec_lo, exec_lo, s3
	v_cmp_lt_i64_e64 s3, s[6:7], 1
	s_delay_alu instid0(VALU_DEP_1)
	s_and_b32 vcc_lo, exec_lo, s3
	s_cbranch_vccnz .LBB103_31
; %bb.7:
	s_clause 0x1
	s_load_b64 s[4:5], s[0:1], 0x58
	s_load_b64 s[10:11], s[0:1], 0x68
	v_mad_u64_u32 v[9:10], null, v6, s8, 0
	v_dual_mov_b32 v5, 0 :: v_dual_lshlrev_b32 v8, 3, v6
	v_mbcnt_lo_u32_b32 v12, -1, 0
	s_mul_i32 s3, s8, s9
	s_mul_hi_u32 s13, s8, s8
	s_clause 0x2
	s_load_b64 s[14:15], s[0:1], 0x48
	s_load_b64 s[16:17], s[0:1], 0x38
	s_load_b32 s0, s[0:1], 0x0
	s_add_i32 s1, s13, s3
	v_mov_b32_e32 v7, v10
	s_add_i32 s21, s1, s3
	v_lshl_or_b32 v38, v12, 2, 12
	s_mov_b32 s12, 0
	v_dual_mov_b32 v14, v5 :: v_dual_mov_b32 v47, 1
	s_mov_b32 s13, s12
	v_bfrev_b32_e32 v45, 0.5
	s_mul_i32 s20, s8, s8
	s_waitcnt lgkmcnt(0)
	v_add_co_u32 v34, s1, s4, v8
	v_xor_b32_e32 v8, 2, v12
	v_add_co_ci_u32_e64 v35, null, s5, 0, s1
	s_delay_alu instid0(VALU_DEP_2)
	v_mad_u64_u32 v[10:11], null, v6, s9, v[7:8]
	v_xor_b32_e32 v11, 1, v12
	v_cmp_gt_i32_e32 vcc_lo, 32, v8
	v_and_b32_e32 v7, 3, v0
	v_lshlrev_b32_e32 v0, 8, v33
	s_cmp_eq_u32 s0, 0
	v_lshlrev_b64 v[9:10], 3, v[9:10]
	v_cndmask_b32_e32 v13, v12, v8, vcc_lo
	v_cmp_gt_i32_e32 vcc_lo, 32, v11
	v_lshl_or_b32 v0, v6, 4, v0
	v_or_b32_e32 v6, 32, v12
	v_mov_b32_e32 v8, v5
	v_or_b32_e32 v17, 12, v7
	v_cndmask_b32_e32 v11, v12, v11, vcc_lo
	v_add_co_u32 v39, vcc_lo, s4, v9
	v_add_co_ci_u32_e32 v40, vcc_lo, s5, v10, vcc_lo
	v_xor_b32_e32 v9, 16, v12
	v_cmp_gt_i32_e32 vcc_lo, 32, v6
	v_xor_b32_e32 v10, 8, v12
	v_mad_u64_u32 v[26:27], null, v17, s8, 0
	s_cselect_b32 s0, -1, 0
	v_cndmask_b32_e32 v6, v12, v6, vcc_lo
	v_cmp_gt_i32_e32 vcc_lo, 32, v9
	s_sub_i32 s25, 0, s8
	s_delay_alu instid0(VALU_DEP_2) | instskip(SKIP_3) | instid1(VALU_DEP_3)
	v_lshlrev_b32_e32 v41, 2, v6
	v_cndmask_b32_e32 v9, v12, v9, vcc_lo
	v_cmp_gt_i32_e32 vcc_lo, 32, v10
	v_or_b32_e32 v6, v0, v7
	v_lshlrev_b32_e32 v42, 2, v9
	v_lshlrev_b32_e32 v36, 2, v13
	v_dual_cndmask_b32 v10, v12, v10 :: v_dual_lshlrev_b32 v37, 2, v11
	v_xor_b32_e32 v11, 4, v12
	v_or_b32_e32 v9, 4, v7
	v_lshlrev_b32_e32 v46, 3, v6
	v_or_b32_e32 v13, 8, v7
	s_delay_alu instid0(VALU_DEP_4) | instskip(NEXT) | instid1(VALU_DEP_4)
	v_cmp_gt_i32_e32 vcc_lo, 32, v11
	v_mad_u64_u32 v[15:16], null, v9, s8, 0
	v_lshlrev_b32_e32 v43, 2, v10
	s_delay_alu instid0(VALU_DEP_4) | instskip(SKIP_4) | instid1(VALU_DEP_4)
	v_mad_u64_u32 v[24:25], null, v13, s8, 0
	v_cndmask_b32_e32 v11, v12, v11, vcc_lo
	v_cmp_gt_u64_e32 vcc_lo, s[8:9], v[7:8]
	v_cmp_gt_u64_e64 s3, s[8:9], v[13:14]
	v_mov_b32_e32 v8, v16
	v_lshlrev_b32_e32 v44, 2, v11
	v_mad_u64_u32 v[11:12], null, v7, s8, 0
	s_delay_alu instid0(VALU_DEP_3) | instskip(SKIP_3) | instid1(VALU_DEP_3)
	v_mad_u64_u32 v[22:23], null, v9, s9, v[8:9]
	v_mov_b32_e32 v8, v27
	s_and_b32 s22, s2, vcc_lo
	s_and_b32 s24, s2, s3
	v_mov_b32_e32 v6, v12
	s_delay_alu instid0(VALU_DEP_3) | instskip(SKIP_2) | instid1(VALU_DEP_4)
	v_mov_b32_e32 v16, v22
	v_mov_b32_e32 v22, 0
	;; [unrolled: 1-line block ×3, first 2 shown]
	v_mad_u64_u32 v[18:19], null, v7, s9, v[6:7]
	v_mov_b32_e32 v6, v25
	s_delay_alu instid0(VALU_DEP_1) | instskip(SKIP_3) | instid1(VALU_DEP_4)
	v_mad_u64_u32 v[27:28], null, v13, s9, v[6:7]
	v_mad_u64_u32 v[28:29], null, v17, s9, v[8:9]
	v_mov_b32_e32 v10, v5
	v_mov_b32_e32 v12, v18
	v_dual_mov_b32 v18, v5 :: v_dual_mov_b32 v25, v27
	s_delay_alu instid0(VALU_DEP_4) | instskip(NEXT) | instid1(VALU_DEP_4)
	v_mov_b32_e32 v27, v28
	v_cmp_gt_u64_e64 s1, s[8:9], v[9:10]
	s_delay_alu instid0(VALU_DEP_3)
	v_cmp_gt_u64_e64 s4, s[8:9], v[17:18]
	v_mov_b32_e32 v8, s12
	v_lshlrev_b64 v[10:11], 3, v[11:12]
	v_lshlrev_b64 v[12:13], 3, v[15:16]
	v_lshlrev_b64 v[14:15], 3, v[24:25]
	v_lshlrev_b64 v[16:17], 3, v[26:27]
	v_mov_b32_e32 v9, s13
	s_and_b32 s23, s2, s1
	s_and_b32 s13, s2, s4
	s_ashr_i32 s2, s9, 31
	s_branch .LBB103_10
.LBB103_8:                              ;   in Loop: Header=BB103_10 Depth=1
	s_or_b32 exec_lo, exec_lo, s3
	v_mov_b32_e32 v24, 1
	v_mov_b32_e32 v25, 0
.LBB103_9:                              ;   in Loop: Header=BB103_10 Depth=1
	s_or_b32 exec_lo, exec_lo, s1
	ds_bpermute_b32 v22, v41, v18
	ds_bpermute_b32 v23, v41, v19
	v_add_co_u32 v3, s1, v24, v3
	s_delay_alu instid0(VALU_DEP_1)
	v_add_co_ci_u32_e64 v4, s1, v25, v4, s1
	s_waitcnt lgkmcnt(0)
	s_waitcnt_vscnt null, 0x0
	buffer_gl0_inv
	buffer_gl0_inv
	v_cmp_lt_i64_e32 vcc_lo, v[22:23], v[18:19]
	v_dual_cndmask_b32 v19, v19, v23 :: v_dual_cndmask_b32 v18, v18, v22
	ds_bpermute_b32 v23, v42, v19
	ds_bpermute_b32 v22, v42, v18
	s_waitcnt lgkmcnt(0)
	v_cmp_lt_i64_e32 vcc_lo, v[22:23], v[18:19]
	v_dual_cndmask_b32 v19, v19, v23 :: v_dual_cndmask_b32 v18, v18, v22
	ds_bpermute_b32 v23, v43, v19
	ds_bpermute_b32 v22, v43, v18
	s_waitcnt lgkmcnt(0)
	;; [unrolled: 5-line block ×5, first 2 shown]
	v_cmp_lt_i64_e32 vcc_lo, v[22:23], v[18:19]
	v_cndmask_b32_e32 v6, v19, v23, vcc_lo
	v_cndmask_b32_e32 v18, v18, v22, vcc_lo
	ds_bpermute_b32 v23, v45, v6
	ds_bpermute_b32 v22, v45, v18
	s_waitcnt lgkmcnt(0)
	v_cmp_le_i64_e32 vcc_lo, s[6:7], v[22:23]
	s_or_b32 s12, vcc_lo, s12
	s_delay_alu instid0(SALU_CYCLE_1)
	s_and_not1_b32 exec_lo, exec_lo, s12
	s_cbranch_execz .LBB103_31
.LBB103_10:                             ; =>This Loop Header: Depth=1
                                        ;     Child Loop BB103_13 Depth 2
	v_add_co_u32 v20, vcc_lo, v20, v7
	v_add_co_ci_u32_e32 v21, vcc_lo, 0, v21, vcc_lo
	v_dual_mov_b32 v19, s7 :: v_dual_mov_b32 v18, s6
	v_dual_mov_b32 v32, v2 :: v_dual_mov_b32 v31, v1
	s_mov_b32 s26, exec_lo
	ds_store_b8 v33, v5 offset:8192
	ds_store_2addr_b64 v46, v[8:9], v[8:9] offset1:4
	ds_store_2addr_b64 v46, v[8:9], v[8:9] offset0:8 offset1:12
	s_waitcnt lgkmcnt(0)
	buffer_gl0_inv
	v_cmpx_lt_i64_e64 v[20:21], v[1:2]
	s_cbranch_execz .LBB103_22
; %bb.11:                               ;   in Loop: Header=BB103_10 Depth=1
	v_lshlrev_b64 v[18:19], 3, v[20:21]
	v_mad_u64_u32 v[24:25], null, v22, s8, 0
	v_dual_mov_b32 v30, v2 :: v_dual_mov_b32 v29, v1
	s_mov_b32 s27, 0
	s_delay_alu instid0(VALU_DEP_3) | instskip(NEXT) | instid1(VALU_DEP_4)
	v_add_co_u32 v25, vcc_lo, s16, v18
	v_add_co_ci_u32_e32 v26, vcc_lo, s17, v19, vcc_lo
	v_add_co_u32 v27, vcc_lo, s14, v18
	v_add_co_ci_u32_e32 v28, vcc_lo, s15, v19, vcc_lo
	v_dual_mov_b32 v19, s7 :: v_dual_mov_b32 v18, s6
	s_branch .LBB103_13
.LBB103_12:                             ;   in Loop: Header=BB103_13 Depth=2
	s_or_b32 exec_lo, exec_lo, s1
	v_add_co_u32 v20, s1, v20, 4
	s_delay_alu instid0(VALU_DEP_1) | instskip(SKIP_2) | instid1(VALU_DEP_2)
	v_add_co_ci_u32_e64 v21, s1, 0, v21, s1
	s_xor_b32 s3, vcc_lo, -1
	v_add_co_u32 v25, vcc_lo, v25, 32
	v_cmp_ge_i64_e64 s1, v[20:21], v[1:2]
	v_add_co_ci_u32_e32 v26, vcc_lo, 0, v26, vcc_lo
	v_add_co_u32 v27, vcc_lo, v27, 32
	v_add_co_ci_u32_e32 v28, vcc_lo, 0, v28, vcc_lo
	s_delay_alu instid0(VALU_DEP_4) | instskip(SKIP_2) | instid1(SALU_CYCLE_1)
	s_or_b32 s1, s3, s1
	v_dual_mov_b32 v29, v31 :: v_dual_mov_b32 v30, v32
	s_and_b32 s1, exec_lo, s1
	s_or_b32 s27, s1, s27
	s_delay_alu instid0(SALU_CYCLE_1)
	s_and_not1_b32 exec_lo, exec_lo, s27
	s_cbranch_execz .LBB103_21
.LBB103_13:                             ;   Parent Loop BB103_10 Depth=1
                                        ; =>  This Inner Loop Header: Depth=2
	global_load_b64 v[31:32], v[27:28], off
	s_mov_b32 s1, exec_lo
	s_waitcnt vmcnt(0)
	v_sub_co_u32 v48, vcc_lo, v31, s18
	v_subrev_co_ci_u32_e32 v49, vcc_lo, 0, v32, vcc_lo
                                        ; implicit-def: $vgpr31_vgpr32
	s_delay_alu instid0(VALU_DEP_1) | instskip(NEXT) | instid1(VALU_DEP_1)
	v_or_b32_e32 v6, s9, v49
	v_cmpx_ne_u64_e32 0, v[5:6]
	s_xor_b32 s28, exec_lo, s1
	s_cbranch_execz .LBB103_15
; %bb.14:                               ;   in Loop: Header=BB103_13 Depth=2
	s_add_u32 s4, s8, s2
	s_mov_b32 s3, s2
	s_addc_u32 s5, s9, s2
	s_delay_alu instid0(SALU_CYCLE_1) | instskip(NEXT) | instid1(SALU_CYCLE_1)
	s_xor_b64 s[4:5], s[4:5], s[2:3]
	v_cvt_f32_u32_e32 v6, s4
	v_cvt_f32_u32_e32 v31, s5
	s_sub_u32 s1, 0, s4
	s_subb_u32 s3, 0, s5
	s_delay_alu instid0(VALU_DEP_1) | instskip(NEXT) | instid1(VALU_DEP_1)
	v_fmac_f32_e32 v6, 0x4f800000, v31
	v_rcp_f32_e32 v6, v6
	s_waitcnt_depctr 0xfff
	v_mul_f32_e32 v6, 0x5f7ffffc, v6
	s_delay_alu instid0(VALU_DEP_1) | instskip(NEXT) | instid1(VALU_DEP_1)
	v_mul_f32_e32 v31, 0x2f800000, v6
	v_trunc_f32_e32 v31, v31
	s_delay_alu instid0(VALU_DEP_1) | instskip(SKIP_1) | instid1(VALU_DEP_2)
	v_fmac_f32_e32 v6, 0xcf800000, v31
	v_cvt_u32_f32_e32 v31, v31
	v_cvt_u32_f32_e32 v6, v6
	s_delay_alu instid0(VALU_DEP_2) | instskip(NEXT) | instid1(VALU_DEP_2)
	v_mul_lo_u32 v32, s1, v31
	v_mul_hi_u32 v50, s1, v6
	v_mul_lo_u32 v51, s3, v6
	s_delay_alu instid0(VALU_DEP_2) | instskip(SKIP_1) | instid1(VALU_DEP_2)
	v_add_nc_u32_e32 v32, v50, v32
	v_mul_lo_u32 v50, s1, v6
	v_add_nc_u32_e32 v32, v32, v51
	s_delay_alu instid0(VALU_DEP_2) | instskip(NEXT) | instid1(VALU_DEP_2)
	v_mul_hi_u32 v51, v6, v50
	v_mul_lo_u32 v52, v6, v32
	v_mul_hi_u32 v53, v6, v32
	v_mul_hi_u32 v54, v31, v50
	v_mul_lo_u32 v50, v31, v50
	v_mul_hi_u32 v55, v31, v32
	v_mul_lo_u32 v32, v31, v32
	v_add_co_u32 v51, vcc_lo, v51, v52
	v_add_co_ci_u32_e32 v52, vcc_lo, 0, v53, vcc_lo
	s_delay_alu instid0(VALU_DEP_2) | instskip(NEXT) | instid1(VALU_DEP_2)
	v_add_co_u32 v50, vcc_lo, v51, v50
	v_add_co_ci_u32_e32 v50, vcc_lo, v52, v54, vcc_lo
	v_add_co_ci_u32_e32 v51, vcc_lo, 0, v55, vcc_lo
	v_ashrrev_i32_e32 v54, 31, v49
	s_delay_alu instid0(VALU_DEP_3) | instskip(NEXT) | instid1(VALU_DEP_3)
	v_add_co_u32 v32, vcc_lo, v50, v32
	v_add_co_ci_u32_e32 v50, vcc_lo, 0, v51, vcc_lo
	s_delay_alu instid0(VALU_DEP_2) | instskip(NEXT) | instid1(VALU_DEP_2)
	v_add_co_u32 v6, vcc_lo, v6, v32
	v_add_co_ci_u32_e32 v31, vcc_lo, v31, v50, vcc_lo
	s_delay_alu instid0(VALU_DEP_2) | instskip(SKIP_1) | instid1(VALU_DEP_3)
	v_mul_hi_u32 v32, s1, v6
	v_mul_lo_u32 v51, s3, v6
	v_mul_lo_u32 v50, s1, v31
	s_delay_alu instid0(VALU_DEP_1) | instskip(SKIP_1) | instid1(VALU_DEP_2)
	v_add_nc_u32_e32 v32, v32, v50
	v_mul_lo_u32 v50, s1, v6
	v_add_nc_u32_e32 v32, v32, v51
	s_delay_alu instid0(VALU_DEP_2) | instskip(NEXT) | instid1(VALU_DEP_2)
	v_mul_hi_u32 v51, v6, v50
	v_mul_lo_u32 v52, v6, v32
	v_mul_hi_u32 v53, v6, v32
	v_mul_hi_u32 v55, v31, v50
	v_mul_lo_u32 v50, v31, v50
	v_mul_hi_u32 v56, v31, v32
	v_mul_lo_u32 v32, v31, v32
	v_add_co_u32 v51, vcc_lo, v51, v52
	v_add_co_ci_u32_e32 v52, vcc_lo, 0, v53, vcc_lo
	s_delay_alu instid0(VALU_DEP_2) | instskip(NEXT) | instid1(VALU_DEP_2)
	v_add_co_u32 v50, vcc_lo, v51, v50
	v_add_co_ci_u32_e32 v50, vcc_lo, v52, v55, vcc_lo
	v_add_co_ci_u32_e32 v51, vcc_lo, 0, v56, vcc_lo
	v_add_co_u32 v52, vcc_lo, v48, v54
	v_add_co_ci_u32_e32 v49, vcc_lo, v49, v54, vcc_lo
	s_delay_alu instid0(VALU_DEP_4) | instskip(NEXT) | instid1(VALU_DEP_4)
	v_add_co_u32 v32, vcc_lo, v50, v32
	v_add_co_ci_u32_e32 v50, vcc_lo, 0, v51, vcc_lo
	s_delay_alu instid0(VALU_DEP_4) | instskip(NEXT) | instid1(VALU_DEP_3)
	v_xor_b32_e32 v53, v52, v54
	v_add_co_u32 v6, vcc_lo, v6, v32
	s_delay_alu instid0(VALU_DEP_3) | instskip(SKIP_1) | instid1(VALU_DEP_3)
	v_add_co_ci_u32_e32 v55, vcc_lo, v31, v50, vcc_lo
	v_xor_b32_e32 v56, v49, v54
	v_mul_hi_u32 v57, v53, v6
	s_delay_alu instid0(VALU_DEP_3) | instskip(NEXT) | instid1(VALU_DEP_3)
	v_mad_u64_u32 v[31:32], null, v53, v55, 0
	v_mad_u64_u32 v[49:50], null, v56, v6, 0
	;; [unrolled: 1-line block ×3, first 2 shown]
	s_delay_alu instid0(VALU_DEP_3) | instskip(NEXT) | instid1(VALU_DEP_4)
	v_add_co_u32 v6, vcc_lo, v57, v31
	v_add_co_ci_u32_e32 v31, vcc_lo, 0, v32, vcc_lo
	s_delay_alu instid0(VALU_DEP_2) | instskip(NEXT) | instid1(VALU_DEP_2)
	v_add_co_u32 v6, vcc_lo, v6, v49
	v_add_co_ci_u32_e32 v6, vcc_lo, v31, v50, vcc_lo
	v_add_co_ci_u32_e32 v31, vcc_lo, 0, v52, vcc_lo
	s_delay_alu instid0(VALU_DEP_2) | instskip(NEXT) | instid1(VALU_DEP_2)
	v_add_co_u32 v6, vcc_lo, v6, v51
	v_add_co_ci_u32_e32 v49, vcc_lo, 0, v31, vcc_lo
	s_delay_alu instid0(VALU_DEP_2) | instskip(SKIP_1) | instid1(VALU_DEP_3)
	v_mul_lo_u32 v50, s5, v6
	v_mad_u64_u32 v[31:32], null, s4, v6, 0
	v_mul_lo_u32 v51, s4, v49
	s_delay_alu instid0(VALU_DEP_2) | instskip(NEXT) | instid1(VALU_DEP_2)
	v_sub_co_u32 v31, vcc_lo, v53, v31
	v_add3_u32 v32, v32, v51, v50
	s_delay_alu instid0(VALU_DEP_1) | instskip(NEXT) | instid1(VALU_DEP_1)
	v_sub_nc_u32_e32 v50, v56, v32
	v_subrev_co_ci_u32_e64 v50, s1, s5, v50, vcc_lo
	v_add_co_u32 v51, s1, v6, 2
	s_delay_alu instid0(VALU_DEP_1) | instskip(SKIP_3) | instid1(VALU_DEP_3)
	v_add_co_ci_u32_e64 v52, s1, 0, v49, s1
	v_sub_co_u32 v53, s1, v31, s4
	v_sub_co_ci_u32_e32 v32, vcc_lo, v56, v32, vcc_lo
	v_subrev_co_ci_u32_e64 v50, s1, 0, v50, s1
	v_cmp_le_u32_e32 vcc_lo, s4, v53
	s_delay_alu instid0(VALU_DEP_3) | instskip(SKIP_1) | instid1(VALU_DEP_4)
	v_cmp_eq_u32_e64 s1, s5, v32
	v_cndmask_b32_e64 v53, 0, -1, vcc_lo
	v_cmp_le_u32_e32 vcc_lo, s5, v50
	v_cndmask_b32_e64 v55, 0, -1, vcc_lo
	v_cmp_le_u32_e32 vcc_lo, s4, v31
	;; [unrolled: 2-line block ×3, first 2 shown]
	v_cndmask_b32_e64 v56, 0, -1, vcc_lo
	v_cmp_eq_u32_e32 vcc_lo, s5, v50
	s_delay_alu instid0(VALU_DEP_2) | instskip(SKIP_3) | instid1(VALU_DEP_3)
	v_cndmask_b32_e64 v31, v56, v31, s1
	v_cndmask_b32_e32 v50, v55, v53, vcc_lo
	v_add_co_u32 v53, vcc_lo, v6, 1
	v_add_co_ci_u32_e32 v55, vcc_lo, 0, v49, vcc_lo
	v_cmp_ne_u32_e32 vcc_lo, 0, v50
	s_delay_alu instid0(VALU_DEP_2) | instskip(NEXT) | instid1(VALU_DEP_4)
	v_cndmask_b32_e32 v32, v55, v52, vcc_lo
	v_cndmask_b32_e32 v50, v53, v51, vcc_lo
	v_cmp_ne_u32_e32 vcc_lo, 0, v31
	v_xor_b32_e32 v51, s2, v54
	s_delay_alu instid0(VALU_DEP_3) | instskip(NEXT) | instid1(VALU_DEP_1)
	v_dual_cndmask_b32 v6, v6, v50 :: v_dual_cndmask_b32 v31, v49, v32
	v_xor_b32_e32 v6, v6, v51
	s_delay_alu instid0(VALU_DEP_2) | instskip(NEXT) | instid1(VALU_DEP_2)
	v_xor_b32_e32 v32, v31, v51
	v_sub_co_u32 v31, vcc_lo, v6, v51
	s_delay_alu instid0(VALU_DEP_2)
	v_sub_co_ci_u32_e32 v32, vcc_lo, v32, v51, vcc_lo
.LBB103_15:                             ;   in Loop: Header=BB103_13 Depth=2
	s_and_not1_saveexec_b32 s1, s28
	s_cbranch_execz .LBB103_17
; %bb.16:                               ;   in Loop: Header=BB103_13 Depth=2
	v_cvt_f32_u32_e32 v6, s8
	s_delay_alu instid0(VALU_DEP_1) | instskip(SKIP_2) | instid1(VALU_DEP_1)
	v_rcp_iflag_f32_e32 v6, v6
	s_waitcnt_depctr 0xfff
	v_mul_f32_e32 v6, 0x4f7ffffe, v6
	v_cvt_u32_f32_e32 v6, v6
	s_delay_alu instid0(VALU_DEP_1) | instskip(NEXT) | instid1(VALU_DEP_1)
	v_mul_lo_u32 v31, s25, v6
	v_mul_hi_u32 v31, v6, v31
	s_delay_alu instid0(VALU_DEP_1) | instskip(NEXT) | instid1(VALU_DEP_1)
	v_add_nc_u32_e32 v6, v6, v31
	v_mul_hi_u32 v6, v48, v6
	s_delay_alu instid0(VALU_DEP_1) | instskip(SKIP_1) | instid1(VALU_DEP_2)
	v_mul_lo_u32 v31, v6, s8
	v_add_nc_u32_e32 v32, 1, v6
	v_sub_nc_u32_e32 v31, v48, v31
	s_delay_alu instid0(VALU_DEP_1) | instskip(SKIP_1) | instid1(VALU_DEP_2)
	v_subrev_nc_u32_e32 v49, s8, v31
	v_cmp_le_u32_e32 vcc_lo, s8, v31
	v_dual_cndmask_b32 v31, v31, v49 :: v_dual_cndmask_b32 v6, v6, v32
	s_delay_alu instid0(VALU_DEP_1) | instskip(NEXT) | instid1(VALU_DEP_2)
	v_cmp_le_u32_e32 vcc_lo, s8, v31
	v_add_nc_u32_e32 v32, 1, v6
	s_delay_alu instid0(VALU_DEP_1)
	v_dual_cndmask_b32 v31, v6, v32 :: v_dual_mov_b32 v32, v5
.LBB103_17:                             ;   in Loop: Header=BB103_13 Depth=2
	s_or_b32 exec_lo, exec_lo, s1
	s_delay_alu instid0(VALU_DEP_1)
	v_cmp_eq_u64_e32 vcc_lo, v[31:32], v[22:23]
	s_mov_b32 s3, exec_lo
	v_cmpx_ne_u64_e64 v[31:32], v[22:23]
	s_xor_b32 s3, exec_lo, s3
; %bb.18:                               ;   in Loop: Header=BB103_13 Depth=2
	v_cmp_lt_i64_e64 s1, v[31:32], v[18:19]
                                        ; implicit-def: $vgpr48
                                        ; implicit-def: $vgpr29_vgpr30
	s_delay_alu instid0(VALU_DEP_1)
	v_cndmask_b32_e64 v19, v19, v32, s1
	v_cndmask_b32_e64 v18, v18, v31, s1
; %bb.19:                               ;   in Loop: Header=BB103_13 Depth=2
	s_or_saveexec_b32 s1, s3
	v_dual_mov_b32 v32, v21 :: v_dual_mov_b32 v31, v20
	s_xor_b32 exec_lo, exec_lo, s1
	s_cbranch_execz .LBB103_12
; %bb.20:                               ;   in Loop: Header=BB103_13 Depth=2
	global_load_b64 v[49:50], v[25:26], off
	v_sub_nc_u32_e32 v6, v48, v24
	v_dual_mov_b32 v32, v30 :: v_dual_mov_b32 v31, v29
	s_delay_alu instid0(VALU_DEP_2)
	v_add_lshl_u32 v6, v0, v6, 3
	ds_store_b8 v33, v47 offset:8192
	s_waitcnt vmcnt(0)
	ds_store_b64 v6, v[49:50]
	s_branch .LBB103_12
.LBB103_21:                             ;   in Loop: Header=BB103_10 Depth=1
	s_or_b32 exec_lo, exec_lo, s27
.LBB103_22:                             ;   in Loop: Header=BB103_10 Depth=1
	s_delay_alu instid0(SALU_CYCLE_1)
	s_or_b32 exec_lo, exec_lo, s26
	ds_bpermute_b32 v20, v36, v31
	ds_bpermute_b32 v21, v36, v32
	s_waitcnt lgkmcnt(0)
	buffer_gl0_inv
	ds_load_u8 v6, v33 offset:8192
	s_mov_b32 s1, exec_lo
	v_cmp_lt_i64_e32 vcc_lo, v[20:21], v[31:32]
	s_waitcnt lgkmcnt(0)
	v_dual_cndmask_b32 v21, v32, v21 :: v_dual_and_b32 v6, 1, v6
	v_cndmask_b32_e32 v20, v31, v20, vcc_lo
	ds_bpermute_b32 v25, v37, v21
	ds_bpermute_b32 v24, v37, v20
	s_waitcnt lgkmcnt(0)
	v_cmp_lt_i64_e32 vcc_lo, v[24:25], v[20:21]
	v_dual_cndmask_b32 v21, v21, v25 :: v_dual_cndmask_b32 v20, v20, v24
	v_mov_b32_e32 v24, 0
	v_mov_b32_e32 v25, 0
	ds_bpermute_b32 v21, v38, v21
	ds_bpermute_b32 v20, v38, v20
	v_cmpx_eq_u32_e32 1, v6
	s_cbranch_execz .LBB103_9
; %bb.23:                               ;   in Loop: Header=BB103_10 Depth=1
	v_mul_lo_u32 v6, s21, v3
	v_mul_lo_u32 v28, s20, v4
	v_mad_u64_u32 v[24:25], null, s20, v3, 0
	v_lshlrev_b64 v[26:27], 3, v[3:4]
	s_delay_alu instid0(VALU_DEP_2) | instskip(SKIP_2) | instid1(VALU_DEP_3)
	v_add3_u32 v25, v25, v28, v6
	v_add_co_u32 v28, vcc_lo, v22, s19
	v_add_co_ci_u32_e32 v29, vcc_lo, 0, v23, vcc_lo
	v_lshlrev_b64 v[23:24], 3, v[24:25]
	v_add_co_u32 v26, vcc_lo, s10, v26
	v_add_co_ci_u32_e32 v27, vcc_lo, s11, v27, vcc_lo
	v_lshlrev_b32_e32 v25, 3, v7
	s_delay_alu instid0(VALU_DEP_4)
	v_add_co_u32 v6, vcc_lo, v34, v23
	v_add_co_ci_u32_e32 v22, vcc_lo, v35, v24, vcc_lo
	v_add_co_u32 v23, vcc_lo, v39, v23
	v_add_co_ci_u32_e32 v24, vcc_lo, v40, v24, vcc_lo
	global_store_b64 v[26:27], v[28:29], off
	s_and_saveexec_b32 s3, s22
	s_cbranch_execnz .LBB103_27
; %bb.24:                               ;   in Loop: Header=BB103_10 Depth=1
	s_or_b32 exec_lo, exec_lo, s3
	s_and_saveexec_b32 s3, s23
	s_cbranch_execnz .LBB103_28
.LBB103_25:                             ;   in Loop: Header=BB103_10 Depth=1
	s_or_b32 exec_lo, exec_lo, s3
	s_and_saveexec_b32 s3, s24
	s_cbranch_execnz .LBB103_29
.LBB103_26:                             ;   in Loop: Header=BB103_10 Depth=1
	s_or_b32 exec_lo, exec_lo, s3
	s_and_saveexec_b32 s3, s13
	s_cbranch_execz .LBB103_8
	s_branch .LBB103_30
.LBB103_27:                             ;   in Loop: Header=BB103_10 Depth=1
	ds_load_b64 v[26:27], v46
	v_add_co_u32 v28, vcc_lo, v6, v10
	v_add_co_ci_u32_e32 v29, vcc_lo, v22, v11, vcc_lo
	v_add_co_u32 v30, vcc_lo, v23, v25
	v_add_co_ci_u32_e32 v31, vcc_lo, 0, v24, vcc_lo
	s_delay_alu instid0(VALU_DEP_2) | instskip(NEXT) | instid1(VALU_DEP_2)
	v_cndmask_b32_e64 v28, v28, v30, s0
	v_cndmask_b32_e64 v29, v29, v31, s0
	s_waitcnt lgkmcnt(0)
	global_store_b64 v[28:29], v[26:27], off
	s_or_b32 exec_lo, exec_lo, s3
	s_and_saveexec_b32 s3, s23
	s_cbranch_execz .LBB103_25
.LBB103_28:                             ;   in Loop: Header=BB103_10 Depth=1
	v_add_co_u32 v28, vcc_lo, v23, v25
	ds_load_b64 v[26:27], v46 offset:32
	v_add_co_ci_u32_e32 v29, vcc_lo, 0, v24, vcc_lo
	v_add_co_u32 v28, vcc_lo, v28, 32
	s_delay_alu instid0(VALU_DEP_2) | instskip(SKIP_2) | instid1(VALU_DEP_2)
	v_add_co_ci_u32_e32 v29, vcc_lo, 0, v29, vcc_lo
	v_add_co_u32 v30, vcc_lo, v6, v12
	v_add_co_ci_u32_e32 v31, vcc_lo, v22, v13, vcc_lo
	v_cndmask_b32_e64 v28, v30, v28, s0
	s_delay_alu instid0(VALU_DEP_2)
	v_cndmask_b32_e64 v29, v31, v29, s0
	s_waitcnt lgkmcnt(0)
	global_store_b64 v[28:29], v[26:27], off
	s_or_b32 exec_lo, exec_lo, s3
	s_and_saveexec_b32 s3, s24
	s_cbranch_execz .LBB103_26
.LBB103_29:                             ;   in Loop: Header=BB103_10 Depth=1
	v_add_co_u32 v28, vcc_lo, v23, v25
	ds_load_b64 v[26:27], v46 offset:64
	v_add_co_ci_u32_e32 v29, vcc_lo, 0, v24, vcc_lo
	v_add_co_u32 v28, vcc_lo, v28, 64
	s_delay_alu instid0(VALU_DEP_2) | instskip(SKIP_2) | instid1(VALU_DEP_2)
	v_add_co_ci_u32_e32 v29, vcc_lo, 0, v29, vcc_lo
	v_add_co_u32 v30, vcc_lo, v6, v14
	v_add_co_ci_u32_e32 v31, vcc_lo, v22, v15, vcc_lo
	v_cndmask_b32_e64 v28, v30, v28, s0
	s_delay_alu instid0(VALU_DEP_2)
	v_cndmask_b32_e64 v29, v31, v29, s0
	s_waitcnt lgkmcnt(0)
	global_store_b64 v[28:29], v[26:27], off
	s_or_b32 exec_lo, exec_lo, s3
	s_and_saveexec_b32 s3, s13
	s_cbranch_execz .LBB103_8
.LBB103_30:                             ;   in Loop: Header=BB103_10 Depth=1
	v_add_co_u32 v25, vcc_lo, v23, v25
	v_add_co_ci_u32_e32 v26, vcc_lo, 0, v24, vcc_lo
	ds_load_b64 v[23:24], v46 offset:96
	v_add_co_u32 v25, vcc_lo, 0x60, v25
	v_add_co_ci_u32_e32 v26, vcc_lo, 0, v26, vcc_lo
	v_add_co_u32 v6, vcc_lo, v6, v16
	v_add_co_ci_u32_e32 v22, vcc_lo, v22, v17, vcc_lo
	s_delay_alu instid0(VALU_DEP_2) | instskip(NEXT) | instid1(VALU_DEP_2)
	v_cndmask_b32_e64 v25, v6, v25, s0
	v_cndmask_b32_e64 v26, v22, v26, s0
	s_waitcnt lgkmcnt(0)
	global_store_b64 v[25:26], v[23:24], off
	s_branch .LBB103_8
.LBB103_31:
	s_endpgm
	.section	.rodata,"a",@progbits
	.p2align	6, 0x0
	.amdhsa_kernel _ZN9rocsparseL42csr2bsr_wavefront_per_row_multipass_kernelILj256ELj64ELj16E21rocsparse_complex_numIfEllEEv20rocsparse_direction_T4_S4_S4_S4_S4_21rocsparse_index_base_PKT2_PKT3_PKS4_S5_PS6_PS9_PS4_
		.amdhsa_group_segment_fixed_size 8196
		.amdhsa_private_segment_fixed_size 0
		.amdhsa_kernarg_size 112
		.amdhsa_user_sgpr_count 15
		.amdhsa_user_sgpr_dispatch_ptr 0
		.amdhsa_user_sgpr_queue_ptr 0
		.amdhsa_user_sgpr_kernarg_segment_ptr 1
		.amdhsa_user_sgpr_dispatch_id 0
		.amdhsa_user_sgpr_private_segment_size 0
		.amdhsa_wavefront_size32 1
		.amdhsa_uses_dynamic_stack 0
		.amdhsa_enable_private_segment 0
		.amdhsa_system_sgpr_workgroup_id_x 1
		.amdhsa_system_sgpr_workgroup_id_y 0
		.amdhsa_system_sgpr_workgroup_id_z 0
		.amdhsa_system_sgpr_workgroup_info 0
		.amdhsa_system_vgpr_workitem_id 0
		.amdhsa_next_free_vgpr 58
		.amdhsa_next_free_sgpr 29
		.amdhsa_reserve_vcc 1
		.amdhsa_float_round_mode_32 0
		.amdhsa_float_round_mode_16_64 0
		.amdhsa_float_denorm_mode_32 3
		.amdhsa_float_denorm_mode_16_64 3
		.amdhsa_dx10_clamp 1
		.amdhsa_ieee_mode 1
		.amdhsa_fp16_overflow 0
		.amdhsa_workgroup_processor_mode 1
		.amdhsa_memory_ordered 1
		.amdhsa_forward_progress 0
		.amdhsa_shared_vgpr_count 0
		.amdhsa_exception_fp_ieee_invalid_op 0
		.amdhsa_exception_fp_denorm_src 0
		.amdhsa_exception_fp_ieee_div_zero 0
		.amdhsa_exception_fp_ieee_overflow 0
		.amdhsa_exception_fp_ieee_underflow 0
		.amdhsa_exception_fp_ieee_inexact 0
		.amdhsa_exception_int_div_zero 0
	.end_amdhsa_kernel
	.section	.text._ZN9rocsparseL42csr2bsr_wavefront_per_row_multipass_kernelILj256ELj64ELj16E21rocsparse_complex_numIfEllEEv20rocsparse_direction_T4_S4_S4_S4_S4_21rocsparse_index_base_PKT2_PKT3_PKS4_S5_PS6_PS9_PS4_,"axG",@progbits,_ZN9rocsparseL42csr2bsr_wavefront_per_row_multipass_kernelILj256ELj64ELj16E21rocsparse_complex_numIfEllEEv20rocsparse_direction_T4_S4_S4_S4_S4_21rocsparse_index_base_PKT2_PKT3_PKS4_S5_PS6_PS9_PS4_,comdat
.Lfunc_end103:
	.size	_ZN9rocsparseL42csr2bsr_wavefront_per_row_multipass_kernelILj256ELj64ELj16E21rocsparse_complex_numIfEllEEv20rocsparse_direction_T4_S4_S4_S4_S4_21rocsparse_index_base_PKT2_PKT3_PKS4_S5_PS6_PS9_PS4_, .Lfunc_end103-_ZN9rocsparseL42csr2bsr_wavefront_per_row_multipass_kernelILj256ELj64ELj16E21rocsparse_complex_numIfEllEEv20rocsparse_direction_T4_S4_S4_S4_S4_21rocsparse_index_base_PKT2_PKT3_PKS4_S5_PS6_PS9_PS4_
                                        ; -- End function
	.section	.AMDGPU.csdata,"",@progbits
; Kernel info:
; codeLenInByte = 3284
; NumSgprs: 31
; NumVgprs: 58
; ScratchSize: 0
; MemoryBound: 0
; FloatMode: 240
; IeeeMode: 1
; LDSByteSize: 8196 bytes/workgroup (compile time only)
; SGPRBlocks: 3
; VGPRBlocks: 7
; NumSGPRsForWavesPerEU: 31
; NumVGPRsForWavesPerEU: 58
; Occupancy: 16
; WaveLimiterHint : 0
; COMPUTE_PGM_RSRC2:SCRATCH_EN: 0
; COMPUTE_PGM_RSRC2:USER_SGPR: 15
; COMPUTE_PGM_RSRC2:TRAP_HANDLER: 0
; COMPUTE_PGM_RSRC2:TGID_X_EN: 1
; COMPUTE_PGM_RSRC2:TGID_Y_EN: 0
; COMPUTE_PGM_RSRC2:TGID_Z_EN: 0
; COMPUTE_PGM_RSRC2:TIDIG_COMP_CNT: 0
	.section	.text._ZN9rocsparseL42csr2bsr_wavefront_per_row_multipass_kernelILj256ELj32ELj16E21rocsparse_complex_numIfEllEEv20rocsparse_direction_T4_S4_S4_S4_S4_21rocsparse_index_base_PKT2_PKT3_PKS4_S5_PS6_PS9_PS4_,"axG",@progbits,_ZN9rocsparseL42csr2bsr_wavefront_per_row_multipass_kernelILj256ELj32ELj16E21rocsparse_complex_numIfEllEEv20rocsparse_direction_T4_S4_S4_S4_S4_21rocsparse_index_base_PKT2_PKT3_PKS4_S5_PS6_PS9_PS4_,comdat
	.globl	_ZN9rocsparseL42csr2bsr_wavefront_per_row_multipass_kernelILj256ELj32ELj16E21rocsparse_complex_numIfEllEEv20rocsparse_direction_T4_S4_S4_S4_S4_21rocsparse_index_base_PKT2_PKT3_PKS4_S5_PS6_PS9_PS4_ ; -- Begin function _ZN9rocsparseL42csr2bsr_wavefront_per_row_multipass_kernelILj256ELj32ELj16E21rocsparse_complex_numIfEllEEv20rocsparse_direction_T4_S4_S4_S4_S4_21rocsparse_index_base_PKT2_PKT3_PKS4_S5_PS6_PS9_PS4_
	.p2align	8
	.type	_ZN9rocsparseL42csr2bsr_wavefront_per_row_multipass_kernelILj256ELj32ELj16E21rocsparse_complex_numIfEllEEv20rocsparse_direction_T4_S4_S4_S4_S4_21rocsparse_index_base_PKT2_PKT3_PKS4_S5_PS6_PS9_PS4_,@function
_ZN9rocsparseL42csr2bsr_wavefront_per_row_multipass_kernelILj256ELj32ELj16E21rocsparse_complex_numIfEllEEv20rocsparse_direction_T4_S4_S4_S4_S4_21rocsparse_index_base_PKT2_PKT3_PKS4_S5_PS6_PS9_PS4_: ; @_ZN9rocsparseL42csr2bsr_wavefront_per_row_multipass_kernelILj256ELj32ELj16E21rocsparse_complex_numIfEllEEv20rocsparse_direction_T4_S4_S4_S4_S4_21rocsparse_index_base_PKT2_PKT3_PKS4_S5_PS6_PS9_PS4_
; %bb.0:
	s_load_b64 s[12:13], s[0:1], 0x28
	v_lshrrev_b32_e32 v39, 5, v0
	s_mov_b32 s4, s15
	s_ashr_i32 s5, s15, 31
	s_clause 0x1
	s_load_b64 s[14:15], s[0:1], 0x8
	s_load_b128 s[8:11], s[0:1], 0x18
	s_lshl_b64 s[2:3], s[4:5], 3
	v_mov_b32_e32 v7, 0
	v_or_b32_e32 v1, s2, v39
	v_bfe_u32 v6, v0, 1, 4
	s_clause 0x1
	s_load_b32 s22, s[0:1], 0x30
	s_load_b64 s[6:7], s[0:1], 0x40
	s_waitcnt lgkmcnt(0)
	v_mul_lo_u32 v2, v1, s13
	v_mad_u64_u32 v[3:4], null, v1, s12, v[6:7]
	s_mul_i32 s2, s3, s12
	s_delay_alu instid0(VALU_DEP_1) | instid1(SALU_CYCLE_1)
	v_add3_u32 v4, s2, v4, v2
	v_mov_b32_e32 v1, 0
	v_mov_b32_e32 v2, 0
	v_cmp_gt_i64_e64 s2, s[12:13], v[6:7]
	s_delay_alu instid0(VALU_DEP_4) | instskip(NEXT) | instid1(VALU_DEP_3)
	v_cmp_gt_i64_e32 vcc_lo, s[14:15], v[3:4]
	v_dual_mov_b32 v25, v2 :: v_dual_mov_b32 v24, v1
	s_delay_alu instid0(VALU_DEP_3) | instskip(NEXT) | instid1(SALU_CYCLE_1)
	s_and_b32 s3, s2, vcc_lo
	s_and_saveexec_b32 s5, s3
	s_cbranch_execz .LBB104_2
; %bb.1:
	v_lshlrev_b64 v[7:8], 3, v[3:4]
	s_delay_alu instid0(VALU_DEP_1) | instskip(NEXT) | instid1(VALU_DEP_2)
	v_add_co_u32 v7, vcc_lo, s6, v7
	v_add_co_ci_u32_e32 v8, vcc_lo, s7, v8, vcc_lo
	global_load_b64 v[7:8], v[7:8], off
	s_waitcnt vmcnt(0)
	v_sub_co_u32 v24, vcc_lo, v7, s22
	v_subrev_co_ci_u32_e32 v25, vcc_lo, 0, v8, vcc_lo
.LBB104_2:
	s_or_b32 exec_lo, exec_lo, s5
	s_and_saveexec_b32 s5, s3
	s_cbranch_execz .LBB104_4
; %bb.3:
	v_lshlrev_b64 v[1:2], 3, v[3:4]
	s_delay_alu instid0(VALU_DEP_1) | instskip(NEXT) | instid1(VALU_DEP_2)
	v_add_co_u32 v1, vcc_lo, s6, v1
	v_add_co_ci_u32_e32 v2, vcc_lo, s7, v2, vcc_lo
	global_load_b64 v[1:2], v[1:2], off offset:8
	s_waitcnt vmcnt(0)
	v_sub_co_u32 v1, vcc_lo, v1, s22
	v_subrev_co_ci_u32_e32 v2, vcc_lo, 0, v2, vcc_lo
.LBB104_4:
	s_or_b32 exec_lo, exec_lo, s5
	s_load_b32 s23, s[0:1], 0x50
	v_dual_mov_b32 v8, 0 :: v_dual_mov_b32 v3, 0
	v_lshl_or_b32 v7, s4, 3, v39
	v_mov_b32_e32 v4, 0
	s_mov_b32 s3, exec_lo
	s_delay_alu instid0(VALU_DEP_2)
	v_cmpx_gt_i64_e64 s[8:9], v[7:8]
	s_cbranch_execz .LBB104_6
; %bb.5:
	s_load_b64 s[4:5], s[0:1], 0x60
	v_lshlrev_b64 v[3:4], 3, v[7:8]
	s_waitcnt lgkmcnt(0)
	s_delay_alu instid0(VALU_DEP_1) | instskip(NEXT) | instid1(VALU_DEP_2)
	v_add_co_u32 v3, vcc_lo, s4, v3
	v_add_co_ci_u32_e32 v4, vcc_lo, s5, v4, vcc_lo
	global_load_b64 v[3:4], v[3:4], off
	s_waitcnt vmcnt(0)
	v_sub_co_u32 v3, vcc_lo, v3, s23
	v_subrev_co_ci_u32_e32 v4, vcc_lo, 0, v4, vcc_lo
.LBB104_6:
	s_or_b32 exec_lo, exec_lo, s3
	v_cmp_lt_i64_e64 s3, s[10:11], 1
	s_delay_alu instid0(VALU_DEP_1)
	s_and_b32 vcc_lo, exec_lo, s3
	s_cbranch_vccnz .LBB104_39
; %bb.7:
	s_clause 0x1
	s_load_b64 s[4:5], s[0:1], 0x58
	s_load_b64 s[14:15], s[0:1], 0x68
	v_mad_u64_u32 v[9:10], null, v6, s12, 0
	v_lshlrev_b32_e32 v8, 3, v6
	v_mbcnt_lo_u32_b32 v12, -1, 0
	s_clause 0x2
	s_load_b64 s[16:17], s[0:1], 0x48
	s_load_b64 s[18:19], s[0:1], 0x38
	s_load_b32 s0, s[0:1], 0x0
	v_mov_b32_e32 v5, 0
	s_mul_i32 s3, s12, s13
	s_mul_hi_u32 s6, s12, s12
	v_mov_b32_e32 v7, v10
	v_xor_b32_e32 v13, 1, v12
	v_lshl_or_b32 v43, v12, 2, 4
	s_add_i32 s6, s6, s3
	s_mov_b32 s20, 0
	v_mad_u64_u32 v[10:11], null, v6, s13, v[7:8]
	v_cmp_gt_i32_e32 vcc_lo, 32, v13
	v_and_b32_e32 v7, 1, v0
	s_add_i32 s9, s6, s3
	s_waitcnt lgkmcnt(0)
	v_add_co_u32 v40, s1, s4, v8
	v_lshlrev_b32_e32 v8, 8, v39
	v_lshlrev_b64 v[9:10], 3, v[9:10]
	v_dual_cndmask_b32 v11, v12, v13 :: v_dual_mov_b32 v16, v5
	v_add_co_ci_u32_e64 v41, null, s5, 0, s1
	s_delay_alu instid0(VALU_DEP_4) | instskip(SKIP_4) | instid1(VALU_DEP_4)
	v_lshl_or_b32 v0, v6, 4, v8
	v_xor_b32_e32 v6, 16, v12
	v_add_co_u32 v44, vcc_lo, s4, v9
	v_add_co_ci_u32_e32 v45, vcc_lo, s5, v10, vcc_lo
	v_xor_b32_e32 v9, 8, v12
	v_cmp_gt_i32_e32 vcc_lo, 32, v6
	v_xor_b32_e32 v10, 4, v12
	v_mov_b32_e32 v8, v5
	s_cmp_eq_u32 s0, 0
	s_mul_i32 s24, s12, s12
	v_cndmask_b32_e32 v6, v12, v6, vcc_lo
	v_cmp_gt_i32_e32 vcc_lo, 32, v9
	v_lshlrev_b32_e32 v42, 2, v11
	v_xor_b32_e32 v11, 2, v12
	v_or_b32_e32 v15, 6, v7
	v_mul_lo_u32 v22, v7, s13
	v_cndmask_b32_e32 v9, v12, v9, vcc_lo
	v_cmp_gt_i32_e32 vcc_lo, 32, v10
	v_mul_lo_u32 v21, v7, s12
	v_mad_u64_u32 v[19:20], null, v15, s12, 0
	s_delay_alu instid0(VALU_DEP_4)
	v_dual_cndmask_b32 v10, v12, v10 :: v_dual_lshlrev_b32 v47, 2, v9
	v_cmp_gt_i32_e32 vcc_lo, 32, v11
	v_or_b32_e32 v9, 2, v7
	v_lshlrev_b32_e32 v46, 2, v6
	v_or_b32_e32 v6, v0, v7
	v_dual_cndmask_b32 v11, v12, v11 :: v_dual_lshlrev_b32 v48, 2, v10
	s_delay_alu instid0(VALU_DEP_4) | instskip(NEXT) | instid1(VALU_DEP_3)
	v_mad_u64_u32 v[13:14], null, v9, s12, 0
	v_lshlrev_b32_e32 v51, 3, v6
	v_cmp_gt_u64_e32 vcc_lo, s[12:13], v[7:8]
	s_delay_alu instid0(VALU_DEP_4)
	v_dual_mov_b32 v50, 0x7c :: v_dual_lshlrev_b32 v49, 2, v11
	v_or_b32_e32 v11, 4, v7
	v_mov_b32_e32 v10, v5
	v_mov_b32_e32 v6, v14
	v_cmp_gt_u64_e64 s4, s[12:13], v[15:16]
	s_cselect_b32 s0, -1, 0
	v_mad_u64_u32 v[17:18], null, v11, s12, 0
	s_delay_alu instid0(VALU_DEP_3)
	v_mad_u64_u32 v[26:27], null, v9, s13, v[6:7]
	v_mov_b32_e32 v6, v20
	v_cmp_gt_u64_e64 s1, s[12:13], v[9:10]
	v_or_b32_e32 v10, 10, v7
	s_and_b32 s25, s2, vcc_lo
	v_mov_b32_e32 v8, v18
	s_and_b32 s28, s2, s4
	v_mov_b32_e32 v14, v26
	v_mad_u64_u32 v[30:31], null, v10, s12, 0
	s_delay_alu instid0(VALU_DEP_3)
	v_mad_u64_u32 v[27:28], null, v11, s13, v[8:9]
	v_mad_u64_u32 v[28:29], null, v15, s13, v[6:7]
	v_or_b32_e32 v8, 8, v7
	v_or_b32_e32 v15, 12, v7
	v_mov_b32_e32 v9, v5
	v_dual_mov_b32 v29, v5 :: v_dual_mov_b32 v18, v27
	s_delay_alu instid0(VALU_DEP_4)
	v_mad_u64_u32 v[26:27], null, v8, s12, 0
	v_mov_b32_e32 v20, v28
	v_or_b32_e32 v28, 14, v7
	v_mad_u64_u32 v[32:33], null, v15, s12, 0
	v_cmp_gt_u64_e64 s5, s[12:13], v[8:9]
	v_mov_b32_e32 v9, v31
	s_delay_alu instid0(VALU_DEP_4)
	v_mad_u64_u32 v[34:35], null, v28, s12, 0
	v_mov_b32_e32 v6, v27
	v_cmp_gt_u64_e64 s8, s[12:13], v[28:29]
	s_and_b32 s26, s2, s1
	s_and_b32 s29, s2, s5
	s_mov_b32 s21, s20
	v_mad_u64_u32 v[36:37], null, v8, s13, v[6:7]
	v_mov_b32_e32 v6, v33
	v_mov_b32_e32 v8, v35
	v_mad_u64_u32 v[37:38], null, v10, s13, v[9:10]
	v_mov_b32_e32 v12, v5
	s_delay_alu instid0(VALU_DEP_4) | instskip(SKIP_2) | instid1(VALU_DEP_4)
	v_mad_u64_u32 v[52:53], null, v15, s13, v[6:7]
	v_mov_b32_e32 v27, v36
	v_mad_u64_u32 v[53:54], null, v28, s13, v[8:9]
	v_cmp_gt_u64_e64 s3, s[12:13], v[11:12]
	v_mov_b32_e32 v11, v5
	v_mov_b32_e32 v31, v37
	;; [unrolled: 1-line block ×3, first 2 shown]
	v_cmp_gt_u64_e64 s7, s[12:13], v[15:16]
	v_dual_mov_b32 v28, 0 :: v_dual_mov_b32 v35, v53
	v_cmp_gt_u64_e64 s6, s[12:13], v[10:11]
	v_mov_b32_e32 v29, 0
	v_lshlrev_b64 v[8:9], 3, v[21:22]
	v_lshlrev_b64 v[10:11], 3, v[13:14]
	;; [unrolled: 1-line block ×8, first 2 shown]
	v_mov_b32_e32 v52, 1
	s_and_b32 s27, s2, s3
	s_and_b32 s6, s2, s6
	;; [unrolled: 1-line block ×4, first 2 shown]
	s_ashr_i32 s2, s13, 31
	s_sub_i32 s30, 0, s12
	s_mov_b32 s31, s20
	s_branch .LBB104_10
.LBB104_8:                              ;   in Loop: Header=BB104_10 Depth=1
	s_or_b32 exec_lo, exec_lo, s3
	v_mov_b32_e32 v30, 1
	v_mov_b32_e32 v31, 0
.LBB104_9:                              ;   in Loop: Header=BB104_10 Depth=1
	s_or_b32 exec_lo, exec_lo, s1
	ds_bpermute_b32 v28, v46, v26
	ds_bpermute_b32 v29, v46, v27
	v_add_co_u32 v3, s1, v30, v3
	s_delay_alu instid0(VALU_DEP_1)
	v_add_co_ci_u32_e64 v4, s1, v31, v4, s1
	s_waitcnt lgkmcnt(0)
	s_waitcnt_vscnt null, 0x0
	buffer_gl0_inv
	buffer_gl0_inv
	v_cmp_lt_i64_e32 vcc_lo, v[28:29], v[26:27]
	v_dual_cndmask_b32 v27, v27, v29 :: v_dual_cndmask_b32 v26, v26, v28
	ds_bpermute_b32 v29, v47, v27
	ds_bpermute_b32 v28, v47, v26
	s_waitcnt lgkmcnt(0)
	v_cmp_lt_i64_e32 vcc_lo, v[28:29], v[26:27]
	v_dual_cndmask_b32 v27, v27, v29 :: v_dual_cndmask_b32 v26, v26, v28
	ds_bpermute_b32 v29, v48, v27
	ds_bpermute_b32 v28, v48, v26
	s_waitcnt lgkmcnt(0)
	v_cmp_lt_i64_e32 vcc_lo, v[28:29], v[26:27]
	v_dual_cndmask_b32 v27, v27, v29 :: v_dual_cndmask_b32 v26, v26, v28
	ds_bpermute_b32 v29, v49, v27
	ds_bpermute_b32 v28, v49, v26
	s_waitcnt lgkmcnt(0)
	v_cmp_lt_i64_e32 vcc_lo, v[28:29], v[26:27]
	v_dual_cndmask_b32 v27, v27, v29 :: v_dual_cndmask_b32 v26, v26, v28
	ds_bpermute_b32 v29, v42, v27
	ds_bpermute_b32 v28, v42, v26
	s_waitcnt lgkmcnt(0)
	v_cmp_lt_i64_e32 vcc_lo, v[28:29], v[26:27]
	v_cndmask_b32_e32 v6, v27, v29, vcc_lo
	v_cndmask_b32_e32 v26, v26, v28, vcc_lo
	ds_bpermute_b32 v29, v50, v6
	ds_bpermute_b32 v28, v50, v26
	s_waitcnt lgkmcnt(0)
	v_cmp_le_i64_e32 vcc_lo, s[10:11], v[28:29]
	s_or_b32 s31, vcc_lo, s31
	s_delay_alu instid0(SALU_CYCLE_1)
	s_and_not1_b32 exec_lo, exec_lo, s31
	s_cbranch_execz .LBB104_39
.LBB104_10:                             ; =>This Loop Header: Depth=1
                                        ;     Child Loop BB104_13 Depth 2
	v_add_co_u32 v24, vcc_lo, v24, v7
	v_dual_mov_b32 v31, s21 :: v_dual_mov_b32 v30, s20
	v_add_co_ci_u32_e32 v25, vcc_lo, 0, v25, vcc_lo
	v_dual_mov_b32 v27, s11 :: v_dual_mov_b32 v26, s10
	v_dual_mov_b32 v38, v2 :: v_dual_mov_b32 v37, v1
	s_mov_b32 s33, exec_lo
	ds_store_b8 v39, v5 offset:16384
	ds_store_2addr_b64 v51, v[30:31], v[30:31] offset1:2
	ds_store_2addr_b64 v51, v[30:31], v[30:31] offset0:4 offset1:6
	ds_store_2addr_b64 v51, v[30:31], v[30:31] offset0:8 offset1:10
	;; [unrolled: 1-line block ×3, first 2 shown]
	s_waitcnt lgkmcnt(0)
	buffer_gl0_inv
	v_cmpx_lt_i64_e64 v[24:25], v[1:2]
	s_cbranch_execz .LBB104_22
; %bb.11:                               ;   in Loop: Header=BB104_10 Depth=1
	v_lshlrev_b64 v[26:27], 3, v[24:25]
	v_mad_u64_u32 v[30:31], null, v28, s12, 0
	v_dual_mov_b32 v36, v2 :: v_dual_mov_b32 v35, v1
	s_mov_b32 s34, 0
	s_delay_alu instid0(VALU_DEP_3) | instskip(NEXT) | instid1(VALU_DEP_4)
	v_add_co_u32 v31, vcc_lo, s18, v26
	v_add_co_ci_u32_e32 v32, vcc_lo, s19, v27, vcc_lo
	v_add_co_u32 v33, vcc_lo, s16, v26
	v_add_co_ci_u32_e32 v34, vcc_lo, s17, v27, vcc_lo
	v_dual_mov_b32 v27, s11 :: v_dual_mov_b32 v26, s10
	s_branch .LBB104_13
.LBB104_12:                             ;   in Loop: Header=BB104_13 Depth=2
	s_or_b32 exec_lo, exec_lo, s1
	v_add_co_u32 v24, s1, v24, 2
	s_delay_alu instid0(VALU_DEP_1) | instskip(SKIP_2) | instid1(VALU_DEP_2)
	v_add_co_ci_u32_e64 v25, s1, 0, v25, s1
	s_xor_b32 s3, vcc_lo, -1
	v_add_co_u32 v31, vcc_lo, v31, 16
	v_cmp_ge_i64_e64 s1, v[24:25], v[1:2]
	v_add_co_ci_u32_e32 v32, vcc_lo, 0, v32, vcc_lo
	v_add_co_u32 v33, vcc_lo, v33, 16
	v_add_co_ci_u32_e32 v34, vcc_lo, 0, v34, vcc_lo
	s_delay_alu instid0(VALU_DEP_4) | instskip(SKIP_2) | instid1(SALU_CYCLE_1)
	s_or_b32 s1, s3, s1
	v_dual_mov_b32 v35, v37 :: v_dual_mov_b32 v36, v38
	s_and_b32 s1, exec_lo, s1
	s_or_b32 s34, s1, s34
	s_delay_alu instid0(SALU_CYCLE_1)
	s_and_not1_b32 exec_lo, exec_lo, s34
	s_cbranch_execz .LBB104_21
.LBB104_13:                             ;   Parent Loop BB104_10 Depth=1
                                        ; =>  This Inner Loop Header: Depth=2
	global_load_b64 v[37:38], v[33:34], off
	s_mov_b32 s1, exec_lo
	s_waitcnt vmcnt(0)
	v_sub_co_u32 v53, vcc_lo, v37, s22
	v_subrev_co_ci_u32_e32 v54, vcc_lo, 0, v38, vcc_lo
                                        ; implicit-def: $vgpr37_vgpr38
	s_delay_alu instid0(VALU_DEP_1) | instskip(NEXT) | instid1(VALU_DEP_1)
	v_or_b32_e32 v6, s13, v54
	v_cmpx_ne_u64_e32 0, v[5:6]
	s_xor_b32 s35, exec_lo, s1
	s_cbranch_execz .LBB104_15
; %bb.14:                               ;   in Loop: Header=BB104_13 Depth=2
	s_add_u32 s4, s12, s2
	s_mov_b32 s3, s2
	s_addc_u32 s5, s13, s2
	s_delay_alu instid0(SALU_CYCLE_1) | instskip(NEXT) | instid1(SALU_CYCLE_1)
	s_xor_b64 s[4:5], s[4:5], s[2:3]
	v_cvt_f32_u32_e32 v6, s4
	v_cvt_f32_u32_e32 v37, s5
	s_sub_u32 s1, 0, s4
	s_subb_u32 s3, 0, s5
	s_delay_alu instid0(VALU_DEP_1) | instskip(NEXT) | instid1(VALU_DEP_1)
	v_fmac_f32_e32 v6, 0x4f800000, v37
	v_rcp_f32_e32 v6, v6
	s_waitcnt_depctr 0xfff
	v_mul_f32_e32 v6, 0x5f7ffffc, v6
	s_delay_alu instid0(VALU_DEP_1) | instskip(NEXT) | instid1(VALU_DEP_1)
	v_mul_f32_e32 v37, 0x2f800000, v6
	v_trunc_f32_e32 v37, v37
	s_delay_alu instid0(VALU_DEP_1) | instskip(SKIP_1) | instid1(VALU_DEP_2)
	v_fmac_f32_e32 v6, 0xcf800000, v37
	v_cvt_u32_f32_e32 v37, v37
	v_cvt_u32_f32_e32 v6, v6
	s_delay_alu instid0(VALU_DEP_2) | instskip(NEXT) | instid1(VALU_DEP_2)
	v_mul_lo_u32 v38, s1, v37
	v_mul_hi_u32 v55, s1, v6
	v_mul_lo_u32 v56, s3, v6
	s_delay_alu instid0(VALU_DEP_2) | instskip(SKIP_1) | instid1(VALU_DEP_2)
	v_add_nc_u32_e32 v38, v55, v38
	v_mul_lo_u32 v55, s1, v6
	v_add_nc_u32_e32 v38, v38, v56
	s_delay_alu instid0(VALU_DEP_2) | instskip(NEXT) | instid1(VALU_DEP_2)
	v_mul_hi_u32 v56, v6, v55
	v_mul_lo_u32 v57, v6, v38
	v_mul_hi_u32 v58, v6, v38
	v_mul_hi_u32 v59, v37, v55
	v_mul_lo_u32 v55, v37, v55
	v_mul_hi_u32 v60, v37, v38
	v_mul_lo_u32 v38, v37, v38
	v_add_co_u32 v56, vcc_lo, v56, v57
	v_add_co_ci_u32_e32 v57, vcc_lo, 0, v58, vcc_lo
	s_delay_alu instid0(VALU_DEP_2) | instskip(NEXT) | instid1(VALU_DEP_2)
	v_add_co_u32 v55, vcc_lo, v56, v55
	v_add_co_ci_u32_e32 v55, vcc_lo, v57, v59, vcc_lo
	v_add_co_ci_u32_e32 v56, vcc_lo, 0, v60, vcc_lo
	v_ashrrev_i32_e32 v59, 31, v54
	s_delay_alu instid0(VALU_DEP_3) | instskip(NEXT) | instid1(VALU_DEP_3)
	v_add_co_u32 v38, vcc_lo, v55, v38
	v_add_co_ci_u32_e32 v55, vcc_lo, 0, v56, vcc_lo
	s_delay_alu instid0(VALU_DEP_2) | instskip(NEXT) | instid1(VALU_DEP_2)
	v_add_co_u32 v6, vcc_lo, v6, v38
	v_add_co_ci_u32_e32 v37, vcc_lo, v37, v55, vcc_lo
	s_delay_alu instid0(VALU_DEP_2) | instskip(SKIP_1) | instid1(VALU_DEP_3)
	v_mul_hi_u32 v38, s1, v6
	v_mul_lo_u32 v56, s3, v6
	v_mul_lo_u32 v55, s1, v37
	s_delay_alu instid0(VALU_DEP_1) | instskip(SKIP_1) | instid1(VALU_DEP_2)
	v_add_nc_u32_e32 v38, v38, v55
	v_mul_lo_u32 v55, s1, v6
	v_add_nc_u32_e32 v38, v38, v56
	s_delay_alu instid0(VALU_DEP_2) | instskip(NEXT) | instid1(VALU_DEP_2)
	v_mul_hi_u32 v56, v6, v55
	v_mul_lo_u32 v57, v6, v38
	v_mul_hi_u32 v58, v6, v38
	v_mul_hi_u32 v60, v37, v55
	v_mul_lo_u32 v55, v37, v55
	v_mul_hi_u32 v61, v37, v38
	v_mul_lo_u32 v38, v37, v38
	v_add_co_u32 v56, vcc_lo, v56, v57
	v_add_co_ci_u32_e32 v57, vcc_lo, 0, v58, vcc_lo
	s_delay_alu instid0(VALU_DEP_2) | instskip(NEXT) | instid1(VALU_DEP_2)
	v_add_co_u32 v55, vcc_lo, v56, v55
	v_add_co_ci_u32_e32 v55, vcc_lo, v57, v60, vcc_lo
	v_add_co_ci_u32_e32 v56, vcc_lo, 0, v61, vcc_lo
	v_add_co_u32 v57, vcc_lo, v53, v59
	v_add_co_ci_u32_e32 v54, vcc_lo, v54, v59, vcc_lo
	s_delay_alu instid0(VALU_DEP_4) | instskip(NEXT) | instid1(VALU_DEP_4)
	v_add_co_u32 v38, vcc_lo, v55, v38
	v_add_co_ci_u32_e32 v55, vcc_lo, 0, v56, vcc_lo
	s_delay_alu instid0(VALU_DEP_4) | instskip(NEXT) | instid1(VALU_DEP_3)
	v_xor_b32_e32 v58, v57, v59
	v_add_co_u32 v6, vcc_lo, v6, v38
	s_delay_alu instid0(VALU_DEP_3) | instskip(SKIP_1) | instid1(VALU_DEP_3)
	v_add_co_ci_u32_e32 v60, vcc_lo, v37, v55, vcc_lo
	v_xor_b32_e32 v61, v54, v59
	v_mul_hi_u32 v62, v58, v6
	s_delay_alu instid0(VALU_DEP_3) | instskip(NEXT) | instid1(VALU_DEP_3)
	v_mad_u64_u32 v[37:38], null, v58, v60, 0
	v_mad_u64_u32 v[54:55], null, v61, v6, 0
	;; [unrolled: 1-line block ×3, first 2 shown]
	s_delay_alu instid0(VALU_DEP_3) | instskip(NEXT) | instid1(VALU_DEP_4)
	v_add_co_u32 v6, vcc_lo, v62, v37
	v_add_co_ci_u32_e32 v37, vcc_lo, 0, v38, vcc_lo
	s_delay_alu instid0(VALU_DEP_2) | instskip(NEXT) | instid1(VALU_DEP_2)
	v_add_co_u32 v6, vcc_lo, v6, v54
	v_add_co_ci_u32_e32 v6, vcc_lo, v37, v55, vcc_lo
	v_add_co_ci_u32_e32 v37, vcc_lo, 0, v57, vcc_lo
	s_delay_alu instid0(VALU_DEP_2) | instskip(NEXT) | instid1(VALU_DEP_2)
	v_add_co_u32 v6, vcc_lo, v6, v56
	v_add_co_ci_u32_e32 v54, vcc_lo, 0, v37, vcc_lo
	s_delay_alu instid0(VALU_DEP_2) | instskip(SKIP_1) | instid1(VALU_DEP_3)
	v_mul_lo_u32 v55, s5, v6
	v_mad_u64_u32 v[37:38], null, s4, v6, 0
	v_mul_lo_u32 v56, s4, v54
	s_delay_alu instid0(VALU_DEP_2) | instskip(NEXT) | instid1(VALU_DEP_2)
	v_sub_co_u32 v37, vcc_lo, v58, v37
	v_add3_u32 v38, v38, v56, v55
	s_delay_alu instid0(VALU_DEP_1) | instskip(NEXT) | instid1(VALU_DEP_1)
	v_sub_nc_u32_e32 v55, v61, v38
	v_subrev_co_ci_u32_e64 v55, s1, s5, v55, vcc_lo
	v_add_co_u32 v56, s1, v6, 2
	s_delay_alu instid0(VALU_DEP_1) | instskip(SKIP_3) | instid1(VALU_DEP_3)
	v_add_co_ci_u32_e64 v57, s1, 0, v54, s1
	v_sub_co_u32 v58, s1, v37, s4
	v_sub_co_ci_u32_e32 v38, vcc_lo, v61, v38, vcc_lo
	v_subrev_co_ci_u32_e64 v55, s1, 0, v55, s1
	v_cmp_le_u32_e32 vcc_lo, s4, v58
	s_delay_alu instid0(VALU_DEP_3) | instskip(SKIP_1) | instid1(VALU_DEP_4)
	v_cmp_eq_u32_e64 s1, s5, v38
	v_cndmask_b32_e64 v58, 0, -1, vcc_lo
	v_cmp_le_u32_e32 vcc_lo, s5, v55
	v_cndmask_b32_e64 v60, 0, -1, vcc_lo
	v_cmp_le_u32_e32 vcc_lo, s4, v37
	v_cndmask_b32_e64 v37, 0, -1, vcc_lo
	v_cmp_le_u32_e32 vcc_lo, s5, v38
	v_cndmask_b32_e64 v61, 0, -1, vcc_lo
	v_cmp_eq_u32_e32 vcc_lo, s5, v55
	s_delay_alu instid0(VALU_DEP_2) | instskip(SKIP_3) | instid1(VALU_DEP_3)
	v_cndmask_b32_e64 v37, v61, v37, s1
	v_cndmask_b32_e32 v55, v60, v58, vcc_lo
	v_add_co_u32 v58, vcc_lo, v6, 1
	v_add_co_ci_u32_e32 v60, vcc_lo, 0, v54, vcc_lo
	v_cmp_ne_u32_e32 vcc_lo, 0, v55
	s_delay_alu instid0(VALU_DEP_2) | instskip(SKIP_2) | instid1(VALU_DEP_3)
	v_dual_cndmask_b32 v38, v60, v57 :: v_dual_cndmask_b32 v55, v58, v56
	v_cmp_ne_u32_e32 vcc_lo, 0, v37
	v_xor_b32_e32 v56, s2, v59
	v_cndmask_b32_e32 v37, v54, v38, vcc_lo
	s_delay_alu instid0(VALU_DEP_4) | instskip(NEXT) | instid1(VALU_DEP_2)
	v_cndmask_b32_e32 v6, v6, v55, vcc_lo
	v_xor_b32_e32 v38, v37, v56
	s_delay_alu instid0(VALU_DEP_2) | instskip(NEXT) | instid1(VALU_DEP_1)
	v_xor_b32_e32 v6, v6, v56
	v_sub_co_u32 v37, vcc_lo, v6, v56
	s_delay_alu instid0(VALU_DEP_3)
	v_sub_co_ci_u32_e32 v38, vcc_lo, v38, v56, vcc_lo
.LBB104_15:                             ;   in Loop: Header=BB104_13 Depth=2
	s_and_not1_saveexec_b32 s1, s35
	s_cbranch_execz .LBB104_17
; %bb.16:                               ;   in Loop: Header=BB104_13 Depth=2
	v_cvt_f32_u32_e32 v6, s12
	s_delay_alu instid0(VALU_DEP_1) | instskip(SKIP_2) | instid1(VALU_DEP_1)
	v_rcp_iflag_f32_e32 v6, v6
	s_waitcnt_depctr 0xfff
	v_mul_f32_e32 v6, 0x4f7ffffe, v6
	v_cvt_u32_f32_e32 v6, v6
	s_delay_alu instid0(VALU_DEP_1) | instskip(NEXT) | instid1(VALU_DEP_1)
	v_mul_lo_u32 v37, s30, v6
	v_mul_hi_u32 v37, v6, v37
	s_delay_alu instid0(VALU_DEP_1) | instskip(NEXT) | instid1(VALU_DEP_1)
	v_add_nc_u32_e32 v6, v6, v37
	v_mul_hi_u32 v6, v53, v6
	s_delay_alu instid0(VALU_DEP_1) | instskip(SKIP_1) | instid1(VALU_DEP_2)
	v_mul_lo_u32 v37, v6, s12
	v_add_nc_u32_e32 v38, 1, v6
	v_sub_nc_u32_e32 v37, v53, v37
	s_delay_alu instid0(VALU_DEP_1) | instskip(SKIP_1) | instid1(VALU_DEP_2)
	v_subrev_nc_u32_e32 v54, s12, v37
	v_cmp_le_u32_e32 vcc_lo, s12, v37
	v_cndmask_b32_e32 v37, v37, v54, vcc_lo
	v_cndmask_b32_e32 v6, v6, v38, vcc_lo
	s_delay_alu instid0(VALU_DEP_2) | instskip(NEXT) | instid1(VALU_DEP_2)
	v_cmp_le_u32_e32 vcc_lo, s12, v37
	v_add_nc_u32_e32 v38, 1, v6
	s_delay_alu instid0(VALU_DEP_1)
	v_dual_cndmask_b32 v37, v6, v38 :: v_dual_mov_b32 v38, v5
.LBB104_17:                             ;   in Loop: Header=BB104_13 Depth=2
	s_or_b32 exec_lo, exec_lo, s1
	s_delay_alu instid0(VALU_DEP_1)
	v_cmp_eq_u64_e32 vcc_lo, v[37:38], v[28:29]
	s_mov_b32 s3, exec_lo
	v_cmpx_ne_u64_e64 v[37:38], v[28:29]
	s_xor_b32 s3, exec_lo, s3
; %bb.18:                               ;   in Loop: Header=BB104_13 Depth=2
	v_cmp_lt_i64_e64 s1, v[37:38], v[26:27]
                                        ; implicit-def: $vgpr53
                                        ; implicit-def: $vgpr35_vgpr36
	s_delay_alu instid0(VALU_DEP_1)
	v_cndmask_b32_e64 v27, v27, v38, s1
	v_cndmask_b32_e64 v26, v26, v37, s1
; %bb.19:                               ;   in Loop: Header=BB104_13 Depth=2
	s_or_saveexec_b32 s1, s3
	v_dual_mov_b32 v38, v25 :: v_dual_mov_b32 v37, v24
	s_xor_b32 exec_lo, exec_lo, s1
	s_cbranch_execz .LBB104_12
; %bb.20:                               ;   in Loop: Header=BB104_13 Depth=2
	global_load_b64 v[54:55], v[31:32], off
	v_sub_nc_u32_e32 v6, v53, v30
	v_dual_mov_b32 v38, v36 :: v_dual_mov_b32 v37, v35
	s_delay_alu instid0(VALU_DEP_2)
	v_add_lshl_u32 v6, v0, v6, 3
	ds_store_b8 v39, v52 offset:16384
	s_waitcnt vmcnt(0)
	ds_store_b64 v6, v[54:55]
	s_branch .LBB104_12
.LBB104_21:                             ;   in Loop: Header=BB104_10 Depth=1
	s_or_b32 exec_lo, exec_lo, s34
.LBB104_22:                             ;   in Loop: Header=BB104_10 Depth=1
	s_delay_alu instid0(SALU_CYCLE_1)
	s_or_b32 exec_lo, exec_lo, s33
	ds_bpermute_b32 v24, v42, v37
	ds_bpermute_b32 v25, v42, v38
	s_waitcnt lgkmcnt(0)
	buffer_gl0_inv
	ds_load_u8 v6, v39 offset:16384
	v_mov_b32_e32 v30, 0
	s_mov_b32 s1, exec_lo
	v_mov_b32_e32 v31, 0
	v_cmp_lt_i64_e32 vcc_lo, v[24:25], v[37:38]
	s_waitcnt lgkmcnt(0)
	v_dual_cndmask_b32 v25, v38, v25 :: v_dual_and_b32 v6, 1, v6
	v_cndmask_b32_e32 v24, v37, v24, vcc_lo
	ds_bpermute_b32 v25, v43, v25
	ds_bpermute_b32 v24, v43, v24
	v_cmpx_eq_u32_e32 1, v6
	s_cbranch_execz .LBB104_9
; %bb.23:                               ;   in Loop: Header=BB104_10 Depth=1
	v_mul_lo_u32 v6, s9, v3
	v_mul_lo_u32 v34, s24, v4
	v_mad_u64_u32 v[30:31], null, s24, v3, 0
	v_lshlrev_b64 v[32:33], 3, v[3:4]
	s_delay_alu instid0(VALU_DEP_2) | instskip(SKIP_2) | instid1(VALU_DEP_3)
	v_add3_u32 v31, v31, v34, v6
	v_add_co_u32 v34, vcc_lo, v28, s23
	v_add_co_ci_u32_e32 v35, vcc_lo, 0, v29, vcc_lo
	v_lshlrev_b64 v[29:30], 3, v[30:31]
	v_add_co_u32 v32, vcc_lo, s14, v32
	v_add_co_ci_u32_e32 v33, vcc_lo, s15, v33, vcc_lo
	v_lshlrev_b32_e32 v31, 3, v7
	s_delay_alu instid0(VALU_DEP_4)
	v_add_co_u32 v6, vcc_lo, v40, v29
	v_add_co_ci_u32_e32 v28, vcc_lo, v41, v30, vcc_lo
	v_add_co_u32 v29, vcc_lo, v44, v29
	v_add_co_ci_u32_e32 v30, vcc_lo, v45, v30, vcc_lo
	global_store_b64 v[32:33], v[34:35], off
	s_and_saveexec_b32 s3, s25
	s_cbranch_execnz .LBB104_31
; %bb.24:                               ;   in Loop: Header=BB104_10 Depth=1
	s_or_b32 exec_lo, exec_lo, s3
	s_and_saveexec_b32 s3, s26
	s_cbranch_execnz .LBB104_32
.LBB104_25:                             ;   in Loop: Header=BB104_10 Depth=1
	s_or_b32 exec_lo, exec_lo, s3
	s_and_saveexec_b32 s3, s27
	s_cbranch_execnz .LBB104_33
.LBB104_26:                             ;   in Loop: Header=BB104_10 Depth=1
	s_or_b32 exec_lo, exec_lo, s3
	s_and_saveexec_b32 s3, s28
	s_cbranch_execnz .LBB104_34
.LBB104_27:                             ;   in Loop: Header=BB104_10 Depth=1
	s_or_b32 exec_lo, exec_lo, s3
	s_and_saveexec_b32 s3, s29
	s_cbranch_execnz .LBB104_35
.LBB104_28:                             ;   in Loop: Header=BB104_10 Depth=1
	s_or_b32 exec_lo, exec_lo, s3
	s_and_saveexec_b32 s3, s6
	s_cbranch_execnz .LBB104_36
.LBB104_29:                             ;   in Loop: Header=BB104_10 Depth=1
	s_or_b32 exec_lo, exec_lo, s3
	s_and_saveexec_b32 s3, s7
	s_cbranch_execnz .LBB104_37
.LBB104_30:                             ;   in Loop: Header=BB104_10 Depth=1
	s_or_b32 exec_lo, exec_lo, s3
	s_and_saveexec_b32 s3, s8
	s_cbranch_execz .LBB104_8
	s_branch .LBB104_38
.LBB104_31:                             ;   in Loop: Header=BB104_10 Depth=1
	ds_load_b64 v[32:33], v51
	v_add_co_u32 v34, vcc_lo, v6, v8
	v_add_co_ci_u32_e32 v35, vcc_lo, v28, v9, vcc_lo
	v_add_co_u32 v36, vcc_lo, v29, v31
	v_add_co_ci_u32_e32 v37, vcc_lo, 0, v30, vcc_lo
	s_delay_alu instid0(VALU_DEP_2) | instskip(NEXT) | instid1(VALU_DEP_2)
	v_cndmask_b32_e64 v34, v34, v36, s0
	v_cndmask_b32_e64 v35, v35, v37, s0
	s_waitcnt lgkmcnt(0)
	global_store_b64 v[34:35], v[32:33], off
	s_or_b32 exec_lo, exec_lo, s3
	s_and_saveexec_b32 s3, s26
	s_cbranch_execz .LBB104_25
.LBB104_32:                             ;   in Loop: Header=BB104_10 Depth=1
	v_add_co_u32 v34, vcc_lo, v29, v31
	ds_load_b64 v[32:33], v51 offset:16
	v_add_co_ci_u32_e32 v35, vcc_lo, 0, v30, vcc_lo
	v_add_co_u32 v34, vcc_lo, v34, 16
	s_delay_alu instid0(VALU_DEP_2) | instskip(SKIP_2) | instid1(VALU_DEP_2)
	v_add_co_ci_u32_e32 v35, vcc_lo, 0, v35, vcc_lo
	v_add_co_u32 v36, vcc_lo, v6, v10
	v_add_co_ci_u32_e32 v37, vcc_lo, v28, v11, vcc_lo
	v_cndmask_b32_e64 v34, v36, v34, s0
	s_delay_alu instid0(VALU_DEP_2)
	v_cndmask_b32_e64 v35, v37, v35, s0
	s_waitcnt lgkmcnt(0)
	global_store_b64 v[34:35], v[32:33], off
	s_or_b32 exec_lo, exec_lo, s3
	s_and_saveexec_b32 s3, s27
	s_cbranch_execz .LBB104_26
.LBB104_33:                             ;   in Loop: Header=BB104_10 Depth=1
	v_add_co_u32 v34, vcc_lo, v29, v31
	ds_load_b64 v[32:33], v51 offset:32
	v_add_co_ci_u32_e32 v35, vcc_lo, 0, v30, vcc_lo
	v_add_co_u32 v34, vcc_lo, v34, 32
	s_delay_alu instid0(VALU_DEP_2) | instskip(SKIP_2) | instid1(VALU_DEP_2)
	v_add_co_ci_u32_e32 v35, vcc_lo, 0, v35, vcc_lo
	v_add_co_u32 v36, vcc_lo, v6, v12
	v_add_co_ci_u32_e32 v37, vcc_lo, v28, v13, vcc_lo
	v_cndmask_b32_e64 v34, v36, v34, s0
	s_delay_alu instid0(VALU_DEP_2)
	v_cndmask_b32_e64 v35, v37, v35, s0
	s_waitcnt lgkmcnt(0)
	global_store_b64 v[34:35], v[32:33], off
	s_or_b32 exec_lo, exec_lo, s3
	s_and_saveexec_b32 s3, s28
	s_cbranch_execz .LBB104_27
.LBB104_34:                             ;   in Loop: Header=BB104_10 Depth=1
	v_add_co_u32 v34, vcc_lo, v29, v31
	ds_load_b64 v[32:33], v51 offset:48
	v_add_co_ci_u32_e32 v35, vcc_lo, 0, v30, vcc_lo
	v_add_co_u32 v34, vcc_lo, v34, 48
	s_delay_alu instid0(VALU_DEP_2) | instskip(SKIP_2) | instid1(VALU_DEP_2)
	v_add_co_ci_u32_e32 v35, vcc_lo, 0, v35, vcc_lo
	v_add_co_u32 v36, vcc_lo, v6, v14
	v_add_co_ci_u32_e32 v37, vcc_lo, v28, v15, vcc_lo
	v_cndmask_b32_e64 v34, v36, v34, s0
	s_delay_alu instid0(VALU_DEP_2)
	v_cndmask_b32_e64 v35, v37, v35, s0
	s_waitcnt lgkmcnt(0)
	global_store_b64 v[34:35], v[32:33], off
	s_or_b32 exec_lo, exec_lo, s3
	s_and_saveexec_b32 s3, s29
	s_cbranch_execz .LBB104_28
.LBB104_35:                             ;   in Loop: Header=BB104_10 Depth=1
	v_add_co_u32 v34, vcc_lo, v29, v31
	ds_load_b64 v[32:33], v51 offset:64
	v_add_co_ci_u32_e32 v35, vcc_lo, 0, v30, vcc_lo
	v_add_co_u32 v34, vcc_lo, v34, 64
	s_delay_alu instid0(VALU_DEP_2) | instskip(SKIP_2) | instid1(VALU_DEP_2)
	v_add_co_ci_u32_e32 v35, vcc_lo, 0, v35, vcc_lo
	v_add_co_u32 v36, vcc_lo, v6, v16
	v_add_co_ci_u32_e32 v37, vcc_lo, v28, v17, vcc_lo
	v_cndmask_b32_e64 v34, v36, v34, s0
	s_delay_alu instid0(VALU_DEP_2)
	v_cndmask_b32_e64 v35, v37, v35, s0
	s_waitcnt lgkmcnt(0)
	global_store_b64 v[34:35], v[32:33], off
	s_or_b32 exec_lo, exec_lo, s3
	s_and_saveexec_b32 s3, s6
	s_cbranch_execz .LBB104_29
.LBB104_36:                             ;   in Loop: Header=BB104_10 Depth=1
	v_add_co_u32 v34, vcc_lo, v29, v31
	ds_load_b64 v[32:33], v51 offset:80
	v_add_co_ci_u32_e32 v35, vcc_lo, 0, v30, vcc_lo
	v_add_co_u32 v34, vcc_lo, 0x50, v34
	s_delay_alu instid0(VALU_DEP_2) | instskip(SKIP_2) | instid1(VALU_DEP_2)
	v_add_co_ci_u32_e32 v35, vcc_lo, 0, v35, vcc_lo
	v_add_co_u32 v36, vcc_lo, v6, v18
	v_add_co_ci_u32_e32 v37, vcc_lo, v28, v19, vcc_lo
	v_cndmask_b32_e64 v34, v36, v34, s0
	s_delay_alu instid0(VALU_DEP_2)
	v_cndmask_b32_e64 v35, v37, v35, s0
	s_waitcnt lgkmcnt(0)
	global_store_b64 v[34:35], v[32:33], off
	s_or_b32 exec_lo, exec_lo, s3
	s_and_saveexec_b32 s3, s7
	s_cbranch_execz .LBB104_30
.LBB104_37:                             ;   in Loop: Header=BB104_10 Depth=1
	v_add_co_u32 v34, vcc_lo, v29, v31
	ds_load_b64 v[32:33], v51 offset:96
	v_add_co_ci_u32_e32 v35, vcc_lo, 0, v30, vcc_lo
	v_add_co_u32 v34, vcc_lo, 0x60, v34
	s_delay_alu instid0(VALU_DEP_2) | instskip(SKIP_2) | instid1(VALU_DEP_2)
	v_add_co_ci_u32_e32 v35, vcc_lo, 0, v35, vcc_lo
	v_add_co_u32 v36, vcc_lo, v6, v20
	v_add_co_ci_u32_e32 v37, vcc_lo, v28, v21, vcc_lo
	v_cndmask_b32_e64 v34, v36, v34, s0
	s_delay_alu instid0(VALU_DEP_2)
	v_cndmask_b32_e64 v35, v37, v35, s0
	s_waitcnt lgkmcnt(0)
	global_store_b64 v[34:35], v[32:33], off
	s_or_b32 exec_lo, exec_lo, s3
	s_and_saveexec_b32 s3, s8
	s_cbranch_execz .LBB104_8
.LBB104_38:                             ;   in Loop: Header=BB104_10 Depth=1
	v_add_co_u32 v31, vcc_lo, v29, v31
	v_add_co_ci_u32_e32 v32, vcc_lo, 0, v30, vcc_lo
	ds_load_b64 v[29:30], v51 offset:112
	v_add_co_u32 v31, vcc_lo, 0x70, v31
	v_add_co_ci_u32_e32 v32, vcc_lo, 0, v32, vcc_lo
	v_add_co_u32 v6, vcc_lo, v6, v22
	v_add_co_ci_u32_e32 v28, vcc_lo, v28, v23, vcc_lo
	s_delay_alu instid0(VALU_DEP_2) | instskip(NEXT) | instid1(VALU_DEP_2)
	v_cndmask_b32_e64 v31, v6, v31, s0
	v_cndmask_b32_e64 v32, v28, v32, s0
	s_waitcnt lgkmcnt(0)
	global_store_b64 v[31:32], v[29:30], off
	s_branch .LBB104_8
.LBB104_39:
	s_endpgm
	.section	.rodata,"a",@progbits
	.p2align	6, 0x0
	.amdhsa_kernel _ZN9rocsparseL42csr2bsr_wavefront_per_row_multipass_kernelILj256ELj32ELj16E21rocsparse_complex_numIfEllEEv20rocsparse_direction_T4_S4_S4_S4_S4_21rocsparse_index_base_PKT2_PKT3_PKS4_S5_PS6_PS9_PS4_
		.amdhsa_group_segment_fixed_size 16392
		.amdhsa_private_segment_fixed_size 0
		.amdhsa_kernarg_size 112
		.amdhsa_user_sgpr_count 15
		.amdhsa_user_sgpr_dispatch_ptr 0
		.amdhsa_user_sgpr_queue_ptr 0
		.amdhsa_user_sgpr_kernarg_segment_ptr 1
		.amdhsa_user_sgpr_dispatch_id 0
		.amdhsa_user_sgpr_private_segment_size 0
		.amdhsa_wavefront_size32 1
		.amdhsa_uses_dynamic_stack 0
		.amdhsa_enable_private_segment 0
		.amdhsa_system_sgpr_workgroup_id_x 1
		.amdhsa_system_sgpr_workgroup_id_y 0
		.amdhsa_system_sgpr_workgroup_id_z 0
		.amdhsa_system_sgpr_workgroup_info 0
		.amdhsa_system_vgpr_workitem_id 0
		.amdhsa_next_free_vgpr 63
		.amdhsa_next_free_sgpr 36
		.amdhsa_reserve_vcc 1
		.amdhsa_float_round_mode_32 0
		.amdhsa_float_round_mode_16_64 0
		.amdhsa_float_denorm_mode_32 3
		.amdhsa_float_denorm_mode_16_64 3
		.amdhsa_dx10_clamp 1
		.amdhsa_ieee_mode 1
		.amdhsa_fp16_overflow 0
		.amdhsa_workgroup_processor_mode 1
		.amdhsa_memory_ordered 1
		.amdhsa_forward_progress 0
		.amdhsa_shared_vgpr_count 0
		.amdhsa_exception_fp_ieee_invalid_op 0
		.amdhsa_exception_fp_denorm_src 0
		.amdhsa_exception_fp_ieee_div_zero 0
		.amdhsa_exception_fp_ieee_overflow 0
		.amdhsa_exception_fp_ieee_underflow 0
		.amdhsa_exception_fp_ieee_inexact 0
		.amdhsa_exception_int_div_zero 0
	.end_amdhsa_kernel
	.section	.text._ZN9rocsparseL42csr2bsr_wavefront_per_row_multipass_kernelILj256ELj32ELj16E21rocsparse_complex_numIfEllEEv20rocsparse_direction_T4_S4_S4_S4_S4_21rocsparse_index_base_PKT2_PKT3_PKS4_S5_PS6_PS9_PS4_,"axG",@progbits,_ZN9rocsparseL42csr2bsr_wavefront_per_row_multipass_kernelILj256ELj32ELj16E21rocsparse_complex_numIfEllEEv20rocsparse_direction_T4_S4_S4_S4_S4_21rocsparse_index_base_PKT2_PKT3_PKS4_S5_PS6_PS9_PS4_,comdat
.Lfunc_end104:
	.size	_ZN9rocsparseL42csr2bsr_wavefront_per_row_multipass_kernelILj256ELj32ELj16E21rocsparse_complex_numIfEllEEv20rocsparse_direction_T4_S4_S4_S4_S4_21rocsparse_index_base_PKT2_PKT3_PKS4_S5_PS6_PS9_PS4_, .Lfunc_end104-_ZN9rocsparseL42csr2bsr_wavefront_per_row_multipass_kernelILj256ELj32ELj16E21rocsparse_complex_numIfEllEEv20rocsparse_direction_T4_S4_S4_S4_S4_21rocsparse_index_base_PKT2_PKT3_PKS4_S5_PS6_PS9_PS4_
                                        ; -- End function
	.section	.AMDGPU.csdata,"",@progbits
; Kernel info:
; codeLenInByte = 3848
; NumSgprs: 38
; NumVgprs: 63
; ScratchSize: 0
; MemoryBound: 0
; FloatMode: 240
; IeeeMode: 1
; LDSByteSize: 16392 bytes/workgroup (compile time only)
; SGPRBlocks: 4
; VGPRBlocks: 7
; NumSGPRsForWavesPerEU: 38
; NumVGPRsForWavesPerEU: 63
; Occupancy: 14
; WaveLimiterHint : 0
; COMPUTE_PGM_RSRC2:SCRATCH_EN: 0
; COMPUTE_PGM_RSRC2:USER_SGPR: 15
; COMPUTE_PGM_RSRC2:TRAP_HANDLER: 0
; COMPUTE_PGM_RSRC2:TGID_X_EN: 1
; COMPUTE_PGM_RSRC2:TGID_Y_EN: 0
; COMPUTE_PGM_RSRC2:TGID_Z_EN: 0
; COMPUTE_PGM_RSRC2:TIDIG_COMP_CNT: 0
	.section	.text._ZN9rocsparseL38csr2bsr_block_per_row_multipass_kernelILj256ELj32E21rocsparse_complex_numIfEllEEv20rocsparse_direction_T3_S4_S4_S4_S4_21rocsparse_index_base_PKT1_PKT2_PKS4_S5_PS6_PS9_PS4_,"axG",@progbits,_ZN9rocsparseL38csr2bsr_block_per_row_multipass_kernelILj256ELj32E21rocsparse_complex_numIfEllEEv20rocsparse_direction_T3_S4_S4_S4_S4_21rocsparse_index_base_PKT1_PKT2_PKS4_S5_PS6_PS9_PS4_,comdat
	.globl	_ZN9rocsparseL38csr2bsr_block_per_row_multipass_kernelILj256ELj32E21rocsparse_complex_numIfEllEEv20rocsparse_direction_T3_S4_S4_S4_S4_21rocsparse_index_base_PKT1_PKT2_PKS4_S5_PS6_PS9_PS4_ ; -- Begin function _ZN9rocsparseL38csr2bsr_block_per_row_multipass_kernelILj256ELj32E21rocsparse_complex_numIfEllEEv20rocsparse_direction_T3_S4_S4_S4_S4_21rocsparse_index_base_PKT1_PKT2_PKS4_S5_PS6_PS9_PS4_
	.p2align	8
	.type	_ZN9rocsparseL38csr2bsr_block_per_row_multipass_kernelILj256ELj32E21rocsparse_complex_numIfEllEEv20rocsparse_direction_T3_S4_S4_S4_S4_21rocsparse_index_base_PKT1_PKT2_PKS4_S5_PS6_PS9_PS4_,@function
_ZN9rocsparseL38csr2bsr_block_per_row_multipass_kernelILj256ELj32E21rocsparse_complex_numIfEllEEv20rocsparse_direction_T3_S4_S4_S4_S4_21rocsparse_index_base_PKT1_PKT2_PKS4_S5_PS6_PS9_PS4_: ; @_ZN9rocsparseL38csr2bsr_block_per_row_multipass_kernelILj256ELj32E21rocsparse_complex_numIfEllEEv20rocsparse_direction_T3_S4_S4_S4_S4_21rocsparse_index_base_PKT1_PKT2_PKS4_S5_PS6_PS9_PS4_
; %bb.0:
	s_mov_b32 s2, s15
	s_clause 0x1
	s_load_b128 s[12:15], s[0:1], 0x20
	s_load_b64 s[6:7], s[0:1], 0x8
	v_mov_b32_e32 v5, 0
	v_lshrrev_b32_e32 v4, 3, v0
	v_mov_b32_e32 v1, 0
	v_mov_b32_e32 v2, 0
	s_clause 0x1
	s_load_b32 s28, s[0:1], 0x30
	s_load_b64 s[4:5], s[0:1], 0x40
	s_ashr_i32 s3, s2, 31
	v_dual_mov_b32 v17, v2 :: v_dual_mov_b32 v16, v1
	s_waitcnt lgkmcnt(0)
	v_mad_u64_u32 v[6:7], null, s2, s14, v[4:5]
	s_mul_i32 s8, s2, s15
	s_mul_i32 s9, s3, s14
	s_delay_alu instid0(VALU_DEP_1) | instid1(SALU_CYCLE_1)
	v_add3_u32 v7, s8, s9, v7
	v_cmp_gt_i64_e64 s9, s[14:15], v[4:5]
	s_delay_alu instid0(VALU_DEP_2) | instskip(NEXT) | instid1(VALU_DEP_2)
	v_cmp_gt_i64_e32 vcc_lo, s[6:7], v[6:7]
	s_and_b32 s6, s9, vcc_lo
	s_delay_alu instid0(SALU_CYCLE_1)
	s_and_saveexec_b32 s7, s6
	s_cbranch_execnz .LBB105_3
; %bb.1:
	s_or_b32 exec_lo, exec_lo, s7
	s_and_saveexec_b32 s7, s6
	s_cbranch_execnz .LBB105_4
.LBB105_2:
	s_or_b32 exec_lo, exec_lo, s7
	v_cmp_lt_i64_e64 s4, s[12:13], 1
	s_delay_alu instid0(VALU_DEP_1)
	s_and_b32 vcc_lo, exec_lo, s4
	s_cbranch_vccz .LBB105_5
	s_branch .LBB105_45
.LBB105_3:
	v_lshlrev_b64 v[8:9], 3, v[6:7]
	s_delay_alu instid0(VALU_DEP_1) | instskip(NEXT) | instid1(VALU_DEP_2)
	v_add_co_u32 v8, vcc_lo, s4, v8
	v_add_co_ci_u32_e32 v9, vcc_lo, s5, v9, vcc_lo
	global_load_b64 v[8:9], v[8:9], off
	s_waitcnt vmcnt(0)
	v_sub_co_u32 v16, vcc_lo, v8, s28
	v_subrev_co_ci_u32_e32 v17, vcc_lo, 0, v9, vcc_lo
	s_or_b32 exec_lo, exec_lo, s7
	s_and_saveexec_b32 s7, s6
	s_cbranch_execz .LBB105_2
.LBB105_4:
	v_lshlrev_b64 v[1:2], 3, v[6:7]
	s_delay_alu instid0(VALU_DEP_1) | instskip(NEXT) | instid1(VALU_DEP_2)
	v_add_co_u32 v1, vcc_lo, s4, v1
	v_add_co_ci_u32_e32 v2, vcc_lo, s5, v2, vcc_lo
	global_load_b64 v[1:2], v[1:2], off offset:8
	s_waitcnt vmcnt(0)
	v_sub_co_u32 v1, vcc_lo, v1, s28
	v_subrev_co_ci_u32_e32 v2, vcc_lo, 0, v2, vcc_lo
	s_or_b32 exec_lo, exec_lo, s7
	v_cmp_lt_i64_e64 s4, s[12:13], 1
	s_delay_alu instid0(VALU_DEP_1)
	s_and_b32 vcc_lo, exec_lo, s4
	s_cbranch_vccnz .LBB105_45
.LBB105_5:
	v_mbcnt_lo_u32_b32 v11, -1, 0
	v_mad_u64_u32 v[7:8], null, v4, s14, 0
	v_and_b32_e32 v5, 7, v0
	s_clause 0x2
	s_load_b128 s[4:7], s[0:1], 0x58
	s_load_b64 s[16:17], s[0:1], 0x68
	s_load_b32 s29, s[0:1], 0x50
	v_xor_b32_e32 v9, 4, v11
	v_xor_b32_e32 v12, 2, v11
	;; [unrolled: 1-line block ×3, first 2 shown]
	v_dual_mov_b32 v3, 0 :: v_dual_lshlrev_b32 v10, 3, v4
	v_mov_b32_e32 v6, v8
	v_cmp_gt_i32_e32 vcc_lo, 32, v9
	v_lshlrev_b32_e32 v28, 5, v4
	s_mul_i32 s8, s14, s15
	s_mul_hi_u32 s10, s14, s14
	v_dual_cndmask_b32 v14, v11, v9 :: v_dual_lshlrev_b32 v37, 3, v0
	v_mad_u64_u32 v[8:9], null, v4, s15, v[6:7]
	v_cmp_gt_i32_e32 vcc_lo, 32, v12
	s_clause 0x2
	s_load_b64 s[18:19], s[0:1], 0x48
	s_load_b64 s[20:21], s[0:1], 0x38
	s_load_b32 s11, s[0:1], 0x0
	v_lshlrev_b32_e32 v29, 2, v14
	s_lshl_b64 s[0:1], s[2:3], 3
	s_add_i32 s2, s10, s8
	v_cndmask_b32_e32 v4, v11, v12, vcc_lo
	v_lshlrev_b64 v[7:8], 3, v[7:8]
	v_cmp_gt_i32_e32 vcc_lo, 32, v13
	s_add_i32 s31, s2, s8
	s_waitcnt lgkmcnt(0)
	s_add_u32 s0, s6, s0
	v_lshlrev_b32_e32 v30, 2, v4
	v_lshlrev_b32_e32 v4, 3, v5
	v_cndmask_b32_e32 v9, v11, v13, vcc_lo
	v_add_co_u32 v7, vcc_lo, s4, v7
	v_add_co_ci_u32_e32 v8, vcc_lo, s5, v8, vcc_lo
	v_lshl_or_b32 v34, v11, 2, 28
	v_mov_b32_e32 v11, v3
	s_delay_alu instid0(VALU_DEP_4)
	v_add_co_u32 v35, vcc_lo, v7, v4
	s_addc_u32 s1, s7, s1
	v_dual_mov_b32 v6, v3 :: v_dual_lshlrev_b32 v33, 2, v9
	v_add_co_ci_u32_e32 v36, vcc_lo, 0, v8, vcc_lo
	v_mad_u64_u32 v[8:9], null, v5, s14, 0
	s_load_b64 s[0:1], s[0:1], 0x0
	v_add_co_u32 v31, s2, s4, v10
	v_cmp_gt_i64_e32 vcc_lo, s[14:15], v[5:6]
	v_or_b32_e32 v6, 8, v5
	v_or_b32_e32 v7, v28, v5
	v_mov_b32_e32 v4, v9
	v_add_co_ci_u32_e64 v32, null, s5, 0, s2
	s_delay_alu instid0(VALU_DEP_4) | instskip(NEXT) | instid1(VALU_DEP_3)
	v_mad_u64_u32 v[12:13], null, v6, s14, 0
	v_mad_u64_u32 v[9:10], null, v5, s15, v[4:5]
	v_or_b32_e32 v10, 16, v5
	v_cmp_gt_u32_e64 s2, 64, v0
	v_cmp_gt_u32_e64 s3, 32, v0
	;; [unrolled: 1-line block ×4, first 2 shown]
	v_mad_u64_u32 v[18:19], null, v10, s14, 0
	s_waitcnt lgkmcnt(0)
	s_sub_u32 s22, s0, s29
	s_subb_u32 s23, s1, 0
	v_cmp_gt_u32_e64 s1, 0x80, v0
	v_cmp_gt_u32_e64 s6, 4, v0
	;; [unrolled: 1-line block ×3, first 2 shown]
	v_cmp_eq_u32_e64 s8, 0, v0
	v_dual_mov_b32 v15, v3 :: v_dual_lshlrev_b32 v0, 3, v7
	v_or_b32_e32 v14, 24, v5
	v_mov_b32_e32 v7, v3
	s_cmp_eq_u32 s11, 0
	v_mov_b32_e32 v4, v13
	s_cselect_b32 s0, -1, 0
	s_and_b32 s33, s9, vcc_lo
	v_mad_u64_u32 v[20:21], null, v14, s14, 0
	v_cmp_gt_i64_e32 vcc_lo, s[14:15], v[6:7]
	v_mov_b32_e32 v7, v19
	v_mad_u64_u32 v[22:23], null, v6, s15, v[4:5]
	s_mov_b32 s24, 0
	v_cmp_gt_i64_e64 s10, s[14:15], v[10:11]
	s_delay_alu instid0(VALU_DEP_3) | instskip(SKIP_2) | instid1(VALU_DEP_4)
	v_mad_u64_u32 v[23:24], null, v10, s15, v[7:8]
	v_mov_b32_e32 v4, v21
	s_mov_b32 s25, s24
	v_mov_b32_e32 v13, v22
	s_and_b32 s34, s9, vcc_lo
	v_cmp_gt_i64_e32 vcc_lo, s[14:15], v[14:15]
	v_lshlrev_b64 v[8:9], 3, v[8:9]
	v_mov_b32_e32 v19, v23
	v_mad_u64_u32 v[6:7], null, v14, s15, v[4:5]
	v_lshlrev_b64 v[10:11], 3, v[12:13]
	v_mov_b32_e32 v38, 1
	s_delay_alu instid0(VALU_DEP_4) | instskip(SKIP_3) | instid1(VALU_DEP_4)
	v_lshlrev_b64 v[12:13], 3, v[18:19]
	s_mul_i32 s30, s14, s14
	s_and_b32 s35, s9, s10
	s_and_b32 s36, s9, vcc_lo
	v_dual_mov_b32 v21, v6 :: v_dual_mov_b32 v6, s24
	v_mov_b32_e32 v7, s25
	s_mov_b64 s[24:25], 0
	s_ashr_i32 s10, s15, 31
	s_delay_alu instid0(VALU_DEP_2)
	v_lshlrev_b64 v[14:15], 3, v[20:21]
	s_branch .LBB105_7
.LBB105_6:                              ;   in Loop: Header=BB105_7 Depth=1
	s_or_b32 exec_lo, exec_lo, s9
	s_waitcnt lgkmcnt(0)
	s_barrier
	buffer_gl0_inv
	ds_load_b64 v[18:19], v3
	s_add_u32 s22, s26, s22
	s_addc_u32 s23, s27, s23
	s_waitcnt lgkmcnt(0)
	s_barrier
	buffer_gl0_inv
	v_cmp_gt_i64_e32 vcc_lo, s[12:13], v[18:19]
	v_readfirstlane_b32 s24, v18
	v_readfirstlane_b32 s25, v19
	s_cbranch_vccz .LBB105_45
.LBB105_7:                              ; =>This Loop Header: Depth=1
                                        ;     Child Loop BB105_10 Depth 2
	v_add_co_u32 v16, vcc_lo, v16, v5
	v_add_co_ci_u32_e32 v17, vcc_lo, 0, v17, vcc_lo
	v_dual_mov_b32 v19, s13 :: v_dual_mov_b32 v18, s12
	v_dual_mov_b32 v27, v2 :: v_dual_mov_b32 v26, v1
	s_mov_b32 s37, exec_lo
	ds_store_b8 v3, v3 offset:8192
	ds_store_2addr_b64 v0, v[6:7], v[6:7] offset1:8
	ds_store_2addr_b64 v0, v[6:7], v[6:7] offset0:16 offset1:24
	s_waitcnt lgkmcnt(0)
	s_barrier
	buffer_gl0_inv
	v_cmpx_lt_i64_e64 v[16:17], v[1:2]
	s_cbranch_execz .LBB105_19
; %bb.8:                                ;   in Loop: Header=BB105_7 Depth=1
	v_lshlrev_b64 v[18:19], 3, v[16:17]
	v_dual_mov_b32 v25, v2 :: v_dual_mov_b32 v24, v1
	s_mul_i32 s39, s24, s14
	s_mov_b32 s38, 0
	s_delay_alu instid0(VALU_DEP_2) | instskip(NEXT) | instid1(VALU_DEP_3)
	v_add_co_u32 v20, vcc_lo, s20, v18
	v_add_co_ci_u32_e32 v21, vcc_lo, s21, v19, vcc_lo
	v_add_co_u32 v22, vcc_lo, s18, v18
	v_add_co_ci_u32_e32 v23, vcc_lo, s19, v19, vcc_lo
	v_dual_mov_b32 v19, s13 :: v_dual_mov_b32 v18, s12
	s_branch .LBB105_10
.LBB105_9:                              ;   in Loop: Header=BB105_10 Depth=2
	s_or_b32 exec_lo, exec_lo, s9
	v_add_co_u32 v16, s9, v16, 8
	s_delay_alu instid0(VALU_DEP_1) | instskip(SKIP_2) | instid1(VALU_DEP_2)
	v_add_co_ci_u32_e64 v17, s9, 0, v17, s9
	s_xor_b32 s11, vcc_lo, -1
	v_add_co_u32 v20, vcc_lo, v20, 64
	v_cmp_ge_i64_e64 s9, v[16:17], v[1:2]
	v_add_co_ci_u32_e32 v21, vcc_lo, 0, v21, vcc_lo
	v_add_co_u32 v22, vcc_lo, v22, 64
	v_add_co_ci_u32_e32 v23, vcc_lo, 0, v23, vcc_lo
	s_delay_alu instid0(VALU_DEP_4) | instskip(SKIP_2) | instid1(SALU_CYCLE_1)
	s_or_b32 s9, s11, s9
	v_dual_mov_b32 v24, v26 :: v_dual_mov_b32 v25, v27
	s_and_b32 s9, exec_lo, s9
	s_or_b32 s38, s9, s38
	s_delay_alu instid0(SALU_CYCLE_1)
	s_and_not1_b32 exec_lo, exec_lo, s38
	s_cbranch_execz .LBB105_18
.LBB105_10:                             ;   Parent Loop BB105_7 Depth=1
                                        ; =>  This Inner Loop Header: Depth=2
	global_load_b64 v[26:27], v[22:23], off
	s_mov_b32 s9, exec_lo
	s_waitcnt vmcnt(0)
	v_sub_co_u32 v39, vcc_lo, v26, s28
	v_subrev_co_ci_u32_e32 v40, vcc_lo, 0, v27, vcc_lo
                                        ; implicit-def: $vgpr26_vgpr27
	s_delay_alu instid0(VALU_DEP_1) | instskip(NEXT) | instid1(VALU_DEP_1)
	v_or_b32_e32 v4, s15, v40
	v_cmpx_ne_u64_e32 0, v[3:4]
	s_xor_b32 s40, exec_lo, s9
	s_cbranch_execz .LBB105_12
; %bb.11:                               ;   in Loop: Header=BB105_10 Depth=2
	s_add_u32 s26, s14, s10
	s_mov_b32 s11, s10
	s_addc_u32 s27, s15, s10
	s_delay_alu instid0(SALU_CYCLE_1) | instskip(NEXT) | instid1(SALU_CYCLE_1)
	s_xor_b64 s[26:27], s[26:27], s[10:11]
	v_cvt_f32_u32_e32 v4, s26
	v_cvt_f32_u32_e32 v26, s27
	s_sub_u32 s9, 0, s26
	s_subb_u32 s11, 0, s27
	s_delay_alu instid0(VALU_DEP_1) | instskip(NEXT) | instid1(VALU_DEP_1)
	v_fmac_f32_e32 v4, 0x4f800000, v26
	v_rcp_f32_e32 v4, v4
	s_waitcnt_depctr 0xfff
	v_mul_f32_e32 v4, 0x5f7ffffc, v4
	s_delay_alu instid0(VALU_DEP_1) | instskip(NEXT) | instid1(VALU_DEP_1)
	v_mul_f32_e32 v26, 0x2f800000, v4
	v_trunc_f32_e32 v26, v26
	s_delay_alu instid0(VALU_DEP_1) | instskip(SKIP_1) | instid1(VALU_DEP_2)
	v_fmac_f32_e32 v4, 0xcf800000, v26
	v_cvt_u32_f32_e32 v26, v26
	v_cvt_u32_f32_e32 v4, v4
	s_delay_alu instid0(VALU_DEP_2) | instskip(NEXT) | instid1(VALU_DEP_2)
	v_mul_lo_u32 v27, s9, v26
	v_mul_hi_u32 v41, s9, v4
	v_mul_lo_u32 v42, s11, v4
	s_delay_alu instid0(VALU_DEP_2) | instskip(SKIP_1) | instid1(VALU_DEP_2)
	v_add_nc_u32_e32 v27, v41, v27
	v_mul_lo_u32 v41, s9, v4
	v_add_nc_u32_e32 v27, v27, v42
	s_delay_alu instid0(VALU_DEP_2) | instskip(NEXT) | instid1(VALU_DEP_2)
	v_mul_hi_u32 v42, v4, v41
	v_mul_lo_u32 v43, v4, v27
	v_mul_hi_u32 v44, v4, v27
	v_mul_hi_u32 v45, v26, v41
	v_mul_lo_u32 v41, v26, v41
	v_mul_hi_u32 v46, v26, v27
	v_mul_lo_u32 v27, v26, v27
	v_add_co_u32 v42, vcc_lo, v42, v43
	v_add_co_ci_u32_e32 v43, vcc_lo, 0, v44, vcc_lo
	s_delay_alu instid0(VALU_DEP_2) | instskip(NEXT) | instid1(VALU_DEP_2)
	v_add_co_u32 v41, vcc_lo, v42, v41
	v_add_co_ci_u32_e32 v41, vcc_lo, v43, v45, vcc_lo
	v_add_co_ci_u32_e32 v42, vcc_lo, 0, v46, vcc_lo
	v_ashrrev_i32_e32 v45, 31, v40
	s_delay_alu instid0(VALU_DEP_3) | instskip(NEXT) | instid1(VALU_DEP_3)
	v_add_co_u32 v27, vcc_lo, v41, v27
	v_add_co_ci_u32_e32 v41, vcc_lo, 0, v42, vcc_lo
	s_delay_alu instid0(VALU_DEP_2) | instskip(NEXT) | instid1(VALU_DEP_2)
	v_add_co_u32 v4, vcc_lo, v4, v27
	v_add_co_ci_u32_e32 v26, vcc_lo, v26, v41, vcc_lo
	s_delay_alu instid0(VALU_DEP_2) | instskip(SKIP_1) | instid1(VALU_DEP_3)
	v_mul_hi_u32 v27, s9, v4
	v_mul_lo_u32 v42, s11, v4
	v_mul_lo_u32 v41, s9, v26
	s_delay_alu instid0(VALU_DEP_1) | instskip(SKIP_1) | instid1(VALU_DEP_2)
	v_add_nc_u32_e32 v27, v27, v41
	v_mul_lo_u32 v41, s9, v4
	v_add_nc_u32_e32 v27, v27, v42
	s_delay_alu instid0(VALU_DEP_2) | instskip(NEXT) | instid1(VALU_DEP_2)
	v_mul_hi_u32 v42, v4, v41
	v_mul_lo_u32 v43, v4, v27
	v_mul_hi_u32 v44, v4, v27
	v_mul_hi_u32 v46, v26, v41
	v_mul_lo_u32 v41, v26, v41
	v_mul_hi_u32 v47, v26, v27
	v_mul_lo_u32 v27, v26, v27
	v_add_co_u32 v42, vcc_lo, v42, v43
	v_add_co_ci_u32_e32 v43, vcc_lo, 0, v44, vcc_lo
	s_delay_alu instid0(VALU_DEP_2) | instskip(NEXT) | instid1(VALU_DEP_2)
	v_add_co_u32 v41, vcc_lo, v42, v41
	v_add_co_ci_u32_e32 v41, vcc_lo, v43, v46, vcc_lo
	v_add_co_ci_u32_e32 v42, vcc_lo, 0, v47, vcc_lo
	v_add_co_u32 v43, vcc_lo, v39, v45
	v_add_co_ci_u32_e32 v40, vcc_lo, v40, v45, vcc_lo
	s_delay_alu instid0(VALU_DEP_4) | instskip(NEXT) | instid1(VALU_DEP_4)
	v_add_co_u32 v27, vcc_lo, v41, v27
	v_add_co_ci_u32_e32 v41, vcc_lo, 0, v42, vcc_lo
	s_delay_alu instid0(VALU_DEP_4) | instskip(NEXT) | instid1(VALU_DEP_3)
	v_xor_b32_e32 v44, v43, v45
	v_add_co_u32 v4, vcc_lo, v4, v27
	s_delay_alu instid0(VALU_DEP_3) | instskip(SKIP_1) | instid1(VALU_DEP_3)
	v_add_co_ci_u32_e32 v46, vcc_lo, v26, v41, vcc_lo
	v_xor_b32_e32 v47, v40, v45
	v_mul_hi_u32 v48, v44, v4
	s_delay_alu instid0(VALU_DEP_3) | instskip(NEXT) | instid1(VALU_DEP_3)
	v_mad_u64_u32 v[26:27], null, v44, v46, 0
	v_mad_u64_u32 v[40:41], null, v47, v4, 0
	;; [unrolled: 1-line block ×3, first 2 shown]
	s_delay_alu instid0(VALU_DEP_3) | instskip(NEXT) | instid1(VALU_DEP_4)
	v_add_co_u32 v4, vcc_lo, v48, v26
	v_add_co_ci_u32_e32 v26, vcc_lo, 0, v27, vcc_lo
	s_delay_alu instid0(VALU_DEP_2) | instskip(NEXT) | instid1(VALU_DEP_2)
	v_add_co_u32 v4, vcc_lo, v4, v40
	v_add_co_ci_u32_e32 v4, vcc_lo, v26, v41, vcc_lo
	v_add_co_ci_u32_e32 v26, vcc_lo, 0, v43, vcc_lo
	s_delay_alu instid0(VALU_DEP_2) | instskip(NEXT) | instid1(VALU_DEP_2)
	v_add_co_u32 v4, vcc_lo, v4, v42
	v_add_co_ci_u32_e32 v40, vcc_lo, 0, v26, vcc_lo
	s_delay_alu instid0(VALU_DEP_2) | instskip(SKIP_1) | instid1(VALU_DEP_3)
	v_mul_lo_u32 v41, s27, v4
	v_mad_u64_u32 v[26:27], null, s26, v4, 0
	v_mul_lo_u32 v42, s26, v40
	s_delay_alu instid0(VALU_DEP_2) | instskip(NEXT) | instid1(VALU_DEP_2)
	v_sub_co_u32 v26, vcc_lo, v44, v26
	v_add3_u32 v27, v27, v42, v41
	s_delay_alu instid0(VALU_DEP_1) | instskip(NEXT) | instid1(VALU_DEP_1)
	v_sub_nc_u32_e32 v41, v47, v27
	v_subrev_co_ci_u32_e64 v41, s9, s27, v41, vcc_lo
	v_add_co_u32 v42, s9, v4, 2
	s_delay_alu instid0(VALU_DEP_1) | instskip(SKIP_3) | instid1(VALU_DEP_3)
	v_add_co_ci_u32_e64 v43, s9, 0, v40, s9
	v_sub_co_u32 v44, s9, v26, s26
	v_sub_co_ci_u32_e32 v27, vcc_lo, v47, v27, vcc_lo
	v_subrev_co_ci_u32_e64 v41, s9, 0, v41, s9
	v_cmp_le_u32_e32 vcc_lo, s26, v44
	s_delay_alu instid0(VALU_DEP_3) | instskip(SKIP_1) | instid1(VALU_DEP_4)
	v_cmp_eq_u32_e64 s9, s27, v27
	v_cndmask_b32_e64 v44, 0, -1, vcc_lo
	v_cmp_le_u32_e32 vcc_lo, s27, v41
	v_cndmask_b32_e64 v46, 0, -1, vcc_lo
	v_cmp_le_u32_e32 vcc_lo, s26, v26
	;; [unrolled: 2-line block ×3, first 2 shown]
	v_cndmask_b32_e64 v47, 0, -1, vcc_lo
	v_cmp_eq_u32_e32 vcc_lo, s27, v41
	s_delay_alu instid0(VALU_DEP_2) | instskip(SKIP_3) | instid1(VALU_DEP_3)
	v_cndmask_b32_e64 v26, v47, v26, s9
	v_cndmask_b32_e32 v41, v46, v44, vcc_lo
	v_add_co_u32 v44, vcc_lo, v4, 1
	v_add_co_ci_u32_e32 v46, vcc_lo, 0, v40, vcc_lo
	v_cmp_ne_u32_e32 vcc_lo, 0, v41
	s_delay_alu instid0(VALU_DEP_2) | instskip(NEXT) | instid1(VALU_DEP_4)
	v_cndmask_b32_e32 v27, v46, v43, vcc_lo
	v_cndmask_b32_e32 v41, v44, v42, vcc_lo
	v_cmp_ne_u32_e32 vcc_lo, 0, v26
	v_xor_b32_e32 v42, s10, v45
	s_delay_alu instid0(VALU_DEP_3) | instskip(SKIP_1) | instid1(VALU_DEP_2)
	v_cndmask_b32_e32 v4, v4, v41, vcc_lo
	v_cndmask_b32_e32 v26, v40, v27, vcc_lo
	v_xor_b32_e32 v4, v4, v42
	s_delay_alu instid0(VALU_DEP_2) | instskip(NEXT) | instid1(VALU_DEP_2)
	v_xor_b32_e32 v27, v26, v42
	v_sub_co_u32 v26, vcc_lo, v4, v42
	s_delay_alu instid0(VALU_DEP_2)
	v_sub_co_ci_u32_e32 v27, vcc_lo, v27, v42, vcc_lo
.LBB105_12:                             ;   in Loop: Header=BB105_10 Depth=2
	s_and_not1_saveexec_b32 s9, s40
	s_cbranch_execz .LBB105_14
; %bb.13:                               ;   in Loop: Header=BB105_10 Depth=2
	v_cvt_f32_u32_e32 v4, s14
	s_sub_i32 s11, 0, s14
	s_delay_alu instid0(VALU_DEP_1) | instskip(SKIP_2) | instid1(VALU_DEP_1)
	v_rcp_iflag_f32_e32 v4, v4
	s_waitcnt_depctr 0xfff
	v_mul_f32_e32 v4, 0x4f7ffffe, v4
	v_cvt_u32_f32_e32 v4, v4
	s_delay_alu instid0(VALU_DEP_1) | instskip(NEXT) | instid1(VALU_DEP_1)
	v_mul_lo_u32 v26, s11, v4
	v_mul_hi_u32 v26, v4, v26
	s_delay_alu instid0(VALU_DEP_1) | instskip(NEXT) | instid1(VALU_DEP_1)
	v_add_nc_u32_e32 v4, v4, v26
	v_mul_hi_u32 v4, v39, v4
	s_delay_alu instid0(VALU_DEP_1) | instskip(SKIP_1) | instid1(VALU_DEP_2)
	v_mul_lo_u32 v26, v4, s14
	v_add_nc_u32_e32 v27, 1, v4
	v_sub_nc_u32_e32 v26, v39, v26
	s_delay_alu instid0(VALU_DEP_1) | instskip(SKIP_1) | instid1(VALU_DEP_2)
	v_subrev_nc_u32_e32 v40, s14, v26
	v_cmp_le_u32_e32 vcc_lo, s14, v26
	v_cndmask_b32_e32 v26, v26, v40, vcc_lo
	v_cndmask_b32_e32 v4, v4, v27, vcc_lo
	s_delay_alu instid0(VALU_DEP_2) | instskip(NEXT) | instid1(VALU_DEP_2)
	v_cmp_le_u32_e32 vcc_lo, s14, v26
	v_add_nc_u32_e32 v27, 1, v4
	s_delay_alu instid0(VALU_DEP_1)
	v_dual_cndmask_b32 v26, v4, v27 :: v_dual_mov_b32 v27, v3
.LBB105_14:                             ;   in Loop: Header=BB105_10 Depth=2
	s_or_b32 exec_lo, exec_lo, s9
	s_delay_alu instid0(VALU_DEP_1)
	v_cmp_eq_u64_e32 vcc_lo, s[24:25], v[26:27]
	s_mov_b32 s11, exec_lo
	v_cmpx_ne_u64_e64 s[24:25], v[26:27]
	s_xor_b32 s11, exec_lo, s11
; %bb.15:                               ;   in Loop: Header=BB105_10 Depth=2
	v_cmp_lt_i64_e64 s9, v[26:27], v[18:19]
                                        ; implicit-def: $vgpr39
                                        ; implicit-def: $vgpr24_vgpr25
	s_delay_alu instid0(VALU_DEP_1)
	v_cndmask_b32_e64 v19, v19, v27, s9
	v_cndmask_b32_e64 v18, v18, v26, s9
; %bb.16:                               ;   in Loop: Header=BB105_10 Depth=2
	s_or_saveexec_b32 s9, s11
	v_dual_mov_b32 v27, v17 :: v_dual_mov_b32 v26, v16
	s_xor_b32 exec_lo, exec_lo, s9
	s_cbranch_execz .LBB105_9
; %bb.17:                               ;   in Loop: Header=BB105_10 Depth=2
	global_load_b64 v[40:41], v[20:21], off
	v_subrev_nc_u32_e32 v4, s39, v39
	v_dual_mov_b32 v27, v25 :: v_dual_mov_b32 v26, v24
	s_delay_alu instid0(VALU_DEP_2)
	v_add_lshl_u32 v4, v28, v4, 3
	ds_store_b8 v3, v38 offset:8192
	s_waitcnt vmcnt(0)
	ds_store_b64 v4, v[40:41]
	s_branch .LBB105_9
.LBB105_18:                             ;   in Loop: Header=BB105_7 Depth=1
	s_or_b32 exec_lo, exec_lo, s38
.LBB105_19:                             ;   in Loop: Header=BB105_7 Depth=1
	s_delay_alu instid0(SALU_CYCLE_1)
	s_or_b32 exec_lo, exec_lo, s37
	ds_bpermute_b32 v16, v29, v26
	ds_bpermute_b32 v17, v29, v27
	s_waitcnt lgkmcnt(0)
	s_barrier
	buffer_gl0_inv
	ds_load_u8 v4, v3 offset:8192
	s_mov_b64 s[26:27], 0
	v_cmp_lt_i64_e32 vcc_lo, v[16:17], v[26:27]
	v_dual_cndmask_b32 v17, v27, v17 :: v_dual_cndmask_b32 v16, v26, v16
	ds_bpermute_b32 v21, v30, v17
	ds_bpermute_b32 v20, v30, v16
	s_waitcnt lgkmcnt(0)
	v_cmp_lt_i64_e32 vcc_lo, v[20:21], v[16:17]
	v_dual_cndmask_b32 v17, v17, v21 :: v_dual_cndmask_b32 v16, v16, v20
	ds_bpermute_b32 v21, v33, v17
	ds_bpermute_b32 v20, v33, v16
	s_waitcnt lgkmcnt(0)
	v_cmp_lt_i64_e32 vcc_lo, v[20:21], v[16:17]
	v_dual_cndmask_b32 v17, v17, v21 :: v_dual_cndmask_b32 v16, v16, v20
	v_cmp_eq_u32_e32 vcc_lo, 0, v4
	ds_bpermute_b32 v17, v34, v17
	ds_bpermute_b32 v16, v34, v16
	s_cbranch_vccnz .LBB105_26
; %bb.20:                               ;   in Loop: Header=BB105_7 Depth=1
	s_add_u32 s24, s24, s29
	s_addc_u32 s25, s25, 0
	s_lshl_b64 s[26:27], s[22:23], 3
	s_mul_i32 s9, s30, s23
	s_mul_hi_u32 s11, s30, s22
	s_add_u32 s26, s16, s26
	s_addc_u32 s27, s17, s27
	s_add_i32 s9, s11, s9
	s_mul_i32 s11, s31, s22
	s_mul_i32 s38, s30, s22
	s_add_i32 s39, s9, s11
	v_dual_mov_b32 v23, s24 :: v_dual_mov_b32 v24, s25
	s_lshl_b64 s[24:25], s[38:39], 3
	s_delay_alu instid0(SALU_CYCLE_1)
	v_add_co_u32 v4, vcc_lo, v31, s24
	v_add_co_ci_u32_e32 v20, vcc_lo, s25, v32, vcc_lo
	v_add_co_u32 v21, vcc_lo, v35, s24
	v_add_co_ci_u32_e32 v22, vcc_lo, s25, v36, vcc_lo
	global_store_b64 v3, v[23:24], s[26:27]
	s_and_saveexec_b32 s9, s33
	s_cbranch_execnz .LBB105_42
; %bb.21:                               ;   in Loop: Header=BB105_7 Depth=1
	s_or_b32 exec_lo, exec_lo, s9
	s_and_saveexec_b32 s9, s34
	s_cbranch_execnz .LBB105_43
.LBB105_22:                             ;   in Loop: Header=BB105_7 Depth=1
	s_or_b32 exec_lo, exec_lo, s9
	s_and_saveexec_b32 s9, s35
	s_cbranch_execnz .LBB105_44
.LBB105_23:                             ;   in Loop: Header=BB105_7 Depth=1
	s_or_b32 exec_lo, exec_lo, s9
	s_and_saveexec_b32 s9, s36
	s_cbranch_execz .LBB105_25
.LBB105_24:                             ;   in Loop: Header=BB105_7 Depth=1
	ds_load_b64 v[23:24], v0 offset:192
	v_add_co_u32 v25, vcc_lo, 0xc0, v21
	v_add_co_ci_u32_e32 v21, vcc_lo, 0, v22, vcc_lo
	v_add_co_u32 v4, vcc_lo, v4, v14
	v_add_co_ci_u32_e32 v20, vcc_lo, v20, v15, vcc_lo
	s_delay_alu instid0(VALU_DEP_1) | instskip(NEXT) | instid1(VALU_DEP_3)
	v_cndmask_b32_e64 v21, v20, v21, s0
	v_cndmask_b32_e64 v20, v4, v25, s0
	s_waitcnt lgkmcnt(0)
	global_store_b64 v[20:21], v[23:24], off
.LBB105_25:                             ;   in Loop: Header=BB105_7 Depth=1
	s_or_b32 exec_lo, exec_lo, s9
	s_mov_b64 s[26:27], 1
.LBB105_26:                             ;   in Loop: Header=BB105_7 Depth=1
	s_waitcnt lgkmcnt(0)
	s_waitcnt_vscnt null, 0x0
	s_barrier
	buffer_gl0_inv
	ds_store_b64 v37, v[18:19]
	s_waitcnt lgkmcnt(0)
	s_barrier
	buffer_gl0_inv
	s_and_saveexec_b32 s9, s1
	s_cbranch_execz .LBB105_28
; %bb.27:                               ;   in Loop: Header=BB105_7 Depth=1
	ds_load_2addr_stride64_b64 v[18:21], v37 offset1:2
	s_waitcnt lgkmcnt(0)
	v_cmp_lt_i64_e32 vcc_lo, v[20:21], v[18:19]
	v_dual_cndmask_b32 v19, v19, v21 :: v_dual_cndmask_b32 v18, v18, v20
	ds_store_b64 v37, v[18:19]
.LBB105_28:                             ;   in Loop: Header=BB105_7 Depth=1
	s_or_b32 exec_lo, exec_lo, s9
	s_waitcnt lgkmcnt(0)
	s_barrier
	buffer_gl0_inv
	s_and_saveexec_b32 s9, s2
	s_cbranch_execz .LBB105_30
; %bb.29:                               ;   in Loop: Header=BB105_7 Depth=1
	ds_load_2addr_stride64_b64 v[18:21], v37 offset1:1
	s_waitcnt lgkmcnt(0)
	v_cmp_lt_i64_e32 vcc_lo, v[20:21], v[18:19]
	v_dual_cndmask_b32 v19, v19, v21 :: v_dual_cndmask_b32 v18, v18, v20
	ds_store_b64 v37, v[18:19]
.LBB105_30:                             ;   in Loop: Header=BB105_7 Depth=1
	s_or_b32 exec_lo, exec_lo, s9
	s_waitcnt lgkmcnt(0)
	s_barrier
	buffer_gl0_inv
	s_and_saveexec_b32 s9, s3
	s_cbranch_execz .LBB105_32
; %bb.31:                               ;   in Loop: Header=BB105_7 Depth=1
	ds_load_2addr_b64 v[18:21], v37 offset1:32
	s_waitcnt lgkmcnt(0)
	v_cmp_lt_i64_e32 vcc_lo, v[20:21], v[18:19]
	v_dual_cndmask_b32 v19, v19, v21 :: v_dual_cndmask_b32 v18, v18, v20
	ds_store_b64 v37, v[18:19]
.LBB105_32:                             ;   in Loop: Header=BB105_7 Depth=1
	s_or_b32 exec_lo, exec_lo, s9
	s_waitcnt lgkmcnt(0)
	s_barrier
	buffer_gl0_inv
	s_and_saveexec_b32 s9, s4
	s_cbranch_execz .LBB105_34
; %bb.33:                               ;   in Loop: Header=BB105_7 Depth=1
	ds_load_2addr_b64 v[18:21], v37 offset1:16
	s_waitcnt lgkmcnt(0)
	v_cmp_lt_i64_e32 vcc_lo, v[20:21], v[18:19]
	v_dual_cndmask_b32 v19, v19, v21 :: v_dual_cndmask_b32 v18, v18, v20
	ds_store_b64 v37, v[18:19]
.LBB105_34:                             ;   in Loop: Header=BB105_7 Depth=1
	s_or_b32 exec_lo, exec_lo, s9
	s_waitcnt lgkmcnt(0)
	s_barrier
	buffer_gl0_inv
	s_and_saveexec_b32 s9, s5
	s_cbranch_execz .LBB105_36
; %bb.35:                               ;   in Loop: Header=BB105_7 Depth=1
	ds_load_2addr_b64 v[18:21], v37 offset1:8
	s_waitcnt lgkmcnt(0)
	v_cmp_lt_i64_e32 vcc_lo, v[20:21], v[18:19]
	v_dual_cndmask_b32 v19, v19, v21 :: v_dual_cndmask_b32 v18, v18, v20
	ds_store_b64 v37, v[18:19]
.LBB105_36:                             ;   in Loop: Header=BB105_7 Depth=1
	s_or_b32 exec_lo, exec_lo, s9
	s_waitcnt lgkmcnt(0)
	s_barrier
	buffer_gl0_inv
	s_and_saveexec_b32 s9, s6
	s_cbranch_execz .LBB105_38
; %bb.37:                               ;   in Loop: Header=BB105_7 Depth=1
	ds_load_2addr_b64 v[18:21], v37 offset1:4
	s_waitcnt lgkmcnt(0)
	v_cmp_lt_i64_e32 vcc_lo, v[20:21], v[18:19]
	v_dual_cndmask_b32 v19, v19, v21 :: v_dual_cndmask_b32 v18, v18, v20
	ds_store_b64 v37, v[18:19]
.LBB105_38:                             ;   in Loop: Header=BB105_7 Depth=1
	s_or_b32 exec_lo, exec_lo, s9
	s_waitcnt lgkmcnt(0)
	s_barrier
	buffer_gl0_inv
	s_and_saveexec_b32 s9, s7
	s_cbranch_execz .LBB105_40
; %bb.39:                               ;   in Loop: Header=BB105_7 Depth=1
	ds_load_2addr_b64 v[18:21], v37 offset1:2
	s_waitcnt lgkmcnt(0)
	v_cmp_lt_i64_e32 vcc_lo, v[20:21], v[18:19]
	v_dual_cndmask_b32 v19, v19, v21 :: v_dual_cndmask_b32 v18, v18, v20
	ds_store_b64 v37, v[18:19]
.LBB105_40:                             ;   in Loop: Header=BB105_7 Depth=1
	s_or_b32 exec_lo, exec_lo, s9
	s_waitcnt lgkmcnt(0)
	s_barrier
	buffer_gl0_inv
	s_and_saveexec_b32 s9, s8
	s_cbranch_execz .LBB105_6
; %bb.41:                               ;   in Loop: Header=BB105_7 Depth=1
	ds_load_b128 v[18:21], v3
	s_waitcnt lgkmcnt(0)
	v_cmp_lt_i64_e32 vcc_lo, v[20:21], v[18:19]
	v_dual_cndmask_b32 v19, v19, v21 :: v_dual_cndmask_b32 v18, v18, v20
	ds_store_b64 v3, v[18:19]
	s_branch .LBB105_6
.LBB105_42:                             ;   in Loop: Header=BB105_7 Depth=1
	ds_load_b64 v[23:24], v0
	v_add_co_u32 v25, vcc_lo, v4, v8
	v_add_co_ci_u32_e32 v26, vcc_lo, v20, v9, vcc_lo
	s_delay_alu instid0(VALU_DEP_2) | instskip(NEXT) | instid1(VALU_DEP_2)
	v_cndmask_b32_e64 v25, v25, v21, s0
	v_cndmask_b32_e64 v26, v26, v22, s0
	s_waitcnt lgkmcnt(0)
	global_store_b64 v[25:26], v[23:24], off
	s_or_b32 exec_lo, exec_lo, s9
	s_and_saveexec_b32 s9, s34
	s_cbranch_execz .LBB105_22
.LBB105_43:                             ;   in Loop: Header=BB105_7 Depth=1
	ds_load_b64 v[23:24], v0 offset:64
	v_add_co_u32 v25, vcc_lo, v21, 64
	v_add_co_ci_u32_e32 v26, vcc_lo, 0, v22, vcc_lo
	v_add_co_u32 v27, vcc_lo, v4, v10
	v_add_co_ci_u32_e32 v39, vcc_lo, v20, v11, vcc_lo
	s_delay_alu instid0(VALU_DEP_2) | instskip(NEXT) | instid1(VALU_DEP_2)
	v_cndmask_b32_e64 v25, v27, v25, s0
	v_cndmask_b32_e64 v26, v39, v26, s0
	s_waitcnt lgkmcnt(0)
	global_store_b64 v[25:26], v[23:24], off
	s_or_b32 exec_lo, exec_lo, s9
	s_and_saveexec_b32 s9, s35
	s_cbranch_execz .LBB105_23
.LBB105_44:                             ;   in Loop: Header=BB105_7 Depth=1
	ds_load_b64 v[23:24], v0 offset:128
	v_add_co_u32 v25, vcc_lo, 0x80, v21
	v_add_co_ci_u32_e32 v26, vcc_lo, 0, v22, vcc_lo
	v_add_co_u32 v27, vcc_lo, v4, v12
	v_add_co_ci_u32_e32 v39, vcc_lo, v20, v13, vcc_lo
	s_delay_alu instid0(VALU_DEP_2) | instskip(NEXT) | instid1(VALU_DEP_2)
	v_cndmask_b32_e64 v25, v27, v25, s0
	v_cndmask_b32_e64 v26, v39, v26, s0
	s_waitcnt lgkmcnt(0)
	global_store_b64 v[25:26], v[23:24], off
	s_or_b32 exec_lo, exec_lo, s9
	s_and_saveexec_b32 s9, s36
	s_cbranch_execnz .LBB105_24
	s_branch .LBB105_25
.LBB105_45:
	s_endpgm
	.section	.rodata,"a",@progbits
	.p2align	6, 0x0
	.amdhsa_kernel _ZN9rocsparseL38csr2bsr_block_per_row_multipass_kernelILj256ELj32E21rocsparse_complex_numIfEllEEv20rocsparse_direction_T3_S4_S4_S4_S4_21rocsparse_index_base_PKT1_PKT2_PKS4_S5_PS6_PS9_PS4_
		.amdhsa_group_segment_fixed_size 8196
		.amdhsa_private_segment_fixed_size 0
		.amdhsa_kernarg_size 112
		.amdhsa_user_sgpr_count 15
		.amdhsa_user_sgpr_dispatch_ptr 0
		.amdhsa_user_sgpr_queue_ptr 0
		.amdhsa_user_sgpr_kernarg_segment_ptr 1
		.amdhsa_user_sgpr_dispatch_id 0
		.amdhsa_user_sgpr_private_segment_size 0
		.amdhsa_wavefront_size32 1
		.amdhsa_uses_dynamic_stack 0
		.amdhsa_enable_private_segment 0
		.amdhsa_system_sgpr_workgroup_id_x 1
		.amdhsa_system_sgpr_workgroup_id_y 0
		.amdhsa_system_sgpr_workgroup_id_z 0
		.amdhsa_system_sgpr_workgroup_info 0
		.amdhsa_system_vgpr_workitem_id 0
		.amdhsa_next_free_vgpr 49
		.amdhsa_next_free_sgpr 41
		.amdhsa_reserve_vcc 1
		.amdhsa_float_round_mode_32 0
		.amdhsa_float_round_mode_16_64 0
		.amdhsa_float_denorm_mode_32 3
		.amdhsa_float_denorm_mode_16_64 3
		.amdhsa_dx10_clamp 1
		.amdhsa_ieee_mode 1
		.amdhsa_fp16_overflow 0
		.amdhsa_workgroup_processor_mode 1
		.amdhsa_memory_ordered 1
		.amdhsa_forward_progress 0
		.amdhsa_shared_vgpr_count 0
		.amdhsa_exception_fp_ieee_invalid_op 0
		.amdhsa_exception_fp_denorm_src 0
		.amdhsa_exception_fp_ieee_div_zero 0
		.amdhsa_exception_fp_ieee_overflow 0
		.amdhsa_exception_fp_ieee_underflow 0
		.amdhsa_exception_fp_ieee_inexact 0
		.amdhsa_exception_int_div_zero 0
	.end_amdhsa_kernel
	.section	.text._ZN9rocsparseL38csr2bsr_block_per_row_multipass_kernelILj256ELj32E21rocsparse_complex_numIfEllEEv20rocsparse_direction_T3_S4_S4_S4_S4_21rocsparse_index_base_PKT1_PKT2_PKS4_S5_PS6_PS9_PS4_,"axG",@progbits,_ZN9rocsparseL38csr2bsr_block_per_row_multipass_kernelILj256ELj32E21rocsparse_complex_numIfEllEEv20rocsparse_direction_T3_S4_S4_S4_S4_21rocsparse_index_base_PKT1_PKT2_PKS4_S5_PS6_PS9_PS4_,comdat
.Lfunc_end105:
	.size	_ZN9rocsparseL38csr2bsr_block_per_row_multipass_kernelILj256ELj32E21rocsparse_complex_numIfEllEEv20rocsparse_direction_T3_S4_S4_S4_S4_21rocsparse_index_base_PKT1_PKT2_PKS4_S5_PS6_PS9_PS4_, .Lfunc_end105-_ZN9rocsparseL38csr2bsr_block_per_row_multipass_kernelILj256ELj32E21rocsparse_complex_numIfEllEEv20rocsparse_direction_T3_S4_S4_S4_S4_21rocsparse_index_base_PKT1_PKT2_PKS4_S5_PS6_PS9_PS4_
                                        ; -- End function
	.section	.AMDGPU.csdata,"",@progbits
; Kernel info:
; codeLenInByte = 3456
; NumSgprs: 43
; NumVgprs: 49
; ScratchSize: 0
; MemoryBound: 0
; FloatMode: 240
; IeeeMode: 1
; LDSByteSize: 8196 bytes/workgroup (compile time only)
; SGPRBlocks: 5
; VGPRBlocks: 6
; NumSGPRsForWavesPerEU: 43
; NumVGPRsForWavesPerEU: 49
; Occupancy: 16
; WaveLimiterHint : 1
; COMPUTE_PGM_RSRC2:SCRATCH_EN: 0
; COMPUTE_PGM_RSRC2:USER_SGPR: 15
; COMPUTE_PGM_RSRC2:TRAP_HANDLER: 0
; COMPUTE_PGM_RSRC2:TGID_X_EN: 1
; COMPUTE_PGM_RSRC2:TGID_Y_EN: 0
; COMPUTE_PGM_RSRC2:TGID_Z_EN: 0
; COMPUTE_PGM_RSRC2:TIDIG_COMP_CNT: 0
	.section	.text._ZN9rocsparseL38csr2bsr_block_per_row_multipass_kernelILj256ELj64E21rocsparse_complex_numIfEllEEv20rocsparse_direction_T3_S4_S4_S4_S4_21rocsparse_index_base_PKT1_PKT2_PKS4_S5_PS6_PS9_PS4_,"axG",@progbits,_ZN9rocsparseL38csr2bsr_block_per_row_multipass_kernelILj256ELj64E21rocsparse_complex_numIfEllEEv20rocsparse_direction_T3_S4_S4_S4_S4_21rocsparse_index_base_PKT1_PKT2_PKS4_S5_PS6_PS9_PS4_,comdat
	.globl	_ZN9rocsparseL38csr2bsr_block_per_row_multipass_kernelILj256ELj64E21rocsparse_complex_numIfEllEEv20rocsparse_direction_T3_S4_S4_S4_S4_21rocsparse_index_base_PKT1_PKT2_PKS4_S5_PS6_PS9_PS4_ ; -- Begin function _ZN9rocsparseL38csr2bsr_block_per_row_multipass_kernelILj256ELj64E21rocsparse_complex_numIfEllEEv20rocsparse_direction_T3_S4_S4_S4_S4_21rocsparse_index_base_PKT1_PKT2_PKS4_S5_PS6_PS9_PS4_
	.p2align	8
	.type	_ZN9rocsparseL38csr2bsr_block_per_row_multipass_kernelILj256ELj64E21rocsparse_complex_numIfEllEEv20rocsparse_direction_T3_S4_S4_S4_S4_21rocsparse_index_base_PKT1_PKT2_PKS4_S5_PS6_PS9_PS4_,@function
_ZN9rocsparseL38csr2bsr_block_per_row_multipass_kernelILj256ELj64E21rocsparse_complex_numIfEllEEv20rocsparse_direction_T3_S4_S4_S4_S4_21rocsparse_index_base_PKT1_PKT2_PKS4_S5_PS6_PS9_PS4_: ; @_ZN9rocsparseL38csr2bsr_block_per_row_multipass_kernelILj256ELj64E21rocsparse_complex_numIfEllEEv20rocsparse_direction_T3_S4_S4_S4_S4_21rocsparse_index_base_PKT1_PKT2_PKS4_S5_PS6_PS9_PS4_
; %bb.0:
	s_mov_b32 s2, s15
	s_clause 0x1
	s_load_b128 s[12:15], s[0:1], 0x20
	s_load_b64 s[6:7], s[0:1], 0x8
	v_mov_b32_e32 v5, 0
	v_lshrrev_b32_e32 v4, 2, v0
	v_mov_b32_e32 v1, 0
	v_mov_b32_e32 v2, 0
	s_clause 0x1
	s_load_b32 s28, s[0:1], 0x30
	s_load_b64 s[4:5], s[0:1], 0x40
	s_ashr_i32 s3, s2, 31
	v_dual_mov_b32 v41, v2 :: v_dual_mov_b32 v40, v1
	s_waitcnt lgkmcnt(0)
	v_mad_u64_u32 v[6:7], null, s2, s14, v[4:5]
	s_mul_i32 s8, s2, s15
	s_mul_i32 s9, s3, s14
	s_delay_alu instid0(VALU_DEP_1) | instid1(SALU_CYCLE_1)
	v_add3_u32 v7, s8, s9, v7
	v_cmp_gt_i64_e64 s9, s[14:15], v[4:5]
	s_delay_alu instid0(VALU_DEP_2) | instskip(NEXT) | instid1(VALU_DEP_2)
	v_cmp_gt_i64_e32 vcc_lo, s[6:7], v[6:7]
	s_and_b32 s6, s9, vcc_lo
	s_delay_alu instid0(SALU_CYCLE_1)
	s_and_saveexec_b32 s7, s6
	s_cbranch_execnz .LBB106_3
; %bb.1:
	s_or_b32 exec_lo, exec_lo, s7
	s_and_saveexec_b32 s7, s6
	s_cbranch_execnz .LBB106_4
.LBB106_2:
	s_or_b32 exec_lo, exec_lo, s7
	v_cmp_lt_i64_e64 s4, s[12:13], 1
	s_delay_alu instid0(VALU_DEP_1)
	s_and_b32 vcc_lo, exec_lo, s4
	s_cbranch_vccz .LBB106_5
	s_branch .LBB106_69
.LBB106_3:
	v_lshlrev_b64 v[8:9], 3, v[6:7]
	s_delay_alu instid0(VALU_DEP_1) | instskip(NEXT) | instid1(VALU_DEP_2)
	v_add_co_u32 v8, vcc_lo, s4, v8
	v_add_co_ci_u32_e32 v9, vcc_lo, s5, v9, vcc_lo
	global_load_b64 v[8:9], v[8:9], off
	s_waitcnt vmcnt(0)
	v_sub_co_u32 v40, vcc_lo, v8, s28
	v_subrev_co_ci_u32_e32 v41, vcc_lo, 0, v9, vcc_lo
	s_or_b32 exec_lo, exec_lo, s7
	s_and_saveexec_b32 s7, s6
	s_cbranch_execz .LBB106_2
.LBB106_4:
	v_lshlrev_b64 v[1:2], 3, v[6:7]
	s_delay_alu instid0(VALU_DEP_1) | instskip(NEXT) | instid1(VALU_DEP_2)
	v_add_co_u32 v1, vcc_lo, s4, v1
	v_add_co_ci_u32_e32 v2, vcc_lo, s5, v2, vcc_lo
	global_load_b64 v[1:2], v[1:2], off offset:8
	s_waitcnt vmcnt(0)
	v_sub_co_u32 v1, vcc_lo, v1, s28
	v_subrev_co_ci_u32_e32 v2, vcc_lo, 0, v2, vcc_lo
	s_or_b32 exec_lo, exec_lo, s7
	v_cmp_lt_i64_e64 s4, s[12:13], 1
	s_delay_alu instid0(VALU_DEP_1)
	s_and_b32 vcc_lo, exec_lo, s4
	s_cbranch_vccnz .LBB106_69
.LBB106_5:
	s_clause 0x2
	s_load_b128 s[4:7], s[0:1], 0x58
	s_load_b64 s[16:17], s[0:1], 0x68
	s_load_b32 s29, s[0:1], 0x50
	v_mad_u64_u32 v[7:8], null, v4, s14, 0
	v_mbcnt_lo_u32_b32 v11, -1, 0
	v_and_b32_e32 v5, 3, v0
	s_mul_i32 s8, s14, s15
	s_mul_hi_u32 s10, s14, s14
	s_clause 0x2
	s_load_b64 s[18:19], s[0:1], 0x48
	s_load_b64 s[20:21], s[0:1], 0x38
	s_load_b32 s11, s[0:1], 0x0
	v_xor_b32_e32 v12, 2, v11
	v_mov_b32_e32 v6, v8
	s_lshl_b64 s[0:1], s[2:3], 3
	s_add_i32 s2, s10, s8
	v_dual_mov_b32 v3, 0 :: v_dual_lshlrev_b32 v10, 3, v4
	s_delay_alu instid0(VALU_DEP_2)
	v_mad_u64_u32 v[8:9], null, v4, s15, v[6:7]
	s_add_i32 s31, s2, s8
	v_xor_b32_e32 v9, 1, v11
	v_cmp_gt_i32_e32 vcc_lo, 32, v12
	s_waitcnt lgkmcnt(0)
	s_add_u32 s0, s6, s0
	s_addc_u32 s1, s7, s1
	v_lshlrev_b32_e32 v52, 6, v4
	s_load_b64 s[0:1], s[0:1], 0x0
	v_cndmask_b32_e32 v4, v11, v12, vcc_lo
	v_cmp_gt_i32_e32 vcc_lo, 32, v9
	v_lshlrev_b64 v[7:8], 3, v[7:8]
	v_mov_b32_e32 v6, v3
	v_lshl_or_b32 v53, v11, 2, 12
	v_add_co_u32 v56, s2, s4, v10
	v_cndmask_b32_e32 v9, v11, v9, vcc_lo
	v_lshlrev_b32_e32 v11, 3, v5
	v_or_b32_e32 v10, 4, v5
	v_add_co_ci_u32_e64 v57, null, s5, 0, s2
	s_delay_alu instid0(VALU_DEP_4) | instskip(SKIP_4) | instid1(VALU_DEP_3)
	v_lshlrev_b32_e32 v55, 2, v9
	v_lshlrev_b32_e32 v54, 2, v4
	v_add_co_u32 v4, vcc_lo, s4, v7
	v_add_co_ci_u32_e32 v7, vcc_lo, s5, v8, vcc_lo
	v_mad_u64_u32 v[8:9], null, v5, s14, 0
	v_add_co_u32 v58, vcc_lo, v4, v11
	v_mov_b32_e32 v11, v3
	v_or_b32_e32 v4, v52, v5
	v_mad_u64_u32 v[12:13], null, v10, s14, 0
	s_waitcnt lgkmcnt(0)
	s_sub_u32 s22, s0, s29
	s_subb_u32 s23, s1, 0
	v_dual_mov_b32 v15, v3 :: v_dual_lshlrev_b32 v60, 3, v0
	v_cmp_gt_u32_e64 s1, 0x80, v0
	v_cmp_gt_u32_e64 s2, 64, v0
	;; [unrolled: 1-line block ×7, first 2 shown]
	v_cmp_eq_u32_e64 s8, 0, v0
	v_lshlrev_b32_e32 v0, 3, v4
	v_or_b32_e32 v14, 8, v5
	v_mov_b32_e32 v4, v9
	v_add_co_ci_u32_e32 v59, vcc_lo, 0, v7, vcc_lo
	v_cmp_gt_i64_e32 vcc_lo, s[14:15], v[5:6]
	s_delay_alu instid0(VALU_DEP_4) | instskip(NEXT) | instid1(VALU_DEP_4)
	v_mad_u64_u32 v[16:17], null, v14, s14, 0
	v_mad_u64_u32 v[6:7], null, v5, s15, v[4:5]
	v_dual_mov_b32 v4, v13 :: v_dual_mov_b32 v7, v3
	s_cmp_eq_u32 s11, 0
	v_cmp_gt_i64_e64 s10, s[14:15], v[14:15]
	s_cselect_b32 s0, -1, 0
	s_delay_alu instid0(VALU_DEP_2) | instskip(NEXT) | instid1(VALU_DEP_4)
	v_mad_u64_u32 v[18:19], null, v10, s15, v[4:5]
	v_dual_mov_b32 v4, v17 :: v_dual_mov_b32 v9, v6
	v_or_b32_e32 v6, 12, v5
	s_and_b32 s33, s9, vcc_lo
	v_cmp_gt_i64_e32 vcc_lo, s[14:15], v[10:11]
	s_delay_alu instid0(VALU_DEP_3)
	v_mad_u64_u32 v[10:11], null, v14, s15, v[4:5]
	v_mov_b32_e32 v13, v18
	v_mad_u64_u32 v[14:15], null, v6, s14, 0
	v_or_b32_e32 v18, 16, v5
	s_and_b32 s34, s9, vcc_lo
	v_cmp_gt_i64_e32 vcc_lo, s[14:15], v[6:7]
	v_mov_b32_e32 v17, v10
	v_or_b32_e32 v10, 20, v5
	v_mad_u64_u32 v[20:21], null, v18, s14, 0
	v_mov_b32_e32 v4, v15
	v_mov_b32_e32 v19, v3
	s_delay_alu instid0(VALU_DEP_4) | instskip(SKIP_1) | instid1(VALU_DEP_3)
	v_mad_u64_u32 v[22:23], null, v10, s14, 0
	s_and_b32 s36, s9, vcc_lo
	v_mad_u64_u32 v[24:25], null, v6, s15, v[4:5]
	v_mov_b32_e32 v4, v21
	v_cmp_gt_i64_e32 vcc_lo, s[14:15], v[18:19]
	s_and_b32 s35, s9, s10
	v_or_b32_e32 v42, 60, v5
	s_mov_b32 s24, 0
	v_mad_u64_u32 v[6:7], null, v18, s15, v[4:5]
	v_mov_b32_e32 v4, v23
	v_or_b32_e32 v18, 24, v5
	v_mov_b32_e32 v15, v24
	s_and_b32 s37, s9, vcc_lo
	v_mad_u64_u32 v[46:47], null, v42, s14, 0
	v_mov_b32_e32 v21, v6
	v_mad_u64_u32 v[23:24], null, v10, s15, v[4:5]
	v_mad_u64_u32 v[24:25], null, v18, s14, 0
	v_mov_b32_e32 v11, v3
	v_or_b32_e32 v6, 28, v5
	v_cmp_gt_i64_e32 vcc_lo, s[14:15], v[18:19]
	s_mov_b32 s25, s24
	v_mov_b32_e32 v43, v3
	v_lshlrev_b64 v[14:15], 3, v[14:15]
	v_mov_b32_e32 v4, v25
	v_cmp_gt_i64_e64 s10, s[14:15], v[10:11]
	v_mad_u64_u32 v[26:27], null, v6, s14, 0
	v_or_b32_e32 v10, 32, v5
	s_delay_alu instid0(VALU_DEP_4) | instskip(SKIP_1) | instid1(VALU_DEP_4)
	v_mad_u64_u32 v[30:31], null, v18, s15, v[4:5]
	s_and_b32 s39, s9, vcc_lo
	s_and_b32 s38, s9, s10
	s_delay_alu instid0(VALU_DEP_2) | instskip(NEXT) | instid1(VALU_DEP_4)
	v_mad_u64_u32 v[28:29], null, v10, s14, 0
	v_mov_b32_e32 v4, v27
	v_mov_b32_e32 v7, v3
	s_delay_alu instid0(VALU_DEP_4)
	v_mov_b32_e32 v25, v30
	v_cmp_gt_i64_e64 s10, s[14:15], v[10:11]
	v_mov_b32_e32 v61, 1
	v_mad_u64_u32 v[18:19], null, v6, s15, v[4:5]
	v_mov_b32_e32 v4, v29
	v_cmp_gt_i64_e32 vcc_lo, s[14:15], v[6:7]
	v_or_b32_e32 v6, 36, v5
	v_mov_b32_e32 v19, v3
	s_and_b32 s41, s9, s10
	v_mad_u64_u32 v[29:30], null, v10, s15, v[4:5]
	s_delay_alu instid0(VALU_DEP_3)
	v_mad_u64_u32 v[30:31], null, v6, s14, 0
	v_or_b32_e32 v10, 40, v5
	v_mov_b32_e32 v27, v18
	v_or_b32_e32 v18, 44, v5
	s_and_b32 s40, s9, vcc_lo
	v_cmp_gt_i64_e32 vcc_lo, s[14:15], v[6:7]
	v_mad_u64_u32 v[32:33], null, v10, s14, 0
	v_mov_b32_e32 v4, v31
	v_mad_u64_u32 v[34:35], null, v18, s14, 0
	v_cmp_gt_i64_e64 s10, s[14:15], v[10:11]
	v_cmp_gt_i64_e64 s11, s[14:15], v[18:19]
	s_delay_alu instid0(VALU_DEP_4)
	v_mad_u64_u32 v[36:37], null, v6, s15, v[4:5]
	v_mov_b32_e32 v4, v33
	v_or_b32_e32 v6, 48, v5
	s_and_b32 s42, s9, vcc_lo
	s_and_b32 s43, s9, s10
	v_cmp_gt_i64_e64 s10, s[14:15], v[42:43]
	v_mad_u64_u32 v[37:38], null, v10, s15, v[4:5]
	v_dual_mov_b32 v4, v35 :: v_dual_mov_b32 v31, v36
	v_mad_u64_u32 v[38:39], null, v6, s14, 0
	v_cmp_gt_i64_e32 vcc_lo, s[14:15], v[6:7]
	s_delay_alu instid0(VALU_DEP_3)
	v_mad_u64_u32 v[10:11], null, v18, s15, v[4:5]
	v_mov_b32_e32 v33, v37
	v_mov_b32_e32 v11, v3
	s_mul_i32 s30, s14, s14
	v_mov_b32_e32 v4, v39
	s_and_b32 s45, s9, vcc_lo
	s_and_b32 s44, s9, s11
	s_delay_alu instid0(VALU_DEP_4) | instskip(SKIP_4) | instid1(VALU_DEP_3)
	v_mov_b32_e32 v35, v10
	v_or_b32_e32 v10, 52, v5
	v_mad_u64_u32 v[18:19], null, v6, s15, v[4:5]
	v_or_b32_e32 v6, 56, v5
	s_and_b32 s48, s9, s10
	v_mad_u64_u32 v[36:37], null, v10, s14, 0
	v_cmp_gt_i64_e32 vcc_lo, s[14:15], v[10:11]
	s_delay_alu instid0(VALU_DEP_3) | instskip(SKIP_2) | instid1(VALU_DEP_4)
	v_mad_u64_u32 v[44:45], null, v6, s14, 0
	v_mov_b32_e32 v39, v18
	s_mov_b64 s[10:11], 0
	v_mov_b32_e32 v4, v37
	s_and_b32 s46, s9, vcc_lo
	s_delay_alu instid0(VALU_DEP_3) | instskip(NEXT) | instid1(VALU_DEP_2)
	v_mov_b32_e32 v7, v45
	v_mad_u64_u32 v[18:19], null, v10, s15, v[4:5]
	v_mov_b32_e32 v4, v47
	s_delay_alu instid0(VALU_DEP_3) | instskip(SKIP_2) | instid1(VALU_DEP_4)
	v_mad_u64_u32 v[10:11], null, v6, s15, v[7:8]
	v_mov_b32_e32 v7, v3
	v_lshlrev_b64 v[8:9], 3, v[8:9]
	v_mad_u64_u32 v[47:48], null, v42, s15, v[4:5]
	v_mov_b32_e32 v37, v18
	s_delay_alu instid0(VALU_DEP_4)
	v_cmp_gt_i64_e32 vcc_lo, s[14:15], v[6:7]
	v_dual_mov_b32 v45, v10 :: v_dual_mov_b32 v6, s24
	v_lshlrev_b64 v[10:11], 3, v[12:13]
	v_lshlrev_b64 v[12:13], 3, v[16:17]
	;; [unrolled: 1-line block ×14, first 2 shown]
	v_mov_b32_e32 v7, s25
	s_and_b32 s47, s9, vcc_lo
	s_branch .LBB106_7
.LBB106_6:                              ;   in Loop: Header=BB106_7 Depth=1
	s_or_b32 exec_lo, exec_lo, s9
	s_waitcnt lgkmcnt(0)
	s_barrier
	buffer_gl0_inv
	ds_load_b64 v[42:43], v3
	s_add_u32 s22, s24, s22
	s_addc_u32 s23, s25, s23
	s_waitcnt lgkmcnt(0)
	s_barrier
	buffer_gl0_inv
	v_cmp_gt_i64_e32 vcc_lo, s[12:13], v[42:43]
	v_readfirstlane_b32 s10, v42
	v_readfirstlane_b32 s11, v43
	s_cbranch_vccz .LBB106_69
.LBB106_7:                              ; =>This Loop Header: Depth=1
                                        ;     Child Loop BB106_10 Depth 2
	v_add_co_u32 v40, vcc_lo, v40, v5
	v_add_co_ci_u32_e32 v41, vcc_lo, 0, v41, vcc_lo
	v_dual_mov_b32 v43, s13 :: v_dual_mov_b32 v42, s12
	v_dual_mov_b32 v51, v2 :: v_dual_mov_b32 v50, v1
	s_mov_b32 s49, exec_lo
	ds_store_b8 v3, v3 offset:32768
	ds_store_2addr_b64 v0, v[6:7], v[6:7] offset1:4
	ds_store_2addr_b64 v0, v[6:7], v[6:7] offset0:8 offset1:12
	ds_store_2addr_b64 v0, v[6:7], v[6:7] offset0:16 offset1:20
	;; [unrolled: 1-line block ×7, first 2 shown]
	s_waitcnt lgkmcnt(0)
	s_barrier
	buffer_gl0_inv
	v_cmpx_lt_i64_e64 v[40:41], v[1:2]
	s_cbranch_execz .LBB106_19
; %bb.8:                                ;   in Loop: Header=BB106_7 Depth=1
	v_lshlrev_b64 v[42:43], 3, v[40:41]
	v_dual_mov_b32 v49, v2 :: v_dual_mov_b32 v48, v1
	s_mul_i32 s51, s10, s14
	s_mov_b32 s50, 0
	s_delay_alu instid0(VALU_DEP_2) | instskip(NEXT) | instid1(VALU_DEP_3)
	v_add_co_u32 v44, vcc_lo, s20, v42
	v_add_co_ci_u32_e32 v45, vcc_lo, s21, v43, vcc_lo
	v_add_co_u32 v46, vcc_lo, s18, v42
	v_add_co_ci_u32_e32 v47, vcc_lo, s19, v43, vcc_lo
	v_dual_mov_b32 v43, s13 :: v_dual_mov_b32 v42, s12
	s_branch .LBB106_10
.LBB106_9:                              ;   in Loop: Header=BB106_10 Depth=2
	s_or_b32 exec_lo, exec_lo, s9
	v_add_co_u32 v40, s9, v40, 4
	s_delay_alu instid0(VALU_DEP_1) | instskip(SKIP_2) | instid1(VALU_DEP_2)
	v_add_co_ci_u32_e64 v41, s9, 0, v41, s9
	s_xor_b32 s24, vcc_lo, -1
	v_add_co_u32 v44, vcc_lo, v44, 32
	v_cmp_ge_i64_e64 s9, v[40:41], v[1:2]
	v_add_co_ci_u32_e32 v45, vcc_lo, 0, v45, vcc_lo
	v_add_co_u32 v46, vcc_lo, v46, 32
	v_add_co_ci_u32_e32 v47, vcc_lo, 0, v47, vcc_lo
	s_delay_alu instid0(VALU_DEP_4) | instskip(SKIP_2) | instid1(SALU_CYCLE_1)
	s_or_b32 s9, s24, s9
	v_dual_mov_b32 v48, v50 :: v_dual_mov_b32 v49, v51
	s_and_b32 s9, exec_lo, s9
	s_or_b32 s50, s9, s50
	s_delay_alu instid0(SALU_CYCLE_1)
	s_and_not1_b32 exec_lo, exec_lo, s50
	s_cbranch_execz .LBB106_18
.LBB106_10:                             ;   Parent Loop BB106_7 Depth=1
                                        ; =>  This Inner Loop Header: Depth=2
	global_load_b64 v[50:51], v[46:47], off
	s_mov_b32 s9, exec_lo
	s_waitcnt vmcnt(0)
	v_sub_co_u32 v62, vcc_lo, v50, s28
	v_subrev_co_ci_u32_e32 v63, vcc_lo, 0, v51, vcc_lo
                                        ; implicit-def: $vgpr50_vgpr51
	s_delay_alu instid0(VALU_DEP_1) | instskip(NEXT) | instid1(VALU_DEP_1)
	v_or_b32_e32 v4, s15, v63
	v_cmpx_ne_u64_e32 0, v[3:4]
	s_xor_b32 s52, exec_lo, s9
	s_cbranch_execz .LBB106_12
; %bb.11:                               ;   in Loop: Header=BB106_10 Depth=2
	s_ashr_i32 s24, s15, 31
	s_delay_alu instid0(SALU_CYCLE_1) | instskip(SKIP_2) | instid1(SALU_CYCLE_1)
	s_add_u32 s26, s14, s24
	s_mov_b32 s25, s24
	s_addc_u32 s27, s15, s24
	s_xor_b64 s[26:27], s[26:27], s[24:25]
	s_delay_alu instid0(SALU_CYCLE_1) | instskip(SKIP_3) | instid1(VALU_DEP_1)
	v_cvt_f32_u32_e32 v4, s26
	v_cvt_f32_u32_e32 v50, s27
	s_sub_u32 s9, 0, s26
	s_subb_u32 s25, 0, s27
	v_fmac_f32_e32 v4, 0x4f800000, v50
	s_delay_alu instid0(VALU_DEP_1) | instskip(SKIP_2) | instid1(VALU_DEP_1)
	v_rcp_f32_e32 v4, v4
	s_waitcnt_depctr 0xfff
	v_mul_f32_e32 v4, 0x5f7ffffc, v4
	v_mul_f32_e32 v50, 0x2f800000, v4
	s_delay_alu instid0(VALU_DEP_1) | instskip(NEXT) | instid1(VALU_DEP_1)
	v_trunc_f32_e32 v50, v50
	v_fmac_f32_e32 v4, 0xcf800000, v50
	v_cvt_u32_f32_e32 v50, v50
	s_delay_alu instid0(VALU_DEP_2) | instskip(NEXT) | instid1(VALU_DEP_2)
	v_cvt_u32_f32_e32 v4, v4
	v_mul_lo_u32 v51, s9, v50
	s_delay_alu instid0(VALU_DEP_2) | instskip(SKIP_1) | instid1(VALU_DEP_2)
	v_mul_hi_u32 v64, s9, v4
	v_mul_lo_u32 v65, s25, v4
	v_add_nc_u32_e32 v51, v64, v51
	v_mul_lo_u32 v64, s9, v4
	s_delay_alu instid0(VALU_DEP_2) | instskip(NEXT) | instid1(VALU_DEP_2)
	v_add_nc_u32_e32 v51, v51, v65
	v_mul_hi_u32 v65, v4, v64
	s_delay_alu instid0(VALU_DEP_2)
	v_mul_lo_u32 v66, v4, v51
	v_mul_hi_u32 v67, v4, v51
	v_mul_hi_u32 v68, v50, v64
	v_mul_lo_u32 v64, v50, v64
	v_mul_hi_u32 v69, v50, v51
	v_mul_lo_u32 v51, v50, v51
	v_add_co_u32 v65, vcc_lo, v65, v66
	v_add_co_ci_u32_e32 v66, vcc_lo, 0, v67, vcc_lo
	s_delay_alu instid0(VALU_DEP_2) | instskip(NEXT) | instid1(VALU_DEP_2)
	v_add_co_u32 v64, vcc_lo, v65, v64
	v_add_co_ci_u32_e32 v64, vcc_lo, v66, v68, vcc_lo
	v_add_co_ci_u32_e32 v65, vcc_lo, 0, v69, vcc_lo
	v_ashrrev_i32_e32 v68, 31, v63
	s_delay_alu instid0(VALU_DEP_3) | instskip(NEXT) | instid1(VALU_DEP_3)
	v_add_co_u32 v51, vcc_lo, v64, v51
	v_add_co_ci_u32_e32 v64, vcc_lo, 0, v65, vcc_lo
	s_delay_alu instid0(VALU_DEP_2) | instskip(NEXT) | instid1(VALU_DEP_2)
	v_add_co_u32 v4, vcc_lo, v4, v51
	v_add_co_ci_u32_e32 v50, vcc_lo, v50, v64, vcc_lo
	s_delay_alu instid0(VALU_DEP_2) | instskip(SKIP_1) | instid1(VALU_DEP_3)
	v_mul_hi_u32 v51, s9, v4
	v_mul_lo_u32 v65, s25, v4
	v_mul_lo_u32 v64, s9, v50
	s_delay_alu instid0(VALU_DEP_1) | instskip(SKIP_1) | instid1(VALU_DEP_2)
	v_add_nc_u32_e32 v51, v51, v64
	v_mul_lo_u32 v64, s9, v4
	v_add_nc_u32_e32 v51, v51, v65
	s_delay_alu instid0(VALU_DEP_2) | instskip(NEXT) | instid1(VALU_DEP_2)
	v_mul_hi_u32 v65, v4, v64
	v_mul_lo_u32 v66, v4, v51
	v_mul_hi_u32 v67, v4, v51
	v_mul_hi_u32 v69, v50, v64
	v_mul_lo_u32 v64, v50, v64
	v_mul_hi_u32 v70, v50, v51
	v_mul_lo_u32 v51, v50, v51
	v_add_co_u32 v65, vcc_lo, v65, v66
	v_add_co_ci_u32_e32 v66, vcc_lo, 0, v67, vcc_lo
	s_delay_alu instid0(VALU_DEP_2) | instskip(NEXT) | instid1(VALU_DEP_2)
	v_add_co_u32 v64, vcc_lo, v65, v64
	v_add_co_ci_u32_e32 v64, vcc_lo, v66, v69, vcc_lo
	v_add_co_ci_u32_e32 v65, vcc_lo, 0, v70, vcc_lo
	v_add_co_u32 v66, vcc_lo, v62, v68
	v_add_co_ci_u32_e32 v63, vcc_lo, v63, v68, vcc_lo
	s_delay_alu instid0(VALU_DEP_4) | instskip(NEXT) | instid1(VALU_DEP_4)
	v_add_co_u32 v51, vcc_lo, v64, v51
	v_add_co_ci_u32_e32 v64, vcc_lo, 0, v65, vcc_lo
	s_delay_alu instid0(VALU_DEP_4) | instskip(NEXT) | instid1(VALU_DEP_3)
	v_xor_b32_e32 v67, v66, v68
	v_add_co_u32 v4, vcc_lo, v4, v51
	s_delay_alu instid0(VALU_DEP_3) | instskip(SKIP_1) | instid1(VALU_DEP_3)
	v_add_co_ci_u32_e32 v69, vcc_lo, v50, v64, vcc_lo
	v_xor_b32_e32 v70, v63, v68
	v_mul_hi_u32 v71, v67, v4
	s_delay_alu instid0(VALU_DEP_3) | instskip(NEXT) | instid1(VALU_DEP_3)
	v_mad_u64_u32 v[50:51], null, v67, v69, 0
	v_mad_u64_u32 v[63:64], null, v70, v4, 0
	;; [unrolled: 1-line block ×3, first 2 shown]
	s_delay_alu instid0(VALU_DEP_3) | instskip(NEXT) | instid1(VALU_DEP_4)
	v_add_co_u32 v4, vcc_lo, v71, v50
	v_add_co_ci_u32_e32 v50, vcc_lo, 0, v51, vcc_lo
	s_delay_alu instid0(VALU_DEP_2) | instskip(NEXT) | instid1(VALU_DEP_2)
	v_add_co_u32 v4, vcc_lo, v4, v63
	v_add_co_ci_u32_e32 v4, vcc_lo, v50, v64, vcc_lo
	v_add_co_ci_u32_e32 v50, vcc_lo, 0, v66, vcc_lo
	s_delay_alu instid0(VALU_DEP_2) | instskip(NEXT) | instid1(VALU_DEP_2)
	v_add_co_u32 v4, vcc_lo, v4, v65
	v_add_co_ci_u32_e32 v63, vcc_lo, 0, v50, vcc_lo
	s_delay_alu instid0(VALU_DEP_2) | instskip(SKIP_1) | instid1(VALU_DEP_3)
	v_mul_lo_u32 v64, s27, v4
	v_mad_u64_u32 v[50:51], null, s26, v4, 0
	v_mul_lo_u32 v65, s26, v63
	s_delay_alu instid0(VALU_DEP_2) | instskip(NEXT) | instid1(VALU_DEP_2)
	v_sub_co_u32 v50, vcc_lo, v67, v50
	v_add3_u32 v51, v51, v65, v64
	s_delay_alu instid0(VALU_DEP_1) | instskip(NEXT) | instid1(VALU_DEP_1)
	v_sub_nc_u32_e32 v64, v70, v51
	v_subrev_co_ci_u32_e64 v64, s9, s27, v64, vcc_lo
	v_add_co_u32 v65, s9, v4, 2
	s_delay_alu instid0(VALU_DEP_1) | instskip(SKIP_3) | instid1(VALU_DEP_3)
	v_add_co_ci_u32_e64 v66, s9, 0, v63, s9
	v_sub_co_u32 v67, s9, v50, s26
	v_sub_co_ci_u32_e32 v51, vcc_lo, v70, v51, vcc_lo
	v_subrev_co_ci_u32_e64 v64, s9, 0, v64, s9
	v_cmp_le_u32_e32 vcc_lo, s26, v67
	s_delay_alu instid0(VALU_DEP_3) | instskip(SKIP_1) | instid1(VALU_DEP_4)
	v_cmp_eq_u32_e64 s9, s27, v51
	v_cndmask_b32_e64 v67, 0, -1, vcc_lo
	v_cmp_le_u32_e32 vcc_lo, s27, v64
	v_cndmask_b32_e64 v69, 0, -1, vcc_lo
	v_cmp_le_u32_e32 vcc_lo, s26, v50
	;; [unrolled: 2-line block ×3, first 2 shown]
	v_cndmask_b32_e64 v70, 0, -1, vcc_lo
	v_cmp_eq_u32_e32 vcc_lo, s27, v64
	s_delay_alu instid0(VALU_DEP_2) | instskip(SKIP_3) | instid1(VALU_DEP_3)
	v_cndmask_b32_e64 v50, v70, v50, s9
	v_cndmask_b32_e32 v64, v69, v67, vcc_lo
	v_add_co_u32 v67, vcc_lo, v4, 1
	v_add_co_ci_u32_e32 v69, vcc_lo, 0, v63, vcc_lo
	v_cmp_ne_u32_e32 vcc_lo, 0, v64
	s_delay_alu instid0(VALU_DEP_2) | instskip(SKIP_2) | instid1(VALU_DEP_3)
	v_dual_cndmask_b32 v51, v69, v66 :: v_dual_cndmask_b32 v64, v67, v65
	v_cmp_ne_u32_e32 vcc_lo, 0, v50
	v_xor_b32_e32 v65, s24, v68
	v_cndmask_b32_e32 v4, v4, v64, vcc_lo
	s_delay_alu instid0(VALU_DEP_4) | instskip(NEXT) | instid1(VALU_DEP_2)
	v_cndmask_b32_e32 v50, v63, v51, vcc_lo
	v_xor_b32_e32 v4, v4, v65
	s_delay_alu instid0(VALU_DEP_2) | instskip(NEXT) | instid1(VALU_DEP_2)
	v_xor_b32_e32 v51, v50, v65
	v_sub_co_u32 v50, vcc_lo, v4, v65
	s_delay_alu instid0(VALU_DEP_2)
	v_sub_co_ci_u32_e32 v51, vcc_lo, v51, v65, vcc_lo
.LBB106_12:                             ;   in Loop: Header=BB106_10 Depth=2
	s_and_not1_saveexec_b32 s9, s52
	s_cbranch_execz .LBB106_14
; %bb.13:                               ;   in Loop: Header=BB106_10 Depth=2
	v_cvt_f32_u32_e32 v4, s14
	s_sub_i32 s24, 0, s14
	s_delay_alu instid0(VALU_DEP_1) | instskip(SKIP_2) | instid1(VALU_DEP_1)
	v_rcp_iflag_f32_e32 v4, v4
	s_waitcnt_depctr 0xfff
	v_mul_f32_e32 v4, 0x4f7ffffe, v4
	v_cvt_u32_f32_e32 v4, v4
	s_delay_alu instid0(VALU_DEP_1) | instskip(NEXT) | instid1(VALU_DEP_1)
	v_mul_lo_u32 v50, s24, v4
	v_mul_hi_u32 v50, v4, v50
	s_delay_alu instid0(VALU_DEP_1) | instskip(NEXT) | instid1(VALU_DEP_1)
	v_add_nc_u32_e32 v4, v4, v50
	v_mul_hi_u32 v4, v62, v4
	s_delay_alu instid0(VALU_DEP_1) | instskip(NEXT) | instid1(VALU_DEP_1)
	v_mul_lo_u32 v50, v4, s14
	v_sub_nc_u32_e32 v50, v62, v50
	s_delay_alu instid0(VALU_DEP_1) | instskip(SKIP_1) | instid1(VALU_DEP_2)
	v_subrev_nc_u32_e32 v63, s14, v50
	v_cmp_le_u32_e32 vcc_lo, s14, v50
	v_dual_cndmask_b32 v50, v50, v63 :: v_dual_add_nc_u32 v51, 1, v4
	s_delay_alu instid0(VALU_DEP_1) | instskip(NEXT) | instid1(VALU_DEP_2)
	v_cndmask_b32_e32 v4, v4, v51, vcc_lo
	v_cmp_le_u32_e32 vcc_lo, s14, v50
	s_delay_alu instid0(VALU_DEP_2) | instskip(NEXT) | instid1(VALU_DEP_1)
	v_add_nc_u32_e32 v51, 1, v4
	v_dual_cndmask_b32 v50, v4, v51 :: v_dual_mov_b32 v51, v3
.LBB106_14:                             ;   in Loop: Header=BB106_10 Depth=2
	s_or_b32 exec_lo, exec_lo, s9
	s_delay_alu instid0(VALU_DEP_1)
	v_cmp_eq_u64_e32 vcc_lo, s[10:11], v[50:51]
	s_mov_b32 s24, exec_lo
	v_cmpx_ne_u64_e64 s[10:11], v[50:51]
	s_xor_b32 s24, exec_lo, s24
; %bb.15:                               ;   in Loop: Header=BB106_10 Depth=2
	v_cmp_lt_i64_e64 s9, v[50:51], v[42:43]
                                        ; implicit-def: $vgpr62
                                        ; implicit-def: $vgpr48_vgpr49
	s_delay_alu instid0(VALU_DEP_1)
	v_cndmask_b32_e64 v43, v43, v51, s9
	v_cndmask_b32_e64 v42, v42, v50, s9
; %bb.16:                               ;   in Loop: Header=BB106_10 Depth=2
	s_or_saveexec_b32 s9, s24
	v_dual_mov_b32 v51, v41 :: v_dual_mov_b32 v50, v40
	s_xor_b32 exec_lo, exec_lo, s9
	s_cbranch_execz .LBB106_9
; %bb.17:                               ;   in Loop: Header=BB106_10 Depth=2
	global_load_b64 v[63:64], v[44:45], off
	v_subrev_nc_u32_e32 v4, s51, v62
	v_dual_mov_b32 v51, v49 :: v_dual_mov_b32 v50, v48
	s_delay_alu instid0(VALU_DEP_2)
	v_add_lshl_u32 v4, v52, v4, 3
	ds_store_b8 v3, v61 offset:32768
	s_waitcnt vmcnt(0)
	ds_store_b64 v4, v[63:64]
	s_branch .LBB106_9
.LBB106_18:                             ;   in Loop: Header=BB106_7 Depth=1
	s_or_b32 exec_lo, exec_lo, s50
.LBB106_19:                             ;   in Loop: Header=BB106_7 Depth=1
	s_delay_alu instid0(SALU_CYCLE_1)
	s_or_b32 exec_lo, exec_lo, s49
	ds_bpermute_b32 v40, v54, v50
	ds_bpermute_b32 v41, v54, v51
	s_waitcnt lgkmcnt(0)
	s_barrier
	buffer_gl0_inv
	ds_load_u8 v4, v3 offset:32768
	s_mov_b64 s[24:25], 0
	v_cmp_lt_i64_e32 vcc_lo, v[40:41], v[50:51]
	v_dual_cndmask_b32 v41, v51, v41 :: v_dual_cndmask_b32 v40, v50, v40
	ds_bpermute_b32 v45, v55, v41
	ds_bpermute_b32 v44, v55, v40
	s_waitcnt lgkmcnt(0)
	v_cmp_lt_i64_e32 vcc_lo, v[44:45], v[40:41]
	v_dual_cndmask_b32 v41, v41, v45 :: v_dual_cndmask_b32 v40, v40, v44
	v_cmp_eq_u32_e32 vcc_lo, 0, v4
	ds_bpermute_b32 v41, v53, v41
	ds_bpermute_b32 v40, v53, v40
	s_cbranch_vccnz .LBB106_38
; %bb.20:                               ;   in Loop: Header=BB106_7 Depth=1
	s_add_u32 s10, s10, s29
	s_addc_u32 s11, s11, 0
	s_lshl_b64 s[24:25], s[22:23], 3
	s_mul_i32 s9, s30, s23
	s_mul_hi_u32 s26, s30, s22
	s_add_u32 s24, s16, s24
	s_addc_u32 s25, s17, s25
	s_add_i32 s9, s26, s9
	s_mul_i32 s26, s31, s22
	v_dual_mov_b32 v48, s11 :: v_dual_mov_b32 v47, s10
	s_add_i32 s27, s9, s26
	s_mul_i32 s26, s30, s22
	s_delay_alu instid0(SALU_CYCLE_1)
	s_lshl_b64 s[10:11], s[26:27], 3
	global_store_b64 v3, v[47:48], s[24:25]
	v_add_co_u32 v4, vcc_lo, v56, s10
	v_add_co_ci_u32_e32 v44, vcc_lo, s11, v57, vcc_lo
	v_add_co_u32 v45, vcc_lo, v58, s10
	v_add_co_ci_u32_e32 v46, vcc_lo, s11, v59, vcc_lo
	s_and_saveexec_b32 s9, s33
	s_cbranch_execnz .LBB106_54
; %bb.21:                               ;   in Loop: Header=BB106_7 Depth=1
	s_or_b32 exec_lo, exec_lo, s9
	s_and_saveexec_b32 s9, s34
	s_cbranch_execnz .LBB106_55
.LBB106_22:                             ;   in Loop: Header=BB106_7 Depth=1
	s_or_b32 exec_lo, exec_lo, s9
	s_and_saveexec_b32 s9, s35
	s_cbranch_execnz .LBB106_56
.LBB106_23:                             ;   in Loop: Header=BB106_7 Depth=1
	s_or_b32 exec_lo, exec_lo, s9
	s_and_saveexec_b32 s9, s36
	s_cbranch_execnz .LBB106_57
.LBB106_24:                             ;   in Loop: Header=BB106_7 Depth=1
	s_or_b32 exec_lo, exec_lo, s9
	s_and_saveexec_b32 s9, s37
	s_cbranch_execnz .LBB106_58
.LBB106_25:                             ;   in Loop: Header=BB106_7 Depth=1
	s_or_b32 exec_lo, exec_lo, s9
	s_and_saveexec_b32 s9, s38
	s_cbranch_execnz .LBB106_59
.LBB106_26:                             ;   in Loop: Header=BB106_7 Depth=1
	s_or_b32 exec_lo, exec_lo, s9
	s_and_saveexec_b32 s9, s39
	s_cbranch_execnz .LBB106_60
.LBB106_27:                             ;   in Loop: Header=BB106_7 Depth=1
	s_or_b32 exec_lo, exec_lo, s9
	s_and_saveexec_b32 s9, s40
	s_cbranch_execnz .LBB106_61
.LBB106_28:                             ;   in Loop: Header=BB106_7 Depth=1
	s_or_b32 exec_lo, exec_lo, s9
	s_and_saveexec_b32 s9, s41
	s_cbranch_execnz .LBB106_62
.LBB106_29:                             ;   in Loop: Header=BB106_7 Depth=1
	s_or_b32 exec_lo, exec_lo, s9
	s_and_saveexec_b32 s9, s42
	s_cbranch_execnz .LBB106_63
.LBB106_30:                             ;   in Loop: Header=BB106_7 Depth=1
	s_or_b32 exec_lo, exec_lo, s9
	s_and_saveexec_b32 s9, s43
	s_cbranch_execnz .LBB106_64
.LBB106_31:                             ;   in Loop: Header=BB106_7 Depth=1
	s_or_b32 exec_lo, exec_lo, s9
	s_and_saveexec_b32 s9, s44
	s_cbranch_execnz .LBB106_65
.LBB106_32:                             ;   in Loop: Header=BB106_7 Depth=1
	s_or_b32 exec_lo, exec_lo, s9
	s_and_saveexec_b32 s9, s45
	s_cbranch_execnz .LBB106_66
.LBB106_33:                             ;   in Loop: Header=BB106_7 Depth=1
	s_or_b32 exec_lo, exec_lo, s9
	s_and_saveexec_b32 s9, s46
	s_cbranch_execnz .LBB106_67
.LBB106_34:                             ;   in Loop: Header=BB106_7 Depth=1
	s_or_b32 exec_lo, exec_lo, s9
	s_and_saveexec_b32 s9, s47
	s_cbranch_execnz .LBB106_68
.LBB106_35:                             ;   in Loop: Header=BB106_7 Depth=1
	s_or_b32 exec_lo, exec_lo, s9
	s_and_saveexec_b32 s9, s48
	s_cbranch_execz .LBB106_37
.LBB106_36:                             ;   in Loop: Header=BB106_7 Depth=1
	ds_load_b64 v[47:48], v0 offset:480
	v_add_co_u32 v49, vcc_lo, 0x1e0, v45
	v_add_co_ci_u32_e32 v45, vcc_lo, 0, v46, vcc_lo
	v_add_co_u32 v4, vcc_lo, v4, v38
	v_add_co_ci_u32_e32 v44, vcc_lo, v44, v39, vcc_lo
	s_delay_alu instid0(VALU_DEP_1) | instskip(NEXT) | instid1(VALU_DEP_3)
	v_cndmask_b32_e64 v45, v44, v45, s0
	v_cndmask_b32_e64 v44, v4, v49, s0
	s_waitcnt lgkmcnt(0)
	global_store_b64 v[44:45], v[47:48], off
.LBB106_37:                             ;   in Loop: Header=BB106_7 Depth=1
	s_or_b32 exec_lo, exec_lo, s9
	s_mov_b64 s[24:25], 1
.LBB106_38:                             ;   in Loop: Header=BB106_7 Depth=1
	s_waitcnt lgkmcnt(0)
	s_waitcnt_vscnt null, 0x0
	s_barrier
	buffer_gl0_inv
	ds_store_b64 v60, v[42:43]
	s_waitcnt lgkmcnt(0)
	s_barrier
	buffer_gl0_inv
	s_and_saveexec_b32 s9, s1
	s_cbranch_execz .LBB106_40
; %bb.39:                               ;   in Loop: Header=BB106_7 Depth=1
	ds_load_2addr_stride64_b64 v[42:45], v60 offset1:2
	s_waitcnt lgkmcnt(0)
	v_cmp_lt_i64_e32 vcc_lo, v[44:45], v[42:43]
	v_dual_cndmask_b32 v43, v43, v45 :: v_dual_cndmask_b32 v42, v42, v44
	ds_store_b64 v60, v[42:43]
.LBB106_40:                             ;   in Loop: Header=BB106_7 Depth=1
	s_or_b32 exec_lo, exec_lo, s9
	s_waitcnt lgkmcnt(0)
	s_barrier
	buffer_gl0_inv
	s_and_saveexec_b32 s9, s2
	s_cbranch_execz .LBB106_42
; %bb.41:                               ;   in Loop: Header=BB106_7 Depth=1
	ds_load_2addr_stride64_b64 v[42:45], v60 offset1:1
	s_waitcnt lgkmcnt(0)
	v_cmp_lt_i64_e32 vcc_lo, v[44:45], v[42:43]
	v_dual_cndmask_b32 v43, v43, v45 :: v_dual_cndmask_b32 v42, v42, v44
	ds_store_b64 v60, v[42:43]
.LBB106_42:                             ;   in Loop: Header=BB106_7 Depth=1
	s_or_b32 exec_lo, exec_lo, s9
	s_waitcnt lgkmcnt(0)
	s_barrier
	buffer_gl0_inv
	s_and_saveexec_b32 s9, s3
	s_cbranch_execz .LBB106_44
; %bb.43:                               ;   in Loop: Header=BB106_7 Depth=1
	ds_load_2addr_b64 v[42:45], v60 offset1:32
	s_waitcnt lgkmcnt(0)
	v_cmp_lt_i64_e32 vcc_lo, v[44:45], v[42:43]
	v_dual_cndmask_b32 v43, v43, v45 :: v_dual_cndmask_b32 v42, v42, v44
	ds_store_b64 v60, v[42:43]
.LBB106_44:                             ;   in Loop: Header=BB106_7 Depth=1
	s_or_b32 exec_lo, exec_lo, s9
	s_waitcnt lgkmcnt(0)
	s_barrier
	buffer_gl0_inv
	s_and_saveexec_b32 s9, s4
	s_cbranch_execz .LBB106_46
; %bb.45:                               ;   in Loop: Header=BB106_7 Depth=1
	ds_load_2addr_b64 v[42:45], v60 offset1:16
	s_waitcnt lgkmcnt(0)
	v_cmp_lt_i64_e32 vcc_lo, v[44:45], v[42:43]
	v_dual_cndmask_b32 v43, v43, v45 :: v_dual_cndmask_b32 v42, v42, v44
	ds_store_b64 v60, v[42:43]
.LBB106_46:                             ;   in Loop: Header=BB106_7 Depth=1
	;; [unrolled: 13-line block ×5, first 2 shown]
	s_or_b32 exec_lo, exec_lo, s9
	s_waitcnt lgkmcnt(0)
	s_barrier
	buffer_gl0_inv
	s_and_saveexec_b32 s9, s8
	s_cbranch_execz .LBB106_6
; %bb.53:                               ;   in Loop: Header=BB106_7 Depth=1
	ds_load_b128 v[42:45], v3
	s_waitcnt lgkmcnt(0)
	v_cmp_lt_i64_e32 vcc_lo, v[44:45], v[42:43]
	v_dual_cndmask_b32 v43, v43, v45 :: v_dual_cndmask_b32 v42, v42, v44
	ds_store_b64 v3, v[42:43]
	s_branch .LBB106_6
.LBB106_54:                             ;   in Loop: Header=BB106_7 Depth=1
	ds_load_b64 v[47:48], v0
	v_add_co_u32 v49, vcc_lo, v4, v8
	v_add_co_ci_u32_e32 v50, vcc_lo, v44, v9, vcc_lo
	s_delay_alu instid0(VALU_DEP_2) | instskip(NEXT) | instid1(VALU_DEP_2)
	v_cndmask_b32_e64 v49, v49, v45, s0
	v_cndmask_b32_e64 v50, v50, v46, s0
	s_waitcnt lgkmcnt(0)
	global_store_b64 v[49:50], v[47:48], off
	s_or_b32 exec_lo, exec_lo, s9
	s_and_saveexec_b32 s9, s34
	s_cbranch_execz .LBB106_22
.LBB106_55:                             ;   in Loop: Header=BB106_7 Depth=1
	ds_load_b64 v[47:48], v0 offset:32
	v_add_co_u32 v49, vcc_lo, v45, 32
	v_add_co_ci_u32_e32 v50, vcc_lo, 0, v46, vcc_lo
	v_add_co_u32 v51, vcc_lo, v4, v10
	v_add_co_ci_u32_e32 v62, vcc_lo, v44, v11, vcc_lo
	s_delay_alu instid0(VALU_DEP_2) | instskip(NEXT) | instid1(VALU_DEP_2)
	v_cndmask_b32_e64 v49, v51, v49, s0
	v_cndmask_b32_e64 v50, v62, v50, s0
	s_waitcnt lgkmcnt(0)
	global_store_b64 v[49:50], v[47:48], off
	s_or_b32 exec_lo, exec_lo, s9
	s_and_saveexec_b32 s9, s35
	s_cbranch_execz .LBB106_23
.LBB106_56:                             ;   in Loop: Header=BB106_7 Depth=1
	ds_load_b64 v[47:48], v0 offset:64
	v_add_co_u32 v49, vcc_lo, v45, 64
	v_add_co_ci_u32_e32 v50, vcc_lo, 0, v46, vcc_lo
	v_add_co_u32 v51, vcc_lo, v4, v12
	v_add_co_ci_u32_e32 v62, vcc_lo, v44, v13, vcc_lo
	s_delay_alu instid0(VALU_DEP_2) | instskip(NEXT) | instid1(VALU_DEP_2)
	v_cndmask_b32_e64 v49, v51, v49, s0
	v_cndmask_b32_e64 v50, v62, v50, s0
	s_waitcnt lgkmcnt(0)
	global_store_b64 v[49:50], v[47:48], off
	s_or_b32 exec_lo, exec_lo, s9
	s_and_saveexec_b32 s9, s36
	s_cbranch_execz .LBB106_24
.LBB106_57:                             ;   in Loop: Header=BB106_7 Depth=1
	ds_load_b64 v[47:48], v0 offset:96
	v_add_co_u32 v49, vcc_lo, 0x60, v45
	v_add_co_ci_u32_e32 v50, vcc_lo, 0, v46, vcc_lo
	v_add_co_u32 v51, vcc_lo, v4, v14
	v_add_co_ci_u32_e32 v62, vcc_lo, v44, v15, vcc_lo
	s_delay_alu instid0(VALU_DEP_2) | instskip(NEXT) | instid1(VALU_DEP_2)
	v_cndmask_b32_e64 v49, v51, v49, s0
	v_cndmask_b32_e64 v50, v62, v50, s0
	s_waitcnt lgkmcnt(0)
	global_store_b64 v[49:50], v[47:48], off
	s_or_b32 exec_lo, exec_lo, s9
	s_and_saveexec_b32 s9, s37
	s_cbranch_execz .LBB106_25
.LBB106_58:                             ;   in Loop: Header=BB106_7 Depth=1
	ds_load_b64 v[47:48], v0 offset:128
	v_add_co_u32 v49, vcc_lo, 0x80, v45
	v_add_co_ci_u32_e32 v50, vcc_lo, 0, v46, vcc_lo
	v_add_co_u32 v51, vcc_lo, v4, v16
	v_add_co_ci_u32_e32 v62, vcc_lo, v44, v17, vcc_lo
	s_delay_alu instid0(VALU_DEP_2) | instskip(NEXT) | instid1(VALU_DEP_2)
	v_cndmask_b32_e64 v49, v51, v49, s0
	v_cndmask_b32_e64 v50, v62, v50, s0
	s_waitcnt lgkmcnt(0)
	global_store_b64 v[49:50], v[47:48], off
	s_or_b32 exec_lo, exec_lo, s9
	s_and_saveexec_b32 s9, s38
	s_cbranch_execz .LBB106_26
.LBB106_59:                             ;   in Loop: Header=BB106_7 Depth=1
	ds_load_b64 v[47:48], v0 offset:160
	v_add_co_u32 v49, vcc_lo, 0xa0, v45
	v_add_co_ci_u32_e32 v50, vcc_lo, 0, v46, vcc_lo
	v_add_co_u32 v51, vcc_lo, v4, v18
	v_add_co_ci_u32_e32 v62, vcc_lo, v44, v19, vcc_lo
	s_delay_alu instid0(VALU_DEP_2) | instskip(NEXT) | instid1(VALU_DEP_2)
	v_cndmask_b32_e64 v49, v51, v49, s0
	v_cndmask_b32_e64 v50, v62, v50, s0
	s_waitcnt lgkmcnt(0)
	global_store_b64 v[49:50], v[47:48], off
	s_or_b32 exec_lo, exec_lo, s9
	s_and_saveexec_b32 s9, s39
	s_cbranch_execz .LBB106_27
.LBB106_60:                             ;   in Loop: Header=BB106_7 Depth=1
	ds_load_b64 v[47:48], v0 offset:192
	v_add_co_u32 v49, vcc_lo, 0xc0, v45
	v_add_co_ci_u32_e32 v50, vcc_lo, 0, v46, vcc_lo
	v_add_co_u32 v51, vcc_lo, v4, v20
	v_add_co_ci_u32_e32 v62, vcc_lo, v44, v21, vcc_lo
	s_delay_alu instid0(VALU_DEP_2) | instskip(NEXT) | instid1(VALU_DEP_2)
	v_cndmask_b32_e64 v49, v51, v49, s0
	v_cndmask_b32_e64 v50, v62, v50, s0
	s_waitcnt lgkmcnt(0)
	global_store_b64 v[49:50], v[47:48], off
	s_or_b32 exec_lo, exec_lo, s9
	s_and_saveexec_b32 s9, s40
	s_cbranch_execz .LBB106_28
.LBB106_61:                             ;   in Loop: Header=BB106_7 Depth=1
	ds_load_b64 v[47:48], v0 offset:224
	v_add_co_u32 v49, vcc_lo, 0xe0, v45
	v_add_co_ci_u32_e32 v50, vcc_lo, 0, v46, vcc_lo
	v_add_co_u32 v51, vcc_lo, v4, v22
	v_add_co_ci_u32_e32 v62, vcc_lo, v44, v23, vcc_lo
	s_delay_alu instid0(VALU_DEP_2) | instskip(NEXT) | instid1(VALU_DEP_2)
	v_cndmask_b32_e64 v49, v51, v49, s0
	v_cndmask_b32_e64 v50, v62, v50, s0
	s_waitcnt lgkmcnt(0)
	global_store_b64 v[49:50], v[47:48], off
	s_or_b32 exec_lo, exec_lo, s9
	s_and_saveexec_b32 s9, s41
	s_cbranch_execz .LBB106_29
.LBB106_62:                             ;   in Loop: Header=BB106_7 Depth=1
	ds_load_b64 v[47:48], v0 offset:256
	v_add_co_u32 v49, vcc_lo, 0x100, v45
	v_add_co_ci_u32_e32 v50, vcc_lo, 0, v46, vcc_lo
	v_add_co_u32 v51, vcc_lo, v4, v24
	v_add_co_ci_u32_e32 v62, vcc_lo, v44, v25, vcc_lo
	s_delay_alu instid0(VALU_DEP_2) | instskip(NEXT) | instid1(VALU_DEP_2)
	v_cndmask_b32_e64 v49, v51, v49, s0
	v_cndmask_b32_e64 v50, v62, v50, s0
	s_waitcnt lgkmcnt(0)
	global_store_b64 v[49:50], v[47:48], off
	s_or_b32 exec_lo, exec_lo, s9
	s_and_saveexec_b32 s9, s42
	s_cbranch_execz .LBB106_30
.LBB106_63:                             ;   in Loop: Header=BB106_7 Depth=1
	ds_load_b64 v[47:48], v0 offset:288
	v_add_co_u32 v49, vcc_lo, 0x120, v45
	v_add_co_ci_u32_e32 v50, vcc_lo, 0, v46, vcc_lo
	v_add_co_u32 v51, vcc_lo, v4, v26
	v_add_co_ci_u32_e32 v62, vcc_lo, v44, v27, vcc_lo
	s_delay_alu instid0(VALU_DEP_2) | instskip(NEXT) | instid1(VALU_DEP_2)
	v_cndmask_b32_e64 v49, v51, v49, s0
	v_cndmask_b32_e64 v50, v62, v50, s0
	s_waitcnt lgkmcnt(0)
	global_store_b64 v[49:50], v[47:48], off
	s_or_b32 exec_lo, exec_lo, s9
	s_and_saveexec_b32 s9, s43
	s_cbranch_execz .LBB106_31
.LBB106_64:                             ;   in Loop: Header=BB106_7 Depth=1
	ds_load_b64 v[47:48], v0 offset:320
	v_add_co_u32 v49, vcc_lo, 0x140, v45
	v_add_co_ci_u32_e32 v50, vcc_lo, 0, v46, vcc_lo
	v_add_co_u32 v51, vcc_lo, v4, v28
	v_add_co_ci_u32_e32 v62, vcc_lo, v44, v29, vcc_lo
	s_delay_alu instid0(VALU_DEP_2) | instskip(NEXT) | instid1(VALU_DEP_2)
	v_cndmask_b32_e64 v49, v51, v49, s0
	v_cndmask_b32_e64 v50, v62, v50, s0
	s_waitcnt lgkmcnt(0)
	global_store_b64 v[49:50], v[47:48], off
	s_or_b32 exec_lo, exec_lo, s9
	s_and_saveexec_b32 s9, s44
	s_cbranch_execz .LBB106_32
.LBB106_65:                             ;   in Loop: Header=BB106_7 Depth=1
	ds_load_b64 v[47:48], v0 offset:352
	v_add_co_u32 v49, vcc_lo, 0x160, v45
	v_add_co_ci_u32_e32 v50, vcc_lo, 0, v46, vcc_lo
	v_add_co_u32 v51, vcc_lo, v4, v30
	v_add_co_ci_u32_e32 v62, vcc_lo, v44, v31, vcc_lo
	s_delay_alu instid0(VALU_DEP_2) | instskip(NEXT) | instid1(VALU_DEP_2)
	v_cndmask_b32_e64 v49, v51, v49, s0
	v_cndmask_b32_e64 v50, v62, v50, s0
	s_waitcnt lgkmcnt(0)
	global_store_b64 v[49:50], v[47:48], off
	s_or_b32 exec_lo, exec_lo, s9
	s_and_saveexec_b32 s9, s45
	s_cbranch_execz .LBB106_33
.LBB106_66:                             ;   in Loop: Header=BB106_7 Depth=1
	ds_load_b64 v[47:48], v0 offset:384
	v_add_co_u32 v49, vcc_lo, 0x180, v45
	v_add_co_ci_u32_e32 v50, vcc_lo, 0, v46, vcc_lo
	v_add_co_u32 v51, vcc_lo, v4, v32
	v_add_co_ci_u32_e32 v62, vcc_lo, v44, v33, vcc_lo
	s_delay_alu instid0(VALU_DEP_2) | instskip(NEXT) | instid1(VALU_DEP_2)
	v_cndmask_b32_e64 v49, v51, v49, s0
	v_cndmask_b32_e64 v50, v62, v50, s0
	s_waitcnt lgkmcnt(0)
	global_store_b64 v[49:50], v[47:48], off
	s_or_b32 exec_lo, exec_lo, s9
	s_and_saveexec_b32 s9, s46
	s_cbranch_execz .LBB106_34
.LBB106_67:                             ;   in Loop: Header=BB106_7 Depth=1
	ds_load_b64 v[47:48], v0 offset:416
	v_add_co_u32 v49, vcc_lo, 0x1a0, v45
	v_add_co_ci_u32_e32 v50, vcc_lo, 0, v46, vcc_lo
	v_add_co_u32 v51, vcc_lo, v4, v34
	v_add_co_ci_u32_e32 v62, vcc_lo, v44, v35, vcc_lo
	s_delay_alu instid0(VALU_DEP_2) | instskip(NEXT) | instid1(VALU_DEP_2)
	v_cndmask_b32_e64 v49, v51, v49, s0
	v_cndmask_b32_e64 v50, v62, v50, s0
	s_waitcnt lgkmcnt(0)
	global_store_b64 v[49:50], v[47:48], off
	s_or_b32 exec_lo, exec_lo, s9
	s_and_saveexec_b32 s9, s47
	s_cbranch_execz .LBB106_35
.LBB106_68:                             ;   in Loop: Header=BB106_7 Depth=1
	ds_load_b64 v[47:48], v0 offset:448
	v_add_co_u32 v49, vcc_lo, 0x1c0, v45
	v_add_co_ci_u32_e32 v50, vcc_lo, 0, v46, vcc_lo
	v_add_co_u32 v51, vcc_lo, v4, v36
	v_add_co_ci_u32_e32 v62, vcc_lo, v44, v37, vcc_lo
	s_delay_alu instid0(VALU_DEP_2) | instskip(NEXT) | instid1(VALU_DEP_2)
	v_cndmask_b32_e64 v49, v51, v49, s0
	v_cndmask_b32_e64 v50, v62, v50, s0
	s_waitcnt lgkmcnt(0)
	global_store_b64 v[49:50], v[47:48], off
	s_or_b32 exec_lo, exec_lo, s9
	s_and_saveexec_b32 s9, s48
	s_cbranch_execnz .LBB106_36
	s_branch .LBB106_37
.LBB106_69:
	s_endpgm
	.section	.rodata,"a",@progbits
	.p2align	6, 0x0
	.amdhsa_kernel _ZN9rocsparseL38csr2bsr_block_per_row_multipass_kernelILj256ELj64E21rocsparse_complex_numIfEllEEv20rocsparse_direction_T3_S4_S4_S4_S4_21rocsparse_index_base_PKT1_PKT2_PKS4_S5_PS6_PS9_PS4_
		.amdhsa_group_segment_fixed_size 32772
		.amdhsa_private_segment_fixed_size 0
		.amdhsa_kernarg_size 112
		.amdhsa_user_sgpr_count 15
		.amdhsa_user_sgpr_dispatch_ptr 0
		.amdhsa_user_sgpr_queue_ptr 0
		.amdhsa_user_sgpr_kernarg_segment_ptr 1
		.amdhsa_user_sgpr_dispatch_id 0
		.amdhsa_user_sgpr_private_segment_size 0
		.amdhsa_wavefront_size32 1
		.amdhsa_uses_dynamic_stack 0
		.amdhsa_enable_private_segment 0
		.amdhsa_system_sgpr_workgroup_id_x 1
		.amdhsa_system_sgpr_workgroup_id_y 0
		.amdhsa_system_sgpr_workgroup_id_z 0
		.amdhsa_system_sgpr_workgroup_info 0
		.amdhsa_system_vgpr_workitem_id 0
		.amdhsa_next_free_vgpr 72
		.amdhsa_next_free_sgpr 53
		.amdhsa_reserve_vcc 1
		.amdhsa_float_round_mode_32 0
		.amdhsa_float_round_mode_16_64 0
		.amdhsa_float_denorm_mode_32 3
		.amdhsa_float_denorm_mode_16_64 3
		.amdhsa_dx10_clamp 1
		.amdhsa_ieee_mode 1
		.amdhsa_fp16_overflow 0
		.amdhsa_workgroup_processor_mode 1
		.amdhsa_memory_ordered 1
		.amdhsa_forward_progress 0
		.amdhsa_shared_vgpr_count 0
		.amdhsa_exception_fp_ieee_invalid_op 0
		.amdhsa_exception_fp_denorm_src 0
		.amdhsa_exception_fp_ieee_div_zero 0
		.amdhsa_exception_fp_ieee_overflow 0
		.amdhsa_exception_fp_ieee_underflow 0
		.amdhsa_exception_fp_ieee_inexact 0
		.amdhsa_exception_int_div_zero 0
	.end_amdhsa_kernel
	.section	.text._ZN9rocsparseL38csr2bsr_block_per_row_multipass_kernelILj256ELj64E21rocsparse_complex_numIfEllEEv20rocsparse_direction_T3_S4_S4_S4_S4_21rocsparse_index_base_PKT1_PKT2_PKS4_S5_PS6_PS9_PS4_,"axG",@progbits,_ZN9rocsparseL38csr2bsr_block_per_row_multipass_kernelILj256ELj64E21rocsparse_complex_numIfEllEEv20rocsparse_direction_T3_S4_S4_S4_S4_21rocsparse_index_base_PKT1_PKT2_PKS4_S5_PS6_PS9_PS4_,comdat
.Lfunc_end106:
	.size	_ZN9rocsparseL38csr2bsr_block_per_row_multipass_kernelILj256ELj64E21rocsparse_complex_numIfEllEEv20rocsparse_direction_T3_S4_S4_S4_S4_21rocsparse_index_base_PKT1_PKT2_PKS4_S5_PS6_PS9_PS4_, .Lfunc_end106-_ZN9rocsparseL38csr2bsr_block_per_row_multipass_kernelILj256ELj64E21rocsparse_complex_numIfEllEEv20rocsparse_direction_T3_S4_S4_S4_S4_21rocsparse_index_base_PKT1_PKT2_PKS4_S5_PS6_PS9_PS4_
                                        ; -- End function
	.section	.AMDGPU.csdata,"",@progbits
; Kernel info:
; codeLenInByte = 5176
; NumSgprs: 55
; NumVgprs: 72
; ScratchSize: 0
; MemoryBound: 0
; FloatMode: 240
; IeeeMode: 1
; LDSByteSize: 32772 bytes/workgroup (compile time only)
; SGPRBlocks: 6
; VGPRBlocks: 8
; NumSGPRsForWavesPerEU: 55
; NumVGPRsForWavesPerEU: 72
; Occupancy: 6
; WaveLimiterHint : 1
; COMPUTE_PGM_RSRC2:SCRATCH_EN: 0
; COMPUTE_PGM_RSRC2:USER_SGPR: 15
; COMPUTE_PGM_RSRC2:TRAP_HANDLER: 0
; COMPUTE_PGM_RSRC2:TGID_X_EN: 1
; COMPUTE_PGM_RSRC2:TGID_Y_EN: 0
; COMPUTE_PGM_RSRC2:TGID_Z_EN: 0
; COMPUTE_PGM_RSRC2:TIDIG_COMP_CNT: 0
	.section	.text._ZN9rocsparseL21csr2bsr_65_inf_kernelILj32E21rocsparse_complex_numIfEllEEv20rocsparse_direction_T2_S4_S4_S4_S4_S4_21rocsparse_index_base_PKT0_PKT1_PKS4_S5_PS6_PS9_PS4_SF_SG_SE_,"axG",@progbits,_ZN9rocsparseL21csr2bsr_65_inf_kernelILj32E21rocsparse_complex_numIfEllEEv20rocsparse_direction_T2_S4_S4_S4_S4_S4_21rocsparse_index_base_PKT0_PKT1_PKS4_S5_PS6_PS9_PS4_SF_SG_SE_,comdat
	.globl	_ZN9rocsparseL21csr2bsr_65_inf_kernelILj32E21rocsparse_complex_numIfEllEEv20rocsparse_direction_T2_S4_S4_S4_S4_S4_21rocsparse_index_base_PKT0_PKT1_PKS4_S5_PS6_PS9_PS4_SF_SG_SE_ ; -- Begin function _ZN9rocsparseL21csr2bsr_65_inf_kernelILj32E21rocsparse_complex_numIfEllEEv20rocsparse_direction_T2_S4_S4_S4_S4_S4_21rocsparse_index_base_PKT0_PKT1_PKS4_S5_PS6_PS9_PS4_SF_SG_SE_
	.p2align	8
	.type	_ZN9rocsparseL21csr2bsr_65_inf_kernelILj32E21rocsparse_complex_numIfEllEEv20rocsparse_direction_T2_S4_S4_S4_S4_S4_21rocsparse_index_base_PKT0_PKT1_PKS4_S5_PS6_PS9_PS4_SF_SG_SE_,@function
_ZN9rocsparseL21csr2bsr_65_inf_kernelILj32E21rocsparse_complex_numIfEllEEv20rocsparse_direction_T2_S4_S4_S4_S4_S4_21rocsparse_index_base_PKT0_PKT1_PKS4_S5_PS6_PS9_PS4_SF_SG_SE_: ; @_ZN9rocsparseL21csr2bsr_65_inf_kernelILj32E21rocsparse_complex_numIfEllEEv20rocsparse_direction_T2_S4_S4_S4_S4_S4_21rocsparse_index_base_PKT0_PKT1_PKS4_S5_PS6_PS9_PS4_SF_SG_SE_
; %bb.0:
	s_clause 0x3
	s_load_b64 s[8:9], s[0:1], 0x18
	s_load_b128 s[4:7], s[0:1], 0x8
	s_load_b64 s[2:3], s[0:1], 0x78
	s_load_b32 s26, s[0:1], 0x58
	s_mov_b32 s12, s15
	s_mov_b32 s13, 0
	s_mov_b64 s[14:15], 0
	s_waitcnt lgkmcnt(0)
	v_cmp_ge_i64_e64 s8, s[12:13], s[8:9]
	s_delay_alu instid0(VALU_DEP_1)
	s_and_b32 vcc_lo, exec_lo, s8
	s_cbranch_vccnz .LBB107_2
; %bb.1:
	s_load_b64 s[8:9], s[0:1], 0x68
	s_lshl_b64 s[10:11], s[12:13], 3
	s_waitcnt lgkmcnt(0)
	s_add_u32 s8, s8, s10
	s_addc_u32 s9, s9, s11
	s_load_b64 s[8:9], s[8:9], 0x0
	s_waitcnt lgkmcnt(0)
	s_sub_u32 s14, s8, s26
	s_subb_u32 s15, s9, 0
.LBB107_2:
	s_clause 0x1
	s_load_b128 s[8:11], s[0:1], 0x28
	s_load_b32 s27, s[0:1], 0x38
	s_waitcnt lgkmcnt(0)
	v_mad_u64_u32 v[2:3], null, v0, s10, 0
	s_mul_i32 s13, s12, s11
	s_mul_hi_u32 s17, s12, s10
	s_mul_i32 s16, s12, s10
	s_add_i32 s17, s17, s13
	v_cmp_gt_i64_e64 s28, s[10:11], 0
	s_lshl_b64 s[16:17], s[16:17], 9
	s_delay_alu instid0(VALU_DEP_2)
	v_mov_b32_e32 v1, v3
	s_add_u32 s13, s2, s16
	s_addc_u32 s16, s3, s17
	s_lshl_b64 s[2:3], s[10:11], 8
	v_cmp_lt_i64_e64 s17, s[10:11], 1
	v_mad_u64_u32 v[3:4], null, v0, s11, v[1:2]
	s_add_u32 s2, s13, s2
	s_addc_u32 s3, s16, s3
	v_mov_b32_e32 v1, 0
	s_delay_alu instid0(VALU_DEP_2) | instskip(NEXT) | instid1(VALU_DEP_1)
	v_lshlrev_b64 v[8:9], 3, v[2:3]
	v_add_co_u32 v2, vcc_lo, s13, v8
	s_delay_alu instid0(VALU_DEP_2)
	v_add_co_ci_u32_e32 v3, vcc_lo, s16, v9, vcc_lo
	v_add_co_u32 v4, vcc_lo, s2, v8
	v_add_co_ci_u32_e32 v5, vcc_lo, s3, v9, vcc_lo
	s_and_b32 vcc_lo, exec_lo, s17
	s_cbranch_vccnz .LBB107_7
; %bb.3:
	s_load_b64 s[16:17], s[0:1], 0x48
	s_mul_i32 s2, s12, s9
	s_mul_hi_u32 s13, s12, s8
	s_mul_i32 s3, s12, s8
	s_add_i32 s13, s13, s2
	v_add_co_u32 v6, s2, s3, v0
	s_delay_alu instid0(VALU_DEP_1) | instskip(SKIP_2) | instid1(VALU_DEP_2)
	v_add_co_ci_u32_e64 v7, null, s13, 0, s2
	s_mov_b32 s18, 0
	v_dual_mov_b32 v11, v3 :: v_dual_mov_b32 v10, v2
	v_lshlrev_b64 v[12:13], 3, v[6:7]
	s_mov_b32 s19, s18
	v_dual_mov_b32 v7, v5 :: v_dual_mov_b32 v6, v4
	v_dual_mov_b32 v17, v1 :: v_dual_mov_b32 v16, v0
	s_waitcnt lgkmcnt(0)
	s_delay_alu instid0(VALU_DEP_3) | instskip(SKIP_2) | instid1(VALU_DEP_3)
	v_add_co_u32 v14, vcc_lo, v12, s16
	v_add_co_ci_u32_e32 v15, vcc_lo, s17, v13, vcc_lo
	v_dual_mov_b32 v12, s18 :: v_dual_mov_b32 v13, s19
	v_add_co_u32 v14, vcc_lo, v14, 8
	s_delay_alu instid0(VALU_DEP_3)
	v_add_co_ci_u32_e32 v15, vcc_lo, 0, v15, vcc_lo
	s_mov_b64 s[16:17], s[10:11]
	s_set_inst_prefetch_distance 0x1
	s_branch .LBB107_5
	.p2align	6
.LBB107_4:                              ;   in Loop: Header=BB107_5 Depth=1
	s_or_b32 exec_lo, exec_lo, s2
	v_add_co_u32 v16, vcc_lo, v16, 32
	v_add_co_ci_u32_e32 v17, vcc_lo, 0, v17, vcc_lo
	v_add_co_u32 v10, vcc_lo, v10, 8
	v_add_co_ci_u32_e32 v11, vcc_lo, 0, v11, vcc_lo
	;; [unrolled: 2-line block ×3, first 2 shown]
	v_add_co_u32 v6, vcc_lo, v6, 8
	s_add_u32 s16, s16, -1
	v_add_co_ci_u32_e32 v7, vcc_lo, 0, v7, vcc_lo
	s_addc_u32 s17, s17, -1
	s_delay_alu instid0(SALU_CYCLE_1)
	s_cmp_eq_u64 s[16:17], 0
	s_cbranch_scc1 .LBB107_7
.LBB107_5:                              ; =>This Inner Loop Header: Depth=1
	v_add_co_u32 v18, vcc_lo, s3, v16
	v_add_co_ci_u32_e32 v19, vcc_lo, s13, v17, vcc_lo
	v_cmp_gt_i64_e64 s2, s[8:9], v[16:17]
	global_store_b64 v[10:11], v[12:13], off
	global_store_b64 v[6:7], v[12:13], off
	v_cmp_gt_i64_e32 vcc_lo, s[4:5], v[18:19]
	s_and_b32 s18, vcc_lo, s2
	s_delay_alu instid0(SALU_CYCLE_1)
	s_and_saveexec_b32 s2, s18
	s_cbranch_execz .LBB107_4
; %bb.6:                                ;   in Loop: Header=BB107_5 Depth=1
	global_load_b128 v[18:21], v[14:15], off offset:-8
	s_waitcnt vmcnt(0)
	v_sub_co_u32 v18, vcc_lo, v18, s27
	v_subrev_co_ci_u32_e32 v19, vcc_lo, 0, v19, vcc_lo
	v_sub_co_u32 v20, vcc_lo, v20, s27
	v_subrev_co_ci_u32_e32 v21, vcc_lo, 0, v21, vcc_lo
	global_store_b64 v[10:11], v[18:19], off
	global_store_b64 v[6:7], v[20:21], off
	s_branch .LBB107_4
.LBB107_7:
	s_set_inst_prefetch_distance 0x2
	v_cmp_lt_i64_e64 s2, s[6:7], 1
	s_delay_alu instid0(VALU_DEP_1)
	s_and_b32 vcc_lo, exec_lo, s2
	s_cbranch_vccnz .LBB107_53
; %bb.8:
	s_clause 0x1
	s_load_b128 s[16:19], s[0:1], 0x80
	s_load_b64 s[20:21], s[0:1], 0x70
	s_lshl_b64 s[2:3], s[10:11], 5
	v_mbcnt_lo_u32_b32 v10, -1, 0
	s_mul_i32 s3, s3, s12
	s_mul_hi_u32 s4, s2, s12
	s_mul_i32 s22, s2, s12
	s_add_i32 s23, s4, s3
	s_clause 0x3
	s_load_b64 s[2:3], s[0:1], 0x60
	s_load_b64 s[4:5], s[0:1], 0x50
	;; [unrolled: 1-line block ×3, first 2 shown]
	s_load_b32 s24, s[0:1], 0x0
	s_lshl_b64 s[0:1], s[22:23], 3
	v_xor_b32_e32 v11, 16, v10
	v_xor_b32_e32 v12, 8, v10
	;; [unrolled: 1-line block ×5, first 2 shown]
	v_mov_b32_e32 v16, 0
	s_mov_b32 s29, 0
	v_mov_b32_e32 v41, 0x7c
	v_mov_b32_e32 v17, 0
	s_waitcnt lgkmcnt(0)
	s_add_u32 s16, s16, s0
	s_addc_u32 s17, s17, s1
	v_add_co_u32 v6, vcc_lo, s16, v8
	s_add_u32 s0, s18, s0
	v_add_co_ci_u32_e32 v7, vcc_lo, s17, v9, vcc_lo
	s_addc_u32 s1, s19, s1
	v_add_co_u32 v8, vcc_lo, s0, v8
	v_add_co_ci_u32_e32 v9, vcc_lo, s1, v9, vcc_lo
	v_cmp_gt_i32_e32 vcc_lo, 32, v11
	s_lshl_b64 s[16:17], s[14:15], 3
	v_cmp_eq_u32_e64 s0, 31, v0
	s_add_u32 s30, s20, s16
	s_addc_u32 s31, s21, s17
	v_cndmask_b32_e32 v11, v10, v11, vcc_lo
	v_cmp_gt_i32_e32 vcc_lo, 32, v12
	s_cmp_lg_u32 s24, 0
	s_cselect_b32 s33, -1, 0
	s_add_u32 s34, s14, -1
	v_cndmask_b32_e32 v12, v10, v12, vcc_lo
	v_cmp_gt_i32_e32 vcc_lo, 32, v13
	s_addc_u32 s35, s15, -1
	s_lshl_b64 s[14:15], s[8:9], 3
	s_lshl_b64 s[16:17], s[8:9], 8
	s_ashr_i32 s18, s9, 31
	v_cndmask_b32_e32 v13, v10, v13, vcc_lo
	v_cmp_gt_i32_e32 vcc_lo, 32, v14
	s_delay_alu instid0(VALU_DEP_2) | instskip(SKIP_3) | instid1(VALU_DEP_2)
	v_lshlrev_b32_e32 v38, 2, v13
	v_lshlrev_b32_e32 v36, 2, v11
	v_cndmask_b32_e32 v14, v10, v14, vcc_lo
	v_cmp_gt_i32_e32 vcc_lo, 32, v15
	v_lshlrev_b32_e32 v39, 2, v14
	v_dual_cndmask_b32 v10, v10, v15 :: v_dual_lshlrev_b32 v37, 2, v12
	v_mov_b32_e32 v14, v16
	v_dual_mov_b32 v12, v16 :: v_dual_mov_b32 v13, v17
	s_delay_alu instid0(VALU_DEP_3)
	v_dual_mov_b32 v15, v17 :: v_dual_lshlrev_b32 v40, 2, v10
	v_mov_b32_e32 v10, 0
	s_branch .LBB107_10
.LBB107_9:                              ;   in Loop: Header=BB107_10 Depth=1
	s_waitcnt lgkmcnt(3)
	v_add_co_u32 v16, vcc_lo, v30, 1
	s_waitcnt lgkmcnt(2)
	v_add_co_ci_u32_e32 v17, vcc_lo, 0, v31, vcc_lo
	s_delay_alu instid0(VALU_DEP_1) | instskip(SKIP_1) | instid1(SALU_CYCLE_1)
	v_cmp_le_i64_e32 vcc_lo, s[6:7], v[16:17]
	s_or_b32 s29, vcc_lo, s29
	s_and_not1_b32 exec_lo, exec_lo, s29
	s_cbranch_execz .LBB107_53
.LBB107_10:                             ; =>This Loop Header: Depth=1
                                        ;     Child Loop BB107_14 Depth 2
                                        ;       Child Loop BB107_17 Depth 3
                                        ;     Child Loop BB107_34 Depth 2
	v_dual_mov_b32 v19, s7 :: v_dual_mov_b32 v18, s6
	s_and_not1_b32 vcc_lo, exec_lo, s28
	s_cbranch_vccnz .LBB107_23
; %bb.11:                               ;   in Loop: Header=BB107_10 Depth=1
	v_dual_mov_b32 v19, s7 :: v_dual_mov_b32 v18, s6
	s_mov_b64 s[20:21], 0
	s_branch .LBB107_14
.LBB107_12:                             ;   in Loop: Header=BB107_14 Depth=2
	s_or_b32 exec_lo, exec_lo, s1
.LBB107_13:                             ;   in Loop: Header=BB107_14 Depth=2
	s_delay_alu instid0(SALU_CYCLE_1) | instskip(SKIP_2) | instid1(SALU_CYCLE_1)
	s_or_b32 exec_lo, exec_lo, s19
	s_add_u32 s20, s20, 1
	s_addc_u32 s21, s21, 0
	s_cmp_eq_u64 s[20:21], s[10:11]
	s_cbranch_scc1 .LBB107_23
.LBB107_14:                             ;   Parent Loop BB107_10 Depth=1
                                        ; =>  This Loop Header: Depth=2
                                        ;       Child Loop BB107_17 Depth 3
	s_lshl_b64 s[22:23], s[20:21], 3
	v_mov_b32_e32 v11, v10
	v_add_co_u32 v20, vcc_lo, v2, s22
	v_add_co_ci_u32_e32 v21, vcc_lo, s23, v3, vcc_lo
	v_add_co_u32 v22, vcc_lo, v4, s22
	v_add_co_ci_u32_e32 v23, vcc_lo, s23, v5, vcc_lo
	v_dual_mov_b32 v27, s7 :: v_dual_mov_b32 v26, s6
	s_clause 0x1
	global_load_b64 v[32:33], v[20:21], off
	global_load_b64 v[30:31], v[22:23], off
	v_add_co_u32 v22, vcc_lo, v8, s22
	v_add_co_ci_u32_e32 v23, vcc_lo, s23, v9, vcc_lo
	v_add_co_u32 v24, vcc_lo, v6, s22
	v_add_co_ci_u32_e32 v25, vcc_lo, s23, v7, vcc_lo
	s_mov_b32 s19, exec_lo
	global_store_b64 v[22:23], v[10:11], off
	global_store_b64 v[24:25], v[26:27], off
	s_waitcnt vmcnt(0)
	v_cmpx_lt_i64_e64 v[32:33], v[30:31]
	s_cbranch_execz .LBB107_13
; %bb.15:                               ;   in Loop: Header=BB107_14 Depth=2
	v_lshlrev_b64 v[26:27], 3, v[32:33]
	s_mov_b32 s22, 0
                                        ; implicit-def: $sgpr23
                                        ; implicit-def: $sgpr25
                                        ; implicit-def: $sgpr24
	s_delay_alu instid0(VALU_DEP_1) | instskip(NEXT) | instid1(VALU_DEP_2)
	v_add_co_u32 v34, vcc_lo, s4, v26
	v_add_co_ci_u32_e32 v35, vcc_lo, s5, v27, vcc_lo
	s_set_inst_prefetch_distance 0x1
	s_branch .LBB107_17
	.p2align	6
.LBB107_16:                             ;   in Loop: Header=BB107_17 Depth=3
	s_or_b32 exec_lo, exec_lo, s36
	s_delay_alu instid0(SALU_CYCLE_1) | instskip(NEXT) | instid1(SALU_CYCLE_1)
	s_and_b32 s1, exec_lo, s25
	s_or_b32 s22, s1, s22
	s_and_not1_b32 s1, s23, exec_lo
	s_and_b32 s23, s24, exec_lo
	s_delay_alu instid0(SALU_CYCLE_1)
	s_or_b32 s23, s1, s23
	s_and_not1_b32 exec_lo, exec_lo, s22
	s_cbranch_execz .LBB107_19
.LBB107_17:                             ;   Parent Loop BB107_10 Depth=1
                                        ;     Parent Loop BB107_14 Depth=2
                                        ; =>    This Inner Loop Header: Depth=3
	global_load_b64 v[26:27], v[34:35], off
	s_or_b32 s24, s24, exec_lo
	s_or_b32 s25, s25, exec_lo
	s_mov_b32 s36, exec_lo
	s_waitcnt vmcnt(0)
	v_sub_co_u32 v28, vcc_lo, v26, s27
	v_subrev_co_ci_u32_e32 v29, vcc_lo, 0, v27, vcc_lo
	v_dual_mov_b32 v26, v32 :: v_dual_mov_b32 v27, v33
                                        ; implicit-def: $vgpr32_vgpr33
	s_delay_alu instid0(VALU_DEP_2)
	v_cmpx_lt_i64_e64 v[28:29], v[16:17]
	s_cbranch_execz .LBB107_16
; %bb.18:                               ;   in Loop: Header=BB107_17 Depth=3
	s_delay_alu instid0(VALU_DEP_2) | instskip(NEXT) | instid1(VALU_DEP_3)
	v_add_co_u32 v32, vcc_lo, v26, 1
	v_add_co_ci_u32_e32 v33, vcc_lo, 0, v27, vcc_lo
	v_add_co_u32 v34, s1, v34, 8
	s_delay_alu instid0(VALU_DEP_1) | instskip(NEXT) | instid1(VALU_DEP_3)
	v_add_co_ci_u32_e64 v35, s1, 0, v35, s1
	v_cmp_ge_i64_e32 vcc_lo, v[32:33], v[30:31]
	s_and_not1_b32 s1, s25, exec_lo
	s_and_not1_b32 s24, s24, exec_lo
	s_and_b32 s25, vcc_lo, exec_lo
	s_delay_alu instid0(SALU_CYCLE_1)
	s_or_b32 s25, s1, s25
	s_branch .LBB107_16
.LBB107_19:                             ;   in Loop: Header=BB107_14 Depth=2
	s_set_inst_prefetch_distance 0x2
	s_or_b32 exec_lo, exec_lo, s22
	v_lshlrev_b64 v[30:31], 3, v[26:27]
	s_xor_b32 s1, s23, -1
	s_delay_alu instid0(SALU_CYCLE_1) | instskip(NEXT) | instid1(SALU_CYCLE_1)
	s_and_saveexec_b32 s22, s1
	s_xor_b32 s1, exec_lo, s22
	s_cbranch_execz .LBB107_21
; %bb.20:                               ;   in Loop: Header=BB107_14 Depth=2
	s_delay_alu instid0(VALU_DEP_1)
	v_add_co_u32 v20, vcc_lo, s12, v30
	v_add_co_ci_u32_e32 v21, vcc_lo, s13, v31, vcc_lo
                                        ; implicit-def: $vgpr30_vgpr31
	global_load_b64 v[20:21], v[20:21], off
	s_waitcnt vmcnt(0)
	global_store_b64 v[22:23], v[20:21], off
	global_store_b64 v[24:25], v[28:29], off
                                        ; implicit-def: $vgpr22_vgpr23
                                        ; implicit-def: $vgpr24_vgpr25
                                        ; implicit-def: $vgpr20_vgpr21
.LBB107_21:                             ;   in Loop: Header=BB107_14 Depth=2
	s_and_not1_saveexec_b32 s1, s1
	s_cbranch_execz .LBB107_12
; %bb.22:                               ;   in Loop: Header=BB107_14 Depth=2
	v_add_co_u32 v30, vcc_lo, s12, v30
	v_add_co_ci_u32_e32 v31, vcc_lo, s13, v31, vcc_lo
	v_cmp_lt_i64_e32 vcc_lo, v[28:29], v[18:19]
	global_load_b64 v[30:31], v[30:31], off
	global_store_b64 v[24:25], v[28:29], off
	s_waitcnt vmcnt(0)
	global_store_b64 v[22:23], v[30:31], off
	global_store_b64 v[20:21], v[26:27], off
	v_dual_cndmask_b32 v19, v19, v29 :: v_dual_cndmask_b32 v18, v18, v28
	s_branch .LBB107_12
.LBB107_23:                             ;   in Loop: Header=BB107_10 Depth=1
	ds_bpermute_b32 v16, v36, v18
	ds_bpermute_b32 v17, v36, v19
	s_waitcnt lgkmcnt(0)
	v_cmp_lt_i64_e32 vcc_lo, v[16:17], v[18:19]
	v_dual_cndmask_b32 v17, v19, v17 :: v_dual_cndmask_b32 v16, v18, v16
	ds_bpermute_b32 v19, v37, v17
	ds_bpermute_b32 v18, v37, v16
	s_waitcnt lgkmcnt(0)
	v_cmp_lt_i64_e32 vcc_lo, v[18:19], v[16:17]
	v_dual_cndmask_b32 v17, v17, v19 :: v_dual_cndmask_b32 v16, v16, v18
	;; [unrolled: 5-line block ×5, first 2 shown]
	s_delay_alu instid0(VALU_DEP_1) | instskip(SKIP_1) | instid1(SALU_CYCLE_1)
	v_cmp_gt_i64_e32 vcc_lo, s[6:7], v[16:17]
	s_and_b32 s1, s0, vcc_lo
	s_and_saveexec_b32 s22, s1
	s_cbranch_execz .LBB107_29
; %bb.24:                               ;   in Loop: Header=BB107_10 Depth=1
	v_or_b32_e32 v11, s9, v17
                                        ; implicit-def: $vgpr18_vgpr19
	s_mov_b32 s1, exec_lo
	s_delay_alu instid0(VALU_DEP_1)
	v_cmpx_ne_u64_e32 0, v[10:11]
	s_xor_b32 s23, exec_lo, s1
	s_cbranch_execnz .LBB107_51
; %bb.25:                               ;   in Loop: Header=BB107_10 Depth=1
	s_and_not1_saveexec_b32 s1, s23
	s_cbranch_execnz .LBB107_52
.LBB107_26:                             ;   in Loop: Header=BB107_10 Depth=1
	s_or_b32 exec_lo, exec_lo, s1
	s_delay_alu instid0(SALU_CYCLE_1)
	s_mov_b32 s1, exec_lo
	v_cmpx_ge_i64_e64 v[18:19], v[14:15]
	s_cbranch_execz .LBB107_28
.LBB107_27:                             ;   in Loop: Header=BB107_10 Depth=1
	v_lshlrev_b64 v[14:15], 3, v[12:13]
	v_add_co_u32 v20, vcc_lo, v18, s26
	v_add_co_ci_u32_e32 v21, vcc_lo, 0, v19, vcc_lo
	s_delay_alu instid0(VALU_DEP_3) | instskip(NEXT) | instid1(VALU_DEP_4)
	v_add_co_u32 v22, vcc_lo, s30, v14
	v_add_co_ci_u32_e32 v23, vcc_lo, s31, v15, vcc_lo
	v_add_co_u32 v12, vcc_lo, v12, 1
	v_add_co_ci_u32_e32 v13, vcc_lo, 0, v13, vcc_lo
	;; [unrolled: 2-line block ×3, first 2 shown]
	global_store_b64 v[22:23], v[20:21], off
.LBB107_28:                             ;   in Loop: Header=BB107_10 Depth=1
	s_or_b32 exec_lo, exec_lo, s1
.LBB107_29:                             ;   in Loop: Header=BB107_10 Depth=1
	s_delay_alu instid0(SALU_CYCLE_1)
	s_or_b32 exec_lo, exec_lo, s22
	ds_bpermute_b32 v30, v41, v16
	ds_bpermute_b32 v31, v41, v17
	;; [unrolled: 1-line block ×4, first 2 shown]
	s_and_not1_b32 vcc_lo, exec_lo, s28
	s_cbranch_vccnz .LBB107_9
; %bb.30:                               ;   in Loop: Header=BB107_10 Depth=1
	v_add_co_u32 v11, vcc_lo, s34, 0
	s_waitcnt lgkmcnt(0)
	v_add_co_ci_u32_e32 v16, vcc_lo, s35, v13, vcc_lo
	s_mov_b64 s[20:21], 0
	s_delay_alu instid0(VALU_DEP_2) | instskip(NEXT) | instid1(VALU_DEP_2)
	v_add_co_u32 v11, vcc_lo, v11, v12
	v_add_co_ci_u32_e32 v16, vcc_lo, 0, v16, vcc_lo
	s_mov_b64 s[22:23], s[10:11]
	s_delay_alu instid0(VALU_DEP_2) | instskip(SKIP_1) | instid1(VALU_DEP_3)
	v_mul_lo_u32 v17, s9, v11
	v_mad_u64_u32 v[20:21], null, s8, v11, v[0:1]
	v_mul_lo_u32 v16, s8, v16
	v_add_co_u32 v11, vcc_lo, s34, v12
	v_add_co_ci_u32_e32 v18, vcc_lo, s35, v13, vcc_lo
	s_delay_alu instid0(VALU_DEP_2) | instskip(NEXT) | instid1(VALU_DEP_4)
	v_mul_lo_u32 v23, v11, s9
	v_add3_u32 v21, v17, v21, v16
	s_delay_alu instid0(VALU_DEP_3)
	v_mul_lo_u32 v22, v18, s8
	v_mad_u64_u32 v[16:17], null, v11, s8, 0
	v_mul_lo_u32 v11, s15, v20
	v_mad_u64_u32 v[18:19], null, s14, v20, s[2:3]
	v_mul_lo_u32 v24, s14, v21
	v_dual_mov_b32 v21, v7 :: v_dual_mov_b32 v20, v6
	v_add3_u32 v17, v17, v23, v22
	v_dual_mov_b32 v23, v9 :: v_dual_mov_b32 v22, v8
	s_delay_alu instid0(VALU_DEP_4)
	v_add3_u32 v19, v11, v19, v24
	s_branch .LBB107_34
.LBB107_31:                             ;   in Loop: Header=BB107_34 Depth=2
	s_or_b32 exec_lo, exec_lo, s1
	s_delay_alu instid0(VALU_DEP_1) | instskip(NEXT) | instid1(VALU_DEP_1)
	v_lshlrev_b64 v[24:25], 3, v[26:27]
	v_add_co_u32 v26, vcc_lo, v18, v24
	s_delay_alu instid0(VALU_DEP_2)
	v_add_co_ci_u32_e32 v27, vcc_lo, v19, v25, vcc_lo
.LBB107_32:                             ;   in Loop: Header=BB107_34 Depth=2
	global_load_b64 v[24:25], v[22:23], off
	s_waitcnt vmcnt(0)
	global_store_b64 v[26:27], v[24:25], off
.LBB107_33:                             ;   in Loop: Header=BB107_34 Depth=2
	s_or_b32 exec_lo, exec_lo, s36
	v_add_co_u32 v22, vcc_lo, v22, 8
	v_add_co_ci_u32_e32 v23, vcc_lo, 0, v23, vcc_lo
	v_add_co_u32 v18, vcc_lo, v18, s16
	v_add_co_ci_u32_e32 v19, vcc_lo, s17, v19, vcc_lo
	s_add_u32 s20, s20, 1
	v_add_co_u32 v20, vcc_lo, v20, 8
	s_addc_u32 s21, s21, 0
	s_add_u32 s22, s22, -1
	v_add_co_ci_u32_e32 v21, vcc_lo, 0, v21, vcc_lo
	s_addc_u32 s23, s23, -1
	s_delay_alu instid0(SALU_CYCLE_1)
	s_cmp_eq_u64 s[22:23], 0
	s_cbranch_scc1 .LBB107_9
.LBB107_34:                             ;   Parent Loop BB107_10 Depth=1
                                        ; =>  This Inner Loop Header: Depth=2
	global_load_b64 v[24:25], v[20:21], off
	s_mov_b32 s36, exec_lo
	s_waitcnt vmcnt(0)
	v_cmpx_gt_i64_e64 s[6:7], v[24:25]
	s_cbranch_execz .LBB107_33
; %bb.35:                               ;   in Loop: Header=BB107_34 Depth=2
	v_or_b32_e32 v32, s9, v25
                                        ; implicit-def: $vgpr26_vgpr27
	s_mov_b32 s1, exec_lo
	s_delay_alu instid0(VALU_DEP_1) | instskip(NEXT) | instid1(VALU_DEP_1)
	v_mov_b32_e32 v11, v32
	v_cmpx_ne_u64_e32 0, v[10:11]
	s_xor_b32 s37, exec_lo, s1
	s_cbranch_execz .LBB107_37
; %bb.36:                               ;   in Loop: Header=BB107_34 Depth=2
	s_add_u32 s24, s8, s18
	s_mov_b32 s19, s18
	s_addc_u32 s25, s9, s18
	s_delay_alu instid0(SALU_CYCLE_1) | instskip(NEXT) | instid1(SALU_CYCLE_1)
	s_xor_b64 s[24:25], s[24:25], s[18:19]
	v_cvt_f32_u32_e32 v11, s24
	v_cvt_f32_u32_e32 v26, s25
	s_sub_u32 s1, 0, s24
	s_subb_u32 s19, 0, s25
	s_delay_alu instid0(VALU_DEP_1) | instskip(NEXT) | instid1(VALU_DEP_1)
	v_fmac_f32_e32 v11, 0x4f800000, v26
	v_rcp_f32_e32 v11, v11
	s_waitcnt_depctr 0xfff
	v_mul_f32_e32 v11, 0x5f7ffffc, v11
	s_delay_alu instid0(VALU_DEP_1) | instskip(NEXT) | instid1(VALU_DEP_1)
	v_mul_f32_e32 v26, 0x2f800000, v11
	v_trunc_f32_e32 v26, v26
	s_delay_alu instid0(VALU_DEP_1) | instskip(SKIP_1) | instid1(VALU_DEP_2)
	v_fmac_f32_e32 v11, 0xcf800000, v26
	v_cvt_u32_f32_e32 v26, v26
	v_cvt_u32_f32_e32 v11, v11
	s_delay_alu instid0(VALU_DEP_2) | instskip(NEXT) | instid1(VALU_DEP_2)
	v_mul_lo_u32 v27, s1, v26
	v_mul_hi_u32 v28, s1, v11
	v_mul_lo_u32 v29, s19, v11
	s_delay_alu instid0(VALU_DEP_2) | instskip(SKIP_1) | instid1(VALU_DEP_2)
	v_add_nc_u32_e32 v27, v28, v27
	v_mul_lo_u32 v28, s1, v11
	v_add_nc_u32_e32 v27, v27, v29
	s_delay_alu instid0(VALU_DEP_2) | instskip(NEXT) | instid1(VALU_DEP_2)
	v_mul_hi_u32 v29, v11, v28
	v_mul_lo_u32 v33, v11, v27
	v_mul_hi_u32 v34, v11, v27
	v_mul_hi_u32 v35, v26, v28
	v_mul_lo_u32 v28, v26, v28
	v_mul_hi_u32 v42, v26, v27
	v_mul_lo_u32 v27, v26, v27
	v_add_co_u32 v29, vcc_lo, v29, v33
	v_add_co_ci_u32_e32 v33, vcc_lo, 0, v34, vcc_lo
	s_delay_alu instid0(VALU_DEP_2) | instskip(NEXT) | instid1(VALU_DEP_2)
	v_add_co_u32 v28, vcc_lo, v29, v28
	v_add_co_ci_u32_e32 v28, vcc_lo, v33, v35, vcc_lo
	v_add_co_ci_u32_e32 v29, vcc_lo, 0, v42, vcc_lo
	v_ashrrev_i32_e32 v35, 31, v25
	s_delay_alu instid0(VALU_DEP_3) | instskip(NEXT) | instid1(VALU_DEP_3)
	v_add_co_u32 v27, vcc_lo, v28, v27
	v_add_co_ci_u32_e32 v28, vcc_lo, 0, v29, vcc_lo
	s_delay_alu instid0(VALU_DEP_2) | instskip(NEXT) | instid1(VALU_DEP_2)
	v_add_co_u32 v11, vcc_lo, v11, v27
	v_add_co_ci_u32_e32 v26, vcc_lo, v26, v28, vcc_lo
	s_delay_alu instid0(VALU_DEP_2) | instskip(SKIP_1) | instid1(VALU_DEP_3)
	v_mul_hi_u32 v27, s1, v11
	v_mul_lo_u32 v29, s19, v11
	v_mul_lo_u32 v28, s1, v26
	s_delay_alu instid0(VALU_DEP_1) | instskip(SKIP_1) | instid1(VALU_DEP_2)
	v_add_nc_u32_e32 v27, v27, v28
	v_mul_lo_u32 v28, s1, v11
	v_add_nc_u32_e32 v27, v27, v29
	s_delay_alu instid0(VALU_DEP_2) | instskip(NEXT) | instid1(VALU_DEP_2)
	v_mul_hi_u32 v29, v11, v28
	v_mul_lo_u32 v33, v11, v27
	v_mul_hi_u32 v34, v11, v27
	v_mul_hi_u32 v42, v26, v28
	v_mul_lo_u32 v28, v26, v28
	v_mul_hi_u32 v43, v26, v27
	v_mul_lo_u32 v27, v26, v27
	v_add_co_u32 v29, vcc_lo, v29, v33
	v_add_co_ci_u32_e32 v33, vcc_lo, 0, v34, vcc_lo
	s_delay_alu instid0(VALU_DEP_2) | instskip(NEXT) | instid1(VALU_DEP_2)
	v_add_co_u32 v28, vcc_lo, v29, v28
	v_add_co_ci_u32_e32 v28, vcc_lo, v33, v42, vcc_lo
	v_add_co_ci_u32_e32 v29, vcc_lo, 0, v43, vcc_lo
	v_add_co_u32 v33, vcc_lo, v24, v35
	v_add_co_ci_u32_e32 v34, vcc_lo, v25, v35, vcc_lo
	s_delay_alu instid0(VALU_DEP_4) | instskip(NEXT) | instid1(VALU_DEP_4)
	v_add_co_u32 v27, vcc_lo, v28, v27
	v_add_co_ci_u32_e32 v28, vcc_lo, 0, v29, vcc_lo
	s_delay_alu instid0(VALU_DEP_4) | instskip(NEXT) | instid1(VALU_DEP_3)
	v_xor_b32_e32 v42, v33, v35
	v_add_co_u32 v11, vcc_lo, v11, v27
	s_delay_alu instid0(VALU_DEP_3) | instskip(SKIP_1) | instid1(VALU_DEP_3)
	v_add_co_ci_u32_e32 v43, vcc_lo, v26, v28, vcc_lo
	v_xor_b32_e32 v44, v34, v35
	v_mul_hi_u32 v45, v42, v11
	s_delay_alu instid0(VALU_DEP_3) | instskip(NEXT) | instid1(VALU_DEP_3)
	v_mad_u64_u32 v[26:27], null, v42, v43, 0
	v_mad_u64_u32 v[28:29], null, v44, v11, 0
	;; [unrolled: 1-line block ×3, first 2 shown]
	s_delay_alu instid0(VALU_DEP_3) | instskip(NEXT) | instid1(VALU_DEP_4)
	v_add_co_u32 v11, vcc_lo, v45, v26
	v_add_co_ci_u32_e32 v26, vcc_lo, 0, v27, vcc_lo
	s_delay_alu instid0(VALU_DEP_2) | instskip(NEXT) | instid1(VALU_DEP_2)
	v_add_co_u32 v11, vcc_lo, v11, v28
	v_add_co_ci_u32_e32 v11, vcc_lo, v26, v29, vcc_lo
	v_add_co_ci_u32_e32 v26, vcc_lo, 0, v34, vcc_lo
	s_delay_alu instid0(VALU_DEP_2) | instskip(NEXT) | instid1(VALU_DEP_2)
	v_add_co_u32 v11, vcc_lo, v11, v33
	v_add_co_ci_u32_e32 v28, vcc_lo, 0, v26, vcc_lo
	s_delay_alu instid0(VALU_DEP_2) | instskip(SKIP_1) | instid1(VALU_DEP_3)
	v_mul_lo_u32 v29, s25, v11
	v_mad_u64_u32 v[26:27], null, s24, v11, 0
	v_mul_lo_u32 v33, s24, v28
	s_delay_alu instid0(VALU_DEP_2) | instskip(NEXT) | instid1(VALU_DEP_2)
	v_sub_co_u32 v26, vcc_lo, v42, v26
	v_add3_u32 v27, v27, v33, v29
	s_delay_alu instid0(VALU_DEP_1) | instskip(NEXT) | instid1(VALU_DEP_1)
	v_sub_nc_u32_e32 v29, v44, v27
	v_subrev_co_ci_u32_e64 v29, s1, s25, v29, vcc_lo
	v_add_co_u32 v33, s1, v11, 2
	s_delay_alu instid0(VALU_DEP_1) | instskip(SKIP_3) | instid1(VALU_DEP_3)
	v_add_co_ci_u32_e64 v34, s1, 0, v28, s1
	v_sub_co_u32 v42, s1, v26, s24
	v_sub_co_ci_u32_e32 v27, vcc_lo, v44, v27, vcc_lo
	v_subrev_co_ci_u32_e64 v29, s1, 0, v29, s1
	v_cmp_le_u32_e32 vcc_lo, s24, v42
	s_delay_alu instid0(VALU_DEP_3) | instskip(SKIP_1) | instid1(VALU_DEP_4)
	v_cmp_eq_u32_e64 s1, s25, v27
	v_cndmask_b32_e64 v42, 0, -1, vcc_lo
	v_cmp_le_u32_e32 vcc_lo, s25, v29
	v_cndmask_b32_e64 v43, 0, -1, vcc_lo
	v_cmp_le_u32_e32 vcc_lo, s24, v26
	;; [unrolled: 2-line block ×3, first 2 shown]
	v_cndmask_b32_e64 v44, 0, -1, vcc_lo
	v_cmp_eq_u32_e32 vcc_lo, s25, v29
	s_delay_alu instid0(VALU_DEP_2) | instskip(SKIP_3) | instid1(VALU_DEP_3)
	v_cndmask_b32_e64 v26, v44, v26, s1
	v_cndmask_b32_e32 v29, v43, v42, vcc_lo
	v_add_co_u32 v42, vcc_lo, v11, 1
	v_add_co_ci_u32_e32 v43, vcc_lo, 0, v28, vcc_lo
	v_cmp_ne_u32_e32 vcc_lo, 0, v29
	s_delay_alu instid0(VALU_DEP_2) | instskip(NEXT) | instid1(VALU_DEP_4)
	v_cndmask_b32_e32 v27, v43, v34, vcc_lo
	v_cndmask_b32_e32 v29, v42, v33, vcc_lo
	v_cmp_ne_u32_e32 vcc_lo, 0, v26
	v_xor_b32_e32 v33, s18, v35
	s_delay_alu instid0(VALU_DEP_3) | instskip(NEXT) | instid1(VALU_DEP_1)
	v_dual_cndmask_b32 v11, v11, v29 :: v_dual_cndmask_b32 v26, v28, v27
	v_xor_b32_e32 v11, v11, v33
	s_delay_alu instid0(VALU_DEP_2) | instskip(NEXT) | instid1(VALU_DEP_2)
	v_xor_b32_e32 v27, v26, v33
	v_sub_co_u32 v26, vcc_lo, v11, v33
	s_delay_alu instid0(VALU_DEP_2)
	v_sub_co_ci_u32_e32 v27, vcc_lo, v27, v33, vcc_lo
.LBB107_37:                             ;   in Loop: Header=BB107_34 Depth=2
	s_and_not1_saveexec_b32 s1, s37
	s_cbranch_execz .LBB107_39
; %bb.38:                               ;   in Loop: Header=BB107_34 Depth=2
	v_cvt_f32_u32_e32 v11, s8
	s_sub_i32 s19, 0, s8
	s_delay_alu instid0(VALU_DEP_1) | instskip(SKIP_2) | instid1(VALU_DEP_1)
	v_rcp_iflag_f32_e32 v11, v11
	s_waitcnt_depctr 0xfff
	v_mul_f32_e32 v11, 0x4f7ffffe, v11
	v_cvt_u32_f32_e32 v11, v11
	s_delay_alu instid0(VALU_DEP_1) | instskip(NEXT) | instid1(VALU_DEP_1)
	v_mul_lo_u32 v26, s19, v11
	v_mul_hi_u32 v26, v11, v26
	s_delay_alu instid0(VALU_DEP_1) | instskip(NEXT) | instid1(VALU_DEP_1)
	v_add_nc_u32_e32 v11, v11, v26
	v_mul_hi_u32 v11, v24, v11
	s_delay_alu instid0(VALU_DEP_1) | instskip(SKIP_1) | instid1(VALU_DEP_2)
	v_mul_lo_u32 v26, v11, s8
	v_add_nc_u32_e32 v27, 1, v11
	v_sub_nc_u32_e32 v26, v24, v26
	s_delay_alu instid0(VALU_DEP_1) | instskip(SKIP_1) | instid1(VALU_DEP_2)
	v_subrev_nc_u32_e32 v28, s8, v26
	v_cmp_le_u32_e32 vcc_lo, s8, v26
	v_dual_cndmask_b32 v26, v26, v28 :: v_dual_cndmask_b32 v11, v11, v27
	s_delay_alu instid0(VALU_DEP_1) | instskip(NEXT) | instid1(VALU_DEP_2)
	v_cmp_le_u32_e32 vcc_lo, s8, v26
	v_add_nc_u32_e32 v27, 1, v11
	s_delay_alu instid0(VALU_DEP_1)
	v_dual_cndmask_b32 v26, v11, v27 :: v_dual_mov_b32 v27, v10
.LBB107_39:                             ;   in Loop: Header=BB107_34 Depth=2
	s_or_b32 exec_lo, exec_lo, s1
	v_or_b32_e32 v11, s9, v31
                                        ; implicit-def: $vgpr28_vgpr29
	s_mov_b32 s1, exec_lo
	s_delay_alu instid0(VALU_DEP_1)
	v_cmpx_ne_u64_e32 0, v[10:11]
	s_xor_b32 s37, exec_lo, s1
	s_cbranch_execnz .LBB107_42
; %bb.40:                               ;   in Loop: Header=BB107_34 Depth=2
	s_and_not1_saveexec_b32 s1, s37
	s_cbranch_execnz .LBB107_43
.LBB107_41:                             ;   in Loop: Header=BB107_34 Depth=2
	s_or_b32 exec_lo, exec_lo, s1
	s_delay_alu instid0(VALU_DEP_1)
	v_cmp_eq_u64_e32 vcc_lo, v[26:27], v[28:29]
	s_and_b32 exec_lo, exec_lo, vcc_lo
	s_cbranch_execz .LBB107_33
	s_branch .LBB107_44
.LBB107_42:                             ;   in Loop: Header=BB107_34 Depth=2
	s_add_u32 s24, s8, s18
	s_mov_b32 s19, s18
	s_addc_u32 s25, s9, s18
	s_delay_alu instid0(SALU_CYCLE_1) | instskip(NEXT) | instid1(SALU_CYCLE_1)
	s_xor_b64 s[24:25], s[24:25], s[18:19]
	v_cvt_f32_u32_e32 v11, s24
	v_cvt_f32_u32_e32 v28, s25
	s_sub_u32 s1, 0, s24
	s_subb_u32 s19, 0, s25
	s_delay_alu instid0(VALU_DEP_1) | instskip(NEXT) | instid1(VALU_DEP_1)
	v_fmac_f32_e32 v11, 0x4f800000, v28
	v_rcp_f32_e32 v11, v11
	s_waitcnt_depctr 0xfff
	v_mul_f32_e32 v11, 0x5f7ffffc, v11
	s_delay_alu instid0(VALU_DEP_1) | instskip(NEXT) | instid1(VALU_DEP_1)
	v_mul_f32_e32 v28, 0x2f800000, v11
	v_trunc_f32_e32 v28, v28
	s_delay_alu instid0(VALU_DEP_1) | instskip(SKIP_1) | instid1(VALU_DEP_2)
	v_fmac_f32_e32 v11, 0xcf800000, v28
	v_cvt_u32_f32_e32 v28, v28
	v_cvt_u32_f32_e32 v11, v11
	s_delay_alu instid0(VALU_DEP_2) | instskip(NEXT) | instid1(VALU_DEP_2)
	v_mul_lo_u32 v29, s1, v28
	v_mul_hi_u32 v33, s1, v11
	v_mul_lo_u32 v34, s19, v11
	s_delay_alu instid0(VALU_DEP_2) | instskip(SKIP_1) | instid1(VALU_DEP_2)
	v_add_nc_u32_e32 v29, v33, v29
	v_mul_lo_u32 v33, s1, v11
	v_add_nc_u32_e32 v29, v29, v34
	s_delay_alu instid0(VALU_DEP_2) | instskip(NEXT) | instid1(VALU_DEP_2)
	v_mul_hi_u32 v34, v11, v33
	v_mul_lo_u32 v35, v11, v29
	v_mul_hi_u32 v42, v11, v29
	v_mul_hi_u32 v43, v28, v33
	v_mul_lo_u32 v33, v28, v33
	v_mul_hi_u32 v44, v28, v29
	v_mul_lo_u32 v29, v28, v29
	v_add_co_u32 v34, vcc_lo, v34, v35
	v_add_co_ci_u32_e32 v35, vcc_lo, 0, v42, vcc_lo
	s_delay_alu instid0(VALU_DEP_2) | instskip(NEXT) | instid1(VALU_DEP_2)
	v_add_co_u32 v33, vcc_lo, v34, v33
	v_add_co_ci_u32_e32 v33, vcc_lo, v35, v43, vcc_lo
	v_add_co_ci_u32_e32 v34, vcc_lo, 0, v44, vcc_lo
	v_ashrrev_i32_e32 v44, 31, v31
	s_delay_alu instid0(VALU_DEP_3) | instskip(NEXT) | instid1(VALU_DEP_3)
	v_add_co_u32 v29, vcc_lo, v33, v29
	v_add_co_ci_u32_e32 v33, vcc_lo, 0, v34, vcc_lo
	s_delay_alu instid0(VALU_DEP_2) | instskip(NEXT) | instid1(VALU_DEP_2)
	v_add_co_u32 v11, vcc_lo, v11, v29
	v_add_co_ci_u32_e32 v28, vcc_lo, v28, v33, vcc_lo
	s_delay_alu instid0(VALU_DEP_2) | instskip(SKIP_1) | instid1(VALU_DEP_3)
	v_mul_hi_u32 v29, s1, v11
	v_mul_lo_u32 v34, s19, v11
	v_mul_lo_u32 v33, s1, v28
	s_delay_alu instid0(VALU_DEP_1) | instskip(SKIP_1) | instid1(VALU_DEP_2)
	v_add_nc_u32_e32 v29, v29, v33
	v_mul_lo_u32 v33, s1, v11
	v_add_nc_u32_e32 v29, v29, v34
	s_delay_alu instid0(VALU_DEP_2) | instskip(NEXT) | instid1(VALU_DEP_2)
	v_mul_hi_u32 v34, v11, v33
	v_mul_lo_u32 v35, v11, v29
	v_mul_hi_u32 v42, v11, v29
	v_mul_hi_u32 v43, v28, v33
	v_mul_lo_u32 v33, v28, v33
	v_mul_hi_u32 v45, v28, v29
	v_mul_lo_u32 v29, v28, v29
	v_add_co_u32 v34, vcc_lo, v34, v35
	v_add_co_ci_u32_e32 v35, vcc_lo, 0, v42, vcc_lo
	s_delay_alu instid0(VALU_DEP_2) | instskip(NEXT) | instid1(VALU_DEP_2)
	v_add_co_u32 v33, vcc_lo, v34, v33
	v_add_co_ci_u32_e32 v33, vcc_lo, v35, v43, vcc_lo
	v_add_co_ci_u32_e32 v34, vcc_lo, 0, v45, vcc_lo
	v_add_co_u32 v35, vcc_lo, v30, v44
	v_add_co_ci_u32_e32 v42, vcc_lo, v31, v44, vcc_lo
	s_delay_alu instid0(VALU_DEP_4) | instskip(NEXT) | instid1(VALU_DEP_4)
	v_add_co_u32 v29, vcc_lo, v33, v29
	v_add_co_ci_u32_e32 v33, vcc_lo, 0, v34, vcc_lo
	s_delay_alu instid0(VALU_DEP_4) | instskip(NEXT) | instid1(VALU_DEP_3)
	v_xor_b32_e32 v35, v35, v44
	v_add_co_u32 v11, vcc_lo, v11, v29
	s_delay_alu instid0(VALU_DEP_3) | instskip(SKIP_1) | instid1(VALU_DEP_3)
	v_add_co_ci_u32_e32 v45, vcc_lo, v28, v33, vcc_lo
	v_xor_b32_e32 v46, v42, v44
	v_mul_hi_u32 v47, v35, v11
	s_delay_alu instid0(VALU_DEP_3) | instskip(NEXT) | instid1(VALU_DEP_3)
	v_mad_u64_u32 v[28:29], null, v35, v45, 0
	v_mad_u64_u32 v[33:34], null, v46, v11, 0
	;; [unrolled: 1-line block ×3, first 2 shown]
	s_delay_alu instid0(VALU_DEP_3) | instskip(NEXT) | instid1(VALU_DEP_4)
	v_add_co_u32 v11, vcc_lo, v47, v28
	v_add_co_ci_u32_e32 v28, vcc_lo, 0, v29, vcc_lo
	s_delay_alu instid0(VALU_DEP_2) | instskip(NEXT) | instid1(VALU_DEP_2)
	v_add_co_u32 v11, vcc_lo, v11, v33
	v_add_co_ci_u32_e32 v11, vcc_lo, v28, v34, vcc_lo
	v_add_co_ci_u32_e32 v28, vcc_lo, 0, v43, vcc_lo
	s_delay_alu instid0(VALU_DEP_2) | instskip(NEXT) | instid1(VALU_DEP_2)
	v_add_co_u32 v11, vcc_lo, v11, v42
	v_add_co_ci_u32_e32 v33, vcc_lo, 0, v28, vcc_lo
	s_delay_alu instid0(VALU_DEP_2) | instskip(SKIP_1) | instid1(VALU_DEP_3)
	v_mul_lo_u32 v34, s25, v11
	v_mad_u64_u32 v[28:29], null, s24, v11, 0
	v_mul_lo_u32 v42, s24, v33
	s_delay_alu instid0(VALU_DEP_2) | instskip(NEXT) | instid1(VALU_DEP_2)
	v_sub_co_u32 v28, vcc_lo, v35, v28
	v_add3_u32 v29, v29, v42, v34
	s_delay_alu instid0(VALU_DEP_1) | instskip(NEXT) | instid1(VALU_DEP_1)
	v_sub_nc_u32_e32 v34, v46, v29
	v_subrev_co_ci_u32_e64 v34, s1, s25, v34, vcc_lo
	v_add_co_u32 v35, s1, v11, 2
	s_delay_alu instid0(VALU_DEP_1) | instskip(SKIP_3) | instid1(VALU_DEP_3)
	v_add_co_ci_u32_e64 v42, s1, 0, v33, s1
	v_sub_co_u32 v43, s1, v28, s24
	v_sub_co_ci_u32_e32 v29, vcc_lo, v46, v29, vcc_lo
	v_subrev_co_ci_u32_e64 v34, s1, 0, v34, s1
	v_cmp_le_u32_e32 vcc_lo, s24, v43
	s_delay_alu instid0(VALU_DEP_3) | instskip(SKIP_1) | instid1(VALU_DEP_4)
	v_cmp_eq_u32_e64 s1, s25, v29
	v_cndmask_b32_e64 v43, 0, -1, vcc_lo
	v_cmp_le_u32_e32 vcc_lo, s25, v34
	v_cndmask_b32_e64 v45, 0, -1, vcc_lo
	v_cmp_le_u32_e32 vcc_lo, s24, v28
	;; [unrolled: 2-line block ×3, first 2 shown]
	v_cndmask_b32_e64 v46, 0, -1, vcc_lo
	v_cmp_eq_u32_e32 vcc_lo, s25, v34
	s_delay_alu instid0(VALU_DEP_2) | instskip(SKIP_3) | instid1(VALU_DEP_3)
	v_cndmask_b32_e64 v28, v46, v28, s1
	v_cndmask_b32_e32 v34, v45, v43, vcc_lo
	v_add_co_u32 v43, vcc_lo, v11, 1
	v_add_co_ci_u32_e32 v45, vcc_lo, 0, v33, vcc_lo
	v_cmp_ne_u32_e32 vcc_lo, 0, v34
	s_delay_alu instid0(VALU_DEP_2) | instskip(SKIP_2) | instid1(VALU_DEP_3)
	v_dual_cndmask_b32 v34, v43, v35 :: v_dual_cndmask_b32 v29, v45, v42
	v_cmp_ne_u32_e32 vcc_lo, 0, v28
	v_xor_b32_e32 v35, s18, v44
	v_dual_cndmask_b32 v11, v11, v34 :: v_dual_cndmask_b32 v28, v33, v29
	s_delay_alu instid0(VALU_DEP_1) | instskip(NEXT) | instid1(VALU_DEP_2)
	v_xor_b32_e32 v11, v11, v35
	v_xor_b32_e32 v29, v28, v35
	s_delay_alu instid0(VALU_DEP_2) | instskip(NEXT) | instid1(VALU_DEP_2)
	v_sub_co_u32 v28, vcc_lo, v11, v35
	v_sub_co_ci_u32_e32 v29, vcc_lo, v29, v35, vcc_lo
	s_and_not1_saveexec_b32 s1, s37
	s_cbranch_execz .LBB107_41
.LBB107_43:                             ;   in Loop: Header=BB107_34 Depth=2
	v_cvt_f32_u32_e32 v11, s8
	s_sub_i32 s19, 0, s8
	s_delay_alu instid0(VALU_DEP_1) | instskip(SKIP_2) | instid1(VALU_DEP_1)
	v_rcp_iflag_f32_e32 v11, v11
	s_waitcnt_depctr 0xfff
	v_mul_f32_e32 v11, 0x4f7ffffe, v11
	v_cvt_u32_f32_e32 v11, v11
	s_delay_alu instid0(VALU_DEP_1) | instskip(NEXT) | instid1(VALU_DEP_1)
	v_mul_lo_u32 v28, s19, v11
	v_mul_hi_u32 v28, v11, v28
	s_delay_alu instid0(VALU_DEP_1) | instskip(NEXT) | instid1(VALU_DEP_1)
	v_add_nc_u32_e32 v11, v11, v28
	v_mul_hi_u32 v11, v30, v11
	s_delay_alu instid0(VALU_DEP_1) | instskip(SKIP_1) | instid1(VALU_DEP_2)
	v_mul_lo_u32 v28, v11, s8
	v_add_nc_u32_e32 v29, 1, v11
	v_sub_nc_u32_e32 v28, v30, v28
	s_delay_alu instid0(VALU_DEP_1) | instskip(SKIP_1) | instid1(VALU_DEP_2)
	v_subrev_nc_u32_e32 v33, s8, v28
	v_cmp_le_u32_e32 vcc_lo, s8, v28
	v_cndmask_b32_e32 v28, v28, v33, vcc_lo
	v_cndmask_b32_e32 v11, v11, v29, vcc_lo
	s_delay_alu instid0(VALU_DEP_2) | instskip(NEXT) | instid1(VALU_DEP_2)
	v_cmp_le_u32_e32 vcc_lo, s8, v28
	v_add_nc_u32_e32 v29, 1, v11
	s_delay_alu instid0(VALU_DEP_1) | instskip(SKIP_1) | instid1(VALU_DEP_1)
	v_dual_cndmask_b32 v28, v11, v29 :: v_dual_mov_b32 v29, v10
	s_or_b32 exec_lo, exec_lo, s1
	v_cmp_eq_u64_e32 vcc_lo, v[26:27], v[28:29]
	s_and_b32 exec_lo, exec_lo, vcc_lo
	s_cbranch_execz .LBB107_33
.LBB107_44:                             ;   in Loop: Header=BB107_34 Depth=2
	s_and_b32 vcc_lo, exec_lo, s33
	s_cbranch_vccz .LBB107_46
; %bb.45:                               ;   in Loop: Header=BB107_34 Depth=2
	v_mul_lo_u32 v11, v27, s8
	v_mul_lo_u32 v29, v26, s9
	v_mad_u64_u32 v[27:28], null, v26, s8, 0
	s_lshl_b64 s[24:25], s[20:21], 8
	s_delay_alu instid0(SALU_CYCLE_1) | instskip(SKIP_1) | instid1(VALU_DEP_1)
	s_add_u32 s1, s24, s2
	s_addc_u32 s19, s25, s3
	v_add3_u32 v11, v28, v29, v11
	s_delay_alu instid0(VALU_DEP_2) | instskip(NEXT) | instid1(VALU_DEP_2)
	v_sub_co_u32 v26, vcc_lo, v24, v27
	v_sub_co_ci_u32_e32 v11, vcc_lo, v25, v11, vcc_lo
	s_delay_alu instid0(VALU_DEP_2) | instskip(NEXT) | instid1(VALU_DEP_2)
	v_add_co_u32 v28, vcc_lo, v26, v16
	v_add_co_ci_u32_e32 v11, vcc_lo, v11, v17, vcc_lo
	s_delay_alu instid0(VALU_DEP_2) | instskip(SKIP_1) | instid1(VALU_DEP_3)
	v_mul_lo_u32 v29, v28, s9
	v_mad_u64_u32 v[26:27], null, v28, s8, 0
	v_mul_lo_u32 v11, v11, s8
	s_delay_alu instid0(VALU_DEP_1) | instskip(SKIP_1) | instid1(VALU_DEP_2)
	v_add3_u32 v27, v27, v29, v11
	v_lshlrev_b32_e32 v11, 3, v0
	v_lshlrev_b64 v[26:27], 3, v[26:27]
	s_delay_alu instid0(VALU_DEP_1) | instskip(NEXT) | instid1(VALU_DEP_2)
	v_add_co_u32 v26, vcc_lo, s1, v26
	v_add_co_ci_u32_e32 v27, vcc_lo, s19, v27, vcc_lo
	s_delay_alu instid0(VALU_DEP_2) | instskip(NEXT) | instid1(VALU_DEP_2)
	v_add_co_u32 v26, vcc_lo, v26, v11
	v_add_co_ci_u32_e32 v27, vcc_lo, 0, v27, vcc_lo
	s_cbranch_execnz .LBB107_32
	s_branch .LBB107_47
.LBB107_46:                             ;   in Loop: Header=BB107_34 Depth=2
                                        ; implicit-def: $vgpr26_vgpr27
.LBB107_47:                             ;   in Loop: Header=BB107_34 Depth=2
	v_mov_b32_e32 v11, v32
                                        ; implicit-def: $vgpr26_vgpr27
	s_mov_b32 s1, exec_lo
	s_delay_alu instid0(VALU_DEP_1)
	v_cmpx_ne_u64_e32 0, v[10:11]
	s_xor_b32 s37, exec_lo, s1
	s_cbranch_execz .LBB107_49
; %bb.48:                               ;   in Loop: Header=BB107_34 Depth=2
	s_add_u32 s24, s8, s18
	s_mov_b32 s19, s18
	s_addc_u32 s25, s9, s18
	s_delay_alu instid0(SALU_CYCLE_1) | instskip(NEXT) | instid1(SALU_CYCLE_1)
	s_xor_b64 s[24:25], s[24:25], s[18:19]
	v_cvt_f32_u32_e32 v11, s24
	v_cvt_f32_u32_e32 v26, s25
	s_sub_u32 s1, 0, s24
	s_subb_u32 s19, 0, s25
	s_delay_alu instid0(VALU_DEP_1) | instskip(NEXT) | instid1(VALU_DEP_1)
	v_fmac_f32_e32 v11, 0x4f800000, v26
	v_rcp_f32_e32 v11, v11
	s_waitcnt_depctr 0xfff
	v_mul_f32_e32 v11, 0x5f7ffffc, v11
	s_delay_alu instid0(VALU_DEP_1) | instskip(NEXT) | instid1(VALU_DEP_1)
	v_mul_f32_e32 v26, 0x2f800000, v11
	v_trunc_f32_e32 v26, v26
	s_delay_alu instid0(VALU_DEP_1) | instskip(SKIP_1) | instid1(VALU_DEP_2)
	v_fmac_f32_e32 v11, 0xcf800000, v26
	v_cvt_u32_f32_e32 v26, v26
	v_cvt_u32_f32_e32 v11, v11
	s_delay_alu instid0(VALU_DEP_2) | instskip(NEXT) | instid1(VALU_DEP_2)
	v_mul_lo_u32 v27, s1, v26
	v_mul_hi_u32 v28, s1, v11
	v_mul_lo_u32 v29, s19, v11
	s_delay_alu instid0(VALU_DEP_2) | instskip(SKIP_1) | instid1(VALU_DEP_2)
	v_add_nc_u32_e32 v27, v28, v27
	v_mul_lo_u32 v28, s1, v11
	v_add_nc_u32_e32 v27, v27, v29
	s_delay_alu instid0(VALU_DEP_2) | instskip(NEXT) | instid1(VALU_DEP_2)
	v_mul_hi_u32 v29, v11, v28
	v_mul_lo_u32 v32, v11, v27
	v_mul_hi_u32 v33, v11, v27
	v_mul_hi_u32 v34, v26, v28
	v_mul_lo_u32 v28, v26, v28
	v_mul_hi_u32 v35, v26, v27
	v_mul_lo_u32 v27, v26, v27
	v_add_co_u32 v29, vcc_lo, v29, v32
	v_add_co_ci_u32_e32 v32, vcc_lo, 0, v33, vcc_lo
	s_delay_alu instid0(VALU_DEP_2) | instskip(NEXT) | instid1(VALU_DEP_2)
	v_add_co_u32 v28, vcc_lo, v29, v28
	v_add_co_ci_u32_e32 v28, vcc_lo, v32, v34, vcc_lo
	v_add_co_ci_u32_e32 v29, vcc_lo, 0, v35, vcc_lo
	v_ashrrev_i32_e32 v34, 31, v25
	s_delay_alu instid0(VALU_DEP_3) | instskip(NEXT) | instid1(VALU_DEP_3)
	v_add_co_u32 v27, vcc_lo, v28, v27
	v_add_co_ci_u32_e32 v28, vcc_lo, 0, v29, vcc_lo
	s_delay_alu instid0(VALU_DEP_2) | instskip(NEXT) | instid1(VALU_DEP_2)
	v_add_co_u32 v11, vcc_lo, v11, v27
	v_add_co_ci_u32_e32 v26, vcc_lo, v26, v28, vcc_lo
	s_delay_alu instid0(VALU_DEP_2) | instskip(SKIP_1) | instid1(VALU_DEP_3)
	v_mul_hi_u32 v27, s1, v11
	v_mul_lo_u32 v29, s19, v11
	v_mul_lo_u32 v28, s1, v26
	s_delay_alu instid0(VALU_DEP_1) | instskip(SKIP_1) | instid1(VALU_DEP_2)
	v_add_nc_u32_e32 v27, v27, v28
	v_mul_lo_u32 v28, s1, v11
	v_add_nc_u32_e32 v27, v27, v29
	s_delay_alu instid0(VALU_DEP_2) | instskip(NEXT) | instid1(VALU_DEP_2)
	v_mul_hi_u32 v29, v11, v28
	v_mul_lo_u32 v32, v11, v27
	v_mul_hi_u32 v33, v11, v27
	v_mul_hi_u32 v35, v26, v28
	v_mul_lo_u32 v28, v26, v28
	v_mul_hi_u32 v42, v26, v27
	v_mul_lo_u32 v27, v26, v27
	v_add_co_u32 v29, vcc_lo, v29, v32
	v_add_co_ci_u32_e32 v32, vcc_lo, 0, v33, vcc_lo
	s_delay_alu instid0(VALU_DEP_2) | instskip(NEXT) | instid1(VALU_DEP_2)
	v_add_co_u32 v28, vcc_lo, v29, v28
	v_add_co_ci_u32_e32 v28, vcc_lo, v32, v35, vcc_lo
	v_add_co_ci_u32_e32 v29, vcc_lo, 0, v42, vcc_lo
	v_add_co_u32 v24, vcc_lo, v24, v34
	v_add_co_ci_u32_e32 v25, vcc_lo, v25, v34, vcc_lo
	s_delay_alu instid0(VALU_DEP_4) | instskip(NEXT) | instid1(VALU_DEP_4)
	v_add_co_u32 v27, vcc_lo, v28, v27
	v_add_co_ci_u32_e32 v28, vcc_lo, 0, v29, vcc_lo
	s_delay_alu instid0(VALU_DEP_4) | instskip(NEXT) | instid1(VALU_DEP_3)
	v_xor_b32_e32 v32, v24, v34
	v_add_co_u32 v11, vcc_lo, v11, v27
	s_delay_alu instid0(VALU_DEP_3) | instskip(SKIP_1) | instid1(VALU_DEP_3)
	v_add_co_ci_u32_e32 v33, vcc_lo, v26, v28, vcc_lo
	v_xor_b32_e32 v35, v25, v34
	v_mul_hi_u32 v42, v32, v11
	s_delay_alu instid0(VALU_DEP_3) | instskip(NEXT) | instid1(VALU_DEP_3)
	v_mad_u64_u32 v[24:25], null, v32, v33, 0
	v_mad_u64_u32 v[26:27], null, v35, v11, 0
	;; [unrolled: 1-line block ×3, first 2 shown]
	s_delay_alu instid0(VALU_DEP_3) | instskip(NEXT) | instid1(VALU_DEP_4)
	v_add_co_u32 v11, vcc_lo, v42, v24
	v_add_co_ci_u32_e32 v24, vcc_lo, 0, v25, vcc_lo
	s_delay_alu instid0(VALU_DEP_2) | instskip(NEXT) | instid1(VALU_DEP_2)
	v_add_co_u32 v11, vcc_lo, v11, v26
	v_add_co_ci_u32_e32 v11, vcc_lo, v24, v27, vcc_lo
	v_add_co_ci_u32_e32 v24, vcc_lo, 0, v29, vcc_lo
	s_delay_alu instid0(VALU_DEP_2) | instskip(NEXT) | instid1(VALU_DEP_2)
	v_add_co_u32 v11, vcc_lo, v11, v28
	v_add_co_ci_u32_e32 v26, vcc_lo, 0, v24, vcc_lo
	s_delay_alu instid0(VALU_DEP_2) | instskip(SKIP_1) | instid1(VALU_DEP_3)
	v_mul_lo_u32 v27, s25, v11
	v_mad_u64_u32 v[24:25], null, s24, v11, 0
	v_mul_lo_u32 v11, s24, v26
	s_delay_alu instid0(VALU_DEP_2) | instskip(NEXT) | instid1(VALU_DEP_2)
	v_sub_co_u32 v24, vcc_lo, v32, v24
	v_add3_u32 v11, v25, v11, v27
	s_delay_alu instid0(VALU_DEP_1) | instskip(NEXT) | instid1(VALU_DEP_1)
	v_sub_nc_u32_e32 v25, v35, v11
	v_subrev_co_ci_u32_e64 v25, s1, s25, v25, vcc_lo
	v_sub_co_ci_u32_e32 v11, vcc_lo, v35, v11, vcc_lo
	v_sub_co_u32 v26, vcc_lo, v24, s24
	s_delay_alu instid0(VALU_DEP_1) | instskip(SKIP_3) | instid1(VALU_DEP_3)
	v_subrev_co_ci_u32_e64 v27, s1, 0, v25, vcc_lo
	v_cmp_le_u32_e64 s1, s24, v24
	v_subrev_co_ci_u32_e32 v25, vcc_lo, s25, v25, vcc_lo
	v_cmp_le_u32_e32 vcc_lo, s25, v11
	v_cndmask_b32_e64 v28, 0, -1, s1
	v_cmp_le_u32_e64 s1, s24, v26
	v_cndmask_b32_e64 v33, 0, -1, vcc_lo
	v_cmp_eq_u32_e32 vcc_lo, s25, v27
	s_delay_alu instid0(VALU_DEP_3) | instskip(SKIP_1) | instid1(VALU_DEP_1)
	v_cndmask_b32_e64 v29, 0, -1, s1
	v_cmp_le_u32_e64 s1, s25, v27
	v_cndmask_b32_e64 v32, 0, -1, s1
	v_cmp_eq_u32_e64 s1, s25, v11
	s_delay_alu instid0(VALU_DEP_2) | instskip(SKIP_2) | instid1(VALU_DEP_3)
	v_cndmask_b32_e32 v29, v32, v29, vcc_lo
	v_sub_co_u32 v32, vcc_lo, v26, s24
	v_subrev_co_ci_u32_e32 v25, vcc_lo, 0, v25, vcc_lo
	v_cmp_ne_u32_e32 vcc_lo, 0, v29
	v_cndmask_b32_e64 v28, v33, v28, s1
	s_delay_alu instid0(VALU_DEP_3) | instskip(NEXT) | instid1(VALU_DEP_2)
	v_dual_cndmask_b32 v25, v27, v25 :: v_dual_cndmask_b32 v26, v26, v32
	v_cmp_ne_u32_e32 vcc_lo, 0, v28
	s_delay_alu instid0(VALU_DEP_2) | instskip(NEXT) | instid1(VALU_DEP_1)
	v_dual_cndmask_b32 v24, v24, v26 :: v_dual_cndmask_b32 v11, v11, v25
	v_xor_b32_e32 v24, v24, v34
	s_delay_alu instid0(VALU_DEP_2) | instskip(NEXT) | instid1(VALU_DEP_2)
	v_xor_b32_e32 v11, v11, v34
	v_sub_co_u32 v26, vcc_lo, v24, v34
	s_delay_alu instid0(VALU_DEP_2)
	v_sub_co_ci_u32_e32 v27, vcc_lo, v11, v34, vcc_lo
                                        ; implicit-def: $vgpr24_vgpr25
.LBB107_49:                             ;   in Loop: Header=BB107_34 Depth=2
	s_and_not1_saveexec_b32 s1, s37
	s_cbranch_execz .LBB107_31
; %bb.50:                               ;   in Loop: Header=BB107_34 Depth=2
	v_cvt_f32_u32_e32 v11, s8
	s_sub_i32 s19, 0, s8
	v_mov_b32_e32 v27, v10
	s_delay_alu instid0(VALU_DEP_2) | instskip(SKIP_2) | instid1(VALU_DEP_1)
	v_rcp_iflag_f32_e32 v11, v11
	s_waitcnt_depctr 0xfff
	v_mul_f32_e32 v11, 0x4f7ffffe, v11
	v_cvt_u32_f32_e32 v11, v11
	s_delay_alu instid0(VALU_DEP_1) | instskip(NEXT) | instid1(VALU_DEP_1)
	v_mul_lo_u32 v25, s19, v11
	v_mul_hi_u32 v25, v11, v25
	s_delay_alu instid0(VALU_DEP_1) | instskip(NEXT) | instid1(VALU_DEP_1)
	v_add_nc_u32_e32 v11, v11, v25
	v_mul_hi_u32 v11, v24, v11
	s_delay_alu instid0(VALU_DEP_1) | instskip(NEXT) | instid1(VALU_DEP_1)
	v_mul_lo_u32 v11, v11, s8
	v_sub_nc_u32_e32 v11, v24, v11
	s_delay_alu instid0(VALU_DEP_1) | instskip(SKIP_1) | instid1(VALU_DEP_2)
	v_subrev_nc_u32_e32 v24, s8, v11
	v_cmp_le_u32_e32 vcc_lo, s8, v11
	v_cndmask_b32_e32 v11, v11, v24, vcc_lo
	s_delay_alu instid0(VALU_DEP_1) | instskip(SKIP_1) | instid1(VALU_DEP_2)
	v_subrev_nc_u32_e32 v24, s8, v11
	v_cmp_le_u32_e32 vcc_lo, s8, v11
	v_cndmask_b32_e32 v26, v11, v24, vcc_lo
	s_branch .LBB107_31
.LBB107_51:                             ;   in Loop: Header=BB107_10 Depth=1
	s_add_u32 s20, s8, s18
	s_mov_b32 s19, s18
	s_addc_u32 s21, s9, s18
	s_delay_alu instid0(SALU_CYCLE_1) | instskip(NEXT) | instid1(SALU_CYCLE_1)
	s_xor_b64 s[20:21], s[20:21], s[18:19]
	v_cvt_f32_u32_e32 v11, s20
	v_cvt_f32_u32_e32 v18, s21
	s_sub_u32 s1, 0, s20
	s_subb_u32 s19, 0, s21
	s_delay_alu instid0(VALU_DEP_1) | instskip(NEXT) | instid1(VALU_DEP_1)
	v_fmac_f32_e32 v11, 0x4f800000, v18
	v_rcp_f32_e32 v11, v11
	s_waitcnt_depctr 0xfff
	v_mul_f32_e32 v11, 0x5f7ffffc, v11
	s_delay_alu instid0(VALU_DEP_1) | instskip(NEXT) | instid1(VALU_DEP_1)
	v_mul_f32_e32 v18, 0x2f800000, v11
	v_trunc_f32_e32 v18, v18
	s_delay_alu instid0(VALU_DEP_1) | instskip(SKIP_1) | instid1(VALU_DEP_2)
	v_fmac_f32_e32 v11, 0xcf800000, v18
	v_cvt_u32_f32_e32 v18, v18
	v_cvt_u32_f32_e32 v11, v11
	s_delay_alu instid0(VALU_DEP_2) | instskip(NEXT) | instid1(VALU_DEP_2)
	v_mul_lo_u32 v19, s1, v18
	v_mul_hi_u32 v20, s1, v11
	v_mul_lo_u32 v21, s19, v11
	s_delay_alu instid0(VALU_DEP_2) | instskip(SKIP_1) | instid1(VALU_DEP_2)
	v_add_nc_u32_e32 v19, v20, v19
	v_mul_lo_u32 v20, s1, v11
	v_add_nc_u32_e32 v19, v19, v21
	s_delay_alu instid0(VALU_DEP_2) | instskip(NEXT) | instid1(VALU_DEP_2)
	v_mul_hi_u32 v21, v11, v20
	v_mul_lo_u32 v22, v11, v19
	v_mul_hi_u32 v23, v11, v19
	v_mul_hi_u32 v24, v18, v20
	v_mul_lo_u32 v20, v18, v20
	v_mul_hi_u32 v25, v18, v19
	v_mul_lo_u32 v19, v18, v19
	v_add_co_u32 v21, vcc_lo, v21, v22
	v_add_co_ci_u32_e32 v22, vcc_lo, 0, v23, vcc_lo
	s_delay_alu instid0(VALU_DEP_2) | instskip(NEXT) | instid1(VALU_DEP_2)
	v_add_co_u32 v20, vcc_lo, v21, v20
	v_add_co_ci_u32_e32 v20, vcc_lo, v22, v24, vcc_lo
	v_add_co_ci_u32_e32 v21, vcc_lo, 0, v25, vcc_lo
	v_ashrrev_i32_e32 v24, 31, v17
	s_delay_alu instid0(VALU_DEP_3) | instskip(NEXT) | instid1(VALU_DEP_3)
	v_add_co_u32 v19, vcc_lo, v20, v19
	v_add_co_ci_u32_e32 v20, vcc_lo, 0, v21, vcc_lo
	s_delay_alu instid0(VALU_DEP_2) | instskip(NEXT) | instid1(VALU_DEP_2)
	v_add_co_u32 v11, vcc_lo, v11, v19
	v_add_co_ci_u32_e32 v18, vcc_lo, v18, v20, vcc_lo
	s_delay_alu instid0(VALU_DEP_2) | instskip(SKIP_1) | instid1(VALU_DEP_3)
	v_mul_hi_u32 v19, s1, v11
	v_mul_lo_u32 v21, s19, v11
	v_mul_lo_u32 v20, s1, v18
	s_delay_alu instid0(VALU_DEP_1) | instskip(SKIP_1) | instid1(VALU_DEP_2)
	v_add_nc_u32_e32 v19, v19, v20
	v_mul_lo_u32 v20, s1, v11
	v_add_nc_u32_e32 v19, v19, v21
	s_delay_alu instid0(VALU_DEP_2) | instskip(NEXT) | instid1(VALU_DEP_2)
	v_mul_hi_u32 v21, v11, v20
	v_mul_lo_u32 v22, v11, v19
	v_mul_hi_u32 v23, v11, v19
	v_mul_hi_u32 v25, v18, v20
	v_mul_lo_u32 v20, v18, v20
	v_mul_hi_u32 v26, v18, v19
	v_mul_lo_u32 v19, v18, v19
	v_add_co_u32 v21, vcc_lo, v21, v22
	v_add_co_ci_u32_e32 v22, vcc_lo, 0, v23, vcc_lo
	s_delay_alu instid0(VALU_DEP_2) | instskip(NEXT) | instid1(VALU_DEP_2)
	v_add_co_u32 v20, vcc_lo, v21, v20
	v_add_co_ci_u32_e32 v20, vcc_lo, v22, v25, vcc_lo
	v_add_co_ci_u32_e32 v21, vcc_lo, 0, v26, vcc_lo
	v_add_co_u32 v22, vcc_lo, v16, v24
	v_add_co_ci_u32_e32 v23, vcc_lo, v17, v24, vcc_lo
	s_delay_alu instid0(VALU_DEP_4) | instskip(NEXT) | instid1(VALU_DEP_4)
	v_add_co_u32 v19, vcc_lo, v20, v19
	v_add_co_ci_u32_e32 v20, vcc_lo, 0, v21, vcc_lo
	s_delay_alu instid0(VALU_DEP_4) | instskip(NEXT) | instid1(VALU_DEP_3)
	v_xor_b32_e32 v25, v22, v24
	v_add_co_u32 v11, vcc_lo, v11, v19
	s_delay_alu instid0(VALU_DEP_3) | instskip(SKIP_1) | instid1(VALU_DEP_3)
	v_add_co_ci_u32_e32 v26, vcc_lo, v18, v20, vcc_lo
	v_xor_b32_e32 v27, v23, v24
	v_mul_hi_u32 v28, v25, v11
	s_delay_alu instid0(VALU_DEP_3) | instskip(NEXT) | instid1(VALU_DEP_3)
	v_mad_u64_u32 v[18:19], null, v25, v26, 0
	v_mad_u64_u32 v[20:21], null, v27, v11, 0
	;; [unrolled: 1-line block ×3, first 2 shown]
	s_delay_alu instid0(VALU_DEP_3) | instskip(NEXT) | instid1(VALU_DEP_4)
	v_add_co_u32 v11, vcc_lo, v28, v18
	v_add_co_ci_u32_e32 v18, vcc_lo, 0, v19, vcc_lo
	s_delay_alu instid0(VALU_DEP_2) | instskip(NEXT) | instid1(VALU_DEP_2)
	v_add_co_u32 v11, vcc_lo, v11, v20
	v_add_co_ci_u32_e32 v11, vcc_lo, v18, v21, vcc_lo
	v_add_co_ci_u32_e32 v18, vcc_lo, 0, v23, vcc_lo
	s_delay_alu instid0(VALU_DEP_2) | instskip(NEXT) | instid1(VALU_DEP_2)
	v_add_co_u32 v11, vcc_lo, v11, v22
	v_add_co_ci_u32_e32 v20, vcc_lo, 0, v18, vcc_lo
	s_delay_alu instid0(VALU_DEP_2) | instskip(SKIP_1) | instid1(VALU_DEP_3)
	v_mul_lo_u32 v21, s21, v11
	v_mad_u64_u32 v[18:19], null, s20, v11, 0
	v_mul_lo_u32 v22, s20, v20
	s_delay_alu instid0(VALU_DEP_2) | instskip(NEXT) | instid1(VALU_DEP_2)
	v_sub_co_u32 v18, vcc_lo, v25, v18
	v_add3_u32 v19, v19, v22, v21
	s_delay_alu instid0(VALU_DEP_1) | instskip(NEXT) | instid1(VALU_DEP_1)
	v_sub_nc_u32_e32 v21, v27, v19
	v_subrev_co_ci_u32_e64 v21, s1, s21, v21, vcc_lo
	v_add_co_u32 v22, s1, v11, 2
	s_delay_alu instid0(VALU_DEP_1) | instskip(SKIP_3) | instid1(VALU_DEP_3)
	v_add_co_ci_u32_e64 v23, s1, 0, v20, s1
	v_sub_co_u32 v25, s1, v18, s20
	v_sub_co_ci_u32_e32 v19, vcc_lo, v27, v19, vcc_lo
	v_subrev_co_ci_u32_e64 v21, s1, 0, v21, s1
	v_cmp_le_u32_e32 vcc_lo, s20, v25
	s_delay_alu instid0(VALU_DEP_3) | instskip(SKIP_1) | instid1(VALU_DEP_4)
	v_cmp_eq_u32_e64 s1, s21, v19
	v_cndmask_b32_e64 v25, 0, -1, vcc_lo
	v_cmp_le_u32_e32 vcc_lo, s21, v21
	v_cndmask_b32_e64 v26, 0, -1, vcc_lo
	v_cmp_le_u32_e32 vcc_lo, s20, v18
	;; [unrolled: 2-line block ×3, first 2 shown]
	v_cndmask_b32_e64 v27, 0, -1, vcc_lo
	v_cmp_eq_u32_e32 vcc_lo, s21, v21
	s_delay_alu instid0(VALU_DEP_2) | instskip(SKIP_3) | instid1(VALU_DEP_3)
	v_cndmask_b32_e64 v18, v27, v18, s1
	v_cndmask_b32_e32 v21, v26, v25, vcc_lo
	v_add_co_u32 v25, vcc_lo, v11, 1
	v_add_co_ci_u32_e32 v26, vcc_lo, 0, v20, vcc_lo
	v_cmp_ne_u32_e32 vcc_lo, 0, v21
	s_delay_alu instid0(VALU_DEP_2) | instskip(NEXT) | instid1(VALU_DEP_4)
	v_cndmask_b32_e32 v19, v26, v23, vcc_lo
	v_cndmask_b32_e32 v21, v25, v22, vcc_lo
	v_cmp_ne_u32_e32 vcc_lo, 0, v18
	v_xor_b32_e32 v22, s18, v24
	s_delay_alu instid0(VALU_DEP_3) | instskip(NEXT) | instid1(VALU_DEP_1)
	v_dual_cndmask_b32 v11, v11, v21 :: v_dual_cndmask_b32 v18, v20, v19
	v_xor_b32_e32 v11, v11, v22
	s_delay_alu instid0(VALU_DEP_2) | instskip(NEXT) | instid1(VALU_DEP_2)
	v_xor_b32_e32 v19, v18, v22
	v_sub_co_u32 v18, vcc_lo, v11, v22
	s_delay_alu instid0(VALU_DEP_2)
	v_sub_co_ci_u32_e32 v19, vcc_lo, v19, v22, vcc_lo
	s_and_not1_saveexec_b32 s1, s23
	s_cbranch_execz .LBB107_26
.LBB107_52:                             ;   in Loop: Header=BB107_10 Depth=1
	v_cvt_f32_u32_e32 v11, s8
	s_sub_i32 s19, 0, s8
	s_delay_alu instid0(VALU_DEP_1) | instskip(SKIP_2) | instid1(VALU_DEP_1)
	v_rcp_iflag_f32_e32 v11, v11
	s_waitcnt_depctr 0xfff
	v_mul_f32_e32 v11, 0x4f7ffffe, v11
	v_cvt_u32_f32_e32 v11, v11
	s_delay_alu instid0(VALU_DEP_1) | instskip(NEXT) | instid1(VALU_DEP_1)
	v_mul_lo_u32 v18, s19, v11
	v_mul_hi_u32 v18, v11, v18
	s_delay_alu instid0(VALU_DEP_1) | instskip(NEXT) | instid1(VALU_DEP_1)
	v_add_nc_u32_e32 v11, v11, v18
	v_mul_hi_u32 v11, v16, v11
	s_delay_alu instid0(VALU_DEP_1) | instskip(SKIP_1) | instid1(VALU_DEP_2)
	v_mul_lo_u32 v18, v11, s8
	v_add_nc_u32_e32 v19, 1, v11
	v_sub_nc_u32_e32 v18, v16, v18
	s_delay_alu instid0(VALU_DEP_1) | instskip(SKIP_1) | instid1(VALU_DEP_2)
	v_subrev_nc_u32_e32 v20, s8, v18
	v_cmp_le_u32_e32 vcc_lo, s8, v18
	v_dual_cndmask_b32 v18, v18, v20 :: v_dual_cndmask_b32 v11, v11, v19
	s_delay_alu instid0(VALU_DEP_1) | instskip(NEXT) | instid1(VALU_DEP_2)
	v_cmp_le_u32_e32 vcc_lo, s8, v18
	v_add_nc_u32_e32 v19, 1, v11
	s_delay_alu instid0(VALU_DEP_1) | instskip(SKIP_1) | instid1(SALU_CYCLE_1)
	v_dual_cndmask_b32 v18, v11, v19 :: v_dual_mov_b32 v19, v10
	s_or_b32 exec_lo, exec_lo, s1
	s_mov_b32 s1, exec_lo
	s_delay_alu instid0(VALU_DEP_1)
	v_cmpx_ge_i64_e64 v[18:19], v[14:15]
	s_cbranch_execnz .LBB107_27
	s_branch .LBB107_28
.LBB107_53:
	s_nop 0
	s_sendmsg sendmsg(MSG_DEALLOC_VGPRS)
	s_endpgm
	.section	.rodata,"a",@progbits
	.p2align	6, 0x0
	.amdhsa_kernel _ZN9rocsparseL21csr2bsr_65_inf_kernelILj32E21rocsparse_complex_numIfEllEEv20rocsparse_direction_T2_S4_S4_S4_S4_S4_21rocsparse_index_base_PKT0_PKT1_PKS4_S5_PS6_PS9_PS4_SF_SG_SE_
		.amdhsa_group_segment_fixed_size 0
		.amdhsa_private_segment_fixed_size 0
		.amdhsa_kernarg_size 144
		.amdhsa_user_sgpr_count 15
		.amdhsa_user_sgpr_dispatch_ptr 0
		.amdhsa_user_sgpr_queue_ptr 0
		.amdhsa_user_sgpr_kernarg_segment_ptr 1
		.amdhsa_user_sgpr_dispatch_id 0
		.amdhsa_user_sgpr_private_segment_size 0
		.amdhsa_wavefront_size32 1
		.amdhsa_uses_dynamic_stack 0
		.amdhsa_enable_private_segment 0
		.amdhsa_system_sgpr_workgroup_id_x 1
		.amdhsa_system_sgpr_workgroup_id_y 0
		.amdhsa_system_sgpr_workgroup_id_z 0
		.amdhsa_system_sgpr_workgroup_info 0
		.amdhsa_system_vgpr_workitem_id 0
		.amdhsa_next_free_vgpr 48
		.amdhsa_next_free_sgpr 38
		.amdhsa_reserve_vcc 1
		.amdhsa_float_round_mode_32 0
		.amdhsa_float_round_mode_16_64 0
		.amdhsa_float_denorm_mode_32 3
		.amdhsa_float_denorm_mode_16_64 3
		.amdhsa_dx10_clamp 1
		.amdhsa_ieee_mode 1
		.amdhsa_fp16_overflow 0
		.amdhsa_workgroup_processor_mode 1
		.amdhsa_memory_ordered 1
		.amdhsa_forward_progress 0
		.amdhsa_shared_vgpr_count 0
		.amdhsa_exception_fp_ieee_invalid_op 0
		.amdhsa_exception_fp_denorm_src 0
		.amdhsa_exception_fp_ieee_div_zero 0
		.amdhsa_exception_fp_ieee_overflow 0
		.amdhsa_exception_fp_ieee_underflow 0
		.amdhsa_exception_fp_ieee_inexact 0
		.amdhsa_exception_int_div_zero 0
	.end_amdhsa_kernel
	.section	.text._ZN9rocsparseL21csr2bsr_65_inf_kernelILj32E21rocsparse_complex_numIfEllEEv20rocsparse_direction_T2_S4_S4_S4_S4_S4_21rocsparse_index_base_PKT0_PKT1_PKS4_S5_PS6_PS9_PS4_SF_SG_SE_,"axG",@progbits,_ZN9rocsparseL21csr2bsr_65_inf_kernelILj32E21rocsparse_complex_numIfEllEEv20rocsparse_direction_T2_S4_S4_S4_S4_S4_21rocsparse_index_base_PKT0_PKT1_PKS4_S5_PS6_PS9_PS4_SF_SG_SE_,comdat
.Lfunc_end107:
	.size	_ZN9rocsparseL21csr2bsr_65_inf_kernelILj32E21rocsparse_complex_numIfEllEEv20rocsparse_direction_T2_S4_S4_S4_S4_S4_21rocsparse_index_base_PKT0_PKT1_PKS4_S5_PS6_PS9_PS4_SF_SG_SE_, .Lfunc_end107-_ZN9rocsparseL21csr2bsr_65_inf_kernelILj32E21rocsparse_complex_numIfEllEEv20rocsparse_direction_T2_S4_S4_S4_S4_S4_21rocsparse_index_base_PKT0_PKT1_PKS4_S5_PS6_PS9_PS4_SF_SG_SE_
                                        ; -- End function
	.section	.AMDGPU.csdata,"",@progbits
; Kernel info:
; codeLenInByte = 6368
; NumSgprs: 40
; NumVgprs: 48
; ScratchSize: 0
; MemoryBound: 1
; FloatMode: 240
; IeeeMode: 1
; LDSByteSize: 0 bytes/workgroup (compile time only)
; SGPRBlocks: 4
; VGPRBlocks: 5
; NumSGPRsForWavesPerEU: 40
; NumVGPRsForWavesPerEU: 48
; Occupancy: 16
; WaveLimiterHint : 1
; COMPUTE_PGM_RSRC2:SCRATCH_EN: 0
; COMPUTE_PGM_RSRC2:USER_SGPR: 15
; COMPUTE_PGM_RSRC2:TRAP_HANDLER: 0
; COMPUTE_PGM_RSRC2:TGID_X_EN: 1
; COMPUTE_PGM_RSRC2:TGID_Y_EN: 0
; COMPUTE_PGM_RSRC2:TGID_Z_EN: 0
; COMPUTE_PGM_RSRC2:TIDIG_COMP_CNT: 0
	.section	.text._ZN9rocsparseL35csr2bsr_block_dim_equals_one_kernelILj256EdiiEEvT2_S1_S1_S1_21rocsparse_index_base_PKT0_PKT1_PKS1_S2_PS3_PS6_PS1_,"axG",@progbits,_ZN9rocsparseL35csr2bsr_block_dim_equals_one_kernelILj256EdiiEEvT2_S1_S1_S1_21rocsparse_index_base_PKT0_PKT1_PKS1_S2_PS3_PS6_PS1_,comdat
	.globl	_ZN9rocsparseL35csr2bsr_block_dim_equals_one_kernelILj256EdiiEEvT2_S1_S1_S1_21rocsparse_index_base_PKT0_PKT1_PKS1_S2_PS3_PS6_PS1_ ; -- Begin function _ZN9rocsparseL35csr2bsr_block_dim_equals_one_kernelILj256EdiiEEvT2_S1_S1_S1_21rocsparse_index_base_PKT0_PKT1_PKS1_S2_PS3_PS6_PS1_
	.p2align	8
	.type	_ZN9rocsparseL35csr2bsr_block_dim_equals_one_kernelILj256EdiiEEvT2_S1_S1_S1_21rocsparse_index_base_PKT0_PKT1_PKS1_S2_PS3_PS6_PS1_,@function
_ZN9rocsparseL35csr2bsr_block_dim_equals_one_kernelILj256EdiiEEvT2_S1_S1_S1_21rocsparse_index_base_PKT0_PKT1_PKS1_S2_PS3_PS6_PS1_: ; @_ZN9rocsparseL35csr2bsr_block_dim_equals_one_kernelILj256EdiiEEvT2_S1_S1_S1_21rocsparse_index_base_PKT0_PKT1_PKS1_S2_PS3_PS6_PS1_
; %bb.0:
	s_clause 0x1
	s_load_b32 s2, s[0:1], 0x0
	s_load_b128 s[4:7], s[0:1], 0x18
	v_lshl_or_b32 v0, s15, 8, v0
	s_waitcnt lgkmcnt(0)
	s_ashr_i32 s3, s2, 31
	s_delay_alu instid0(SALU_CYCLE_1) | instskip(NEXT) | instid1(SALU_CYCLE_1)
	s_lshl_b64 s[2:3], s[2:3], 2
	s_add_u32 s2, s6, s2
	s_addc_u32 s3, s7, s3
	s_clause 0x1
	s_load_b32 s2, s[2:3], 0x0
	s_load_b32 s3, s[6:7], 0x0
	s_waitcnt lgkmcnt(0)
	s_sub_i32 s10, s2, s3
	s_mov_b32 s2, exec_lo
	v_cmpx_gt_i32_e64 s10, v0
	s_cbranch_execz .LBB108_3
; %bb.1:
	s_clause 0x5
	s_load_b32 s11, s[0:1], 0x30
	s_load_b64 s[2:3], s[0:1], 0x38
	s_load_b32 s12, s[0:1], 0x10
	s_load_b32 s13, s[0:1], 0x50
	s_load_b64 s[6:7], s[0:1], 0x28
	s_load_b64 s[8:9], s[0:1], 0x48
	s_waitcnt lgkmcnt(0)
	s_sub_i32 s1, s11, s12
	s_lshl_b32 s11, s13, 8
	s_mov_b32 s12, 0
	s_set_inst_prefetch_distance 0x1
	.p2align	6
.LBB108_2:                              ; =>This Inner Loop Header: Depth=1
	v_ashrrev_i32_e32 v1, 31, v0
	s_delay_alu instid0(VALU_DEP_1) | instskip(SKIP_2) | instid1(VALU_DEP_3)
	v_lshlrev_b64 v[2:3], 2, v[0:1]
	v_lshlrev_b64 v[6:7], 3, v[0:1]
	v_add_nc_u32_e32 v0, s11, v0
	v_add_co_u32 v4, vcc_lo, s6, v2
	s_delay_alu instid0(VALU_DEP_4) | instskip(SKIP_1) | instid1(VALU_DEP_1)
	v_add_co_ci_u32_e32 v5, vcc_lo, s7, v3, vcc_lo
	v_add_co_u32 v1, s0, s8, v2
	v_add_co_ci_u32_e64 v2, s0, s9, v3, s0
	global_load_b32 v8, v[4:5], off
	v_add_co_u32 v4, vcc_lo, s4, v6
	v_add_co_ci_u32_e32 v5, vcc_lo, s5, v7, vcc_lo
	v_cmp_le_i32_e32 vcc_lo, s10, v0
	v_add_co_u32 v6, s0, s2, v6
	global_load_b64 v[4:5], v[4:5], off
	v_add_co_ci_u32_e64 v7, s0, s3, v7, s0
	s_or_b32 s12, vcc_lo, s12
	s_waitcnt vmcnt(1)
	v_add_nc_u32_e32 v3, s1, v8
	global_store_b32 v[1:2], v3, off
	s_waitcnt vmcnt(0)
	global_store_b64 v[6:7], v[4:5], off
	s_and_not1_b32 exec_lo, exec_lo, s12
	s_cbranch_execnz .LBB108_2
.LBB108_3:
	s_set_inst_prefetch_distance 0x2
	s_nop 0
	s_sendmsg sendmsg(MSG_DEALLOC_VGPRS)
	s_endpgm
	.section	.rodata,"a",@progbits
	.p2align	6, 0x0
	.amdhsa_kernel _ZN9rocsparseL35csr2bsr_block_dim_equals_one_kernelILj256EdiiEEvT2_S1_S1_S1_21rocsparse_index_base_PKT0_PKT1_PKS1_S2_PS3_PS6_PS1_
		.amdhsa_group_segment_fixed_size 0
		.amdhsa_private_segment_fixed_size 0
		.amdhsa_kernarg_size 336
		.amdhsa_user_sgpr_count 15
		.amdhsa_user_sgpr_dispatch_ptr 0
		.amdhsa_user_sgpr_queue_ptr 0
		.amdhsa_user_sgpr_kernarg_segment_ptr 1
		.amdhsa_user_sgpr_dispatch_id 0
		.amdhsa_user_sgpr_private_segment_size 0
		.amdhsa_wavefront_size32 1
		.amdhsa_uses_dynamic_stack 0
		.amdhsa_enable_private_segment 0
		.amdhsa_system_sgpr_workgroup_id_x 1
		.amdhsa_system_sgpr_workgroup_id_y 0
		.amdhsa_system_sgpr_workgroup_id_z 0
		.amdhsa_system_sgpr_workgroup_info 0
		.amdhsa_system_vgpr_workitem_id 0
		.amdhsa_next_free_vgpr 9
		.amdhsa_next_free_sgpr 16
		.amdhsa_reserve_vcc 1
		.amdhsa_float_round_mode_32 0
		.amdhsa_float_round_mode_16_64 0
		.amdhsa_float_denorm_mode_32 3
		.amdhsa_float_denorm_mode_16_64 3
		.amdhsa_dx10_clamp 1
		.amdhsa_ieee_mode 1
		.amdhsa_fp16_overflow 0
		.amdhsa_workgroup_processor_mode 1
		.amdhsa_memory_ordered 1
		.amdhsa_forward_progress 0
		.amdhsa_shared_vgpr_count 0
		.amdhsa_exception_fp_ieee_invalid_op 0
		.amdhsa_exception_fp_denorm_src 0
		.amdhsa_exception_fp_ieee_div_zero 0
		.amdhsa_exception_fp_ieee_overflow 0
		.amdhsa_exception_fp_ieee_underflow 0
		.amdhsa_exception_fp_ieee_inexact 0
		.amdhsa_exception_int_div_zero 0
	.end_amdhsa_kernel
	.section	.text._ZN9rocsparseL35csr2bsr_block_dim_equals_one_kernelILj256EdiiEEvT2_S1_S1_S1_21rocsparse_index_base_PKT0_PKT1_PKS1_S2_PS3_PS6_PS1_,"axG",@progbits,_ZN9rocsparseL35csr2bsr_block_dim_equals_one_kernelILj256EdiiEEvT2_S1_S1_S1_21rocsparse_index_base_PKT0_PKT1_PKS1_S2_PS3_PS6_PS1_,comdat
.Lfunc_end108:
	.size	_ZN9rocsparseL35csr2bsr_block_dim_equals_one_kernelILj256EdiiEEvT2_S1_S1_S1_21rocsparse_index_base_PKT0_PKT1_PKS1_S2_PS3_PS6_PS1_, .Lfunc_end108-_ZN9rocsparseL35csr2bsr_block_dim_equals_one_kernelILj256EdiiEEvT2_S1_S1_S1_21rocsparse_index_base_PKT0_PKT1_PKS1_S2_PS3_PS6_PS1_
                                        ; -- End function
	.section	.AMDGPU.csdata,"",@progbits
; Kernel info:
; codeLenInByte = 332
; NumSgprs: 18
; NumVgprs: 9
; ScratchSize: 0
; MemoryBound: 0
; FloatMode: 240
; IeeeMode: 1
; LDSByteSize: 0 bytes/workgroup (compile time only)
; SGPRBlocks: 2
; VGPRBlocks: 1
; NumSGPRsForWavesPerEU: 18
; NumVGPRsForWavesPerEU: 9
; Occupancy: 16
; WaveLimiterHint : 0
; COMPUTE_PGM_RSRC2:SCRATCH_EN: 0
; COMPUTE_PGM_RSRC2:USER_SGPR: 15
; COMPUTE_PGM_RSRC2:TRAP_HANDLER: 0
; COMPUTE_PGM_RSRC2:TGID_X_EN: 1
; COMPUTE_PGM_RSRC2:TGID_Y_EN: 0
; COMPUTE_PGM_RSRC2:TGID_Z_EN: 0
; COMPUTE_PGM_RSRC2:TIDIG_COMP_CNT: 0
	.section	.text._ZN9rocsparseL42csr2bsr_wavefront_per_row_multipass_kernelILj256ELj16ELj4EdiiEEv20rocsparse_direction_T4_S2_S2_S2_S2_21rocsparse_index_base_PKT2_PKT3_PKS2_S3_PS4_PS7_PS2_,"axG",@progbits,_ZN9rocsparseL42csr2bsr_wavefront_per_row_multipass_kernelILj256ELj16ELj4EdiiEEv20rocsparse_direction_T4_S2_S2_S2_S2_21rocsparse_index_base_PKT2_PKT3_PKS2_S3_PS4_PS7_PS2_,comdat
	.globl	_ZN9rocsparseL42csr2bsr_wavefront_per_row_multipass_kernelILj256ELj16ELj4EdiiEEv20rocsparse_direction_T4_S2_S2_S2_S2_21rocsparse_index_base_PKT2_PKT3_PKS2_S3_PS4_PS7_PS2_ ; -- Begin function _ZN9rocsparseL42csr2bsr_wavefront_per_row_multipass_kernelILj256ELj16ELj4EdiiEEv20rocsparse_direction_T4_S2_S2_S2_S2_21rocsparse_index_base_PKT2_PKT3_PKS2_S3_PS4_PS7_PS2_
	.p2align	8
	.type	_ZN9rocsparseL42csr2bsr_wavefront_per_row_multipass_kernelILj256ELj16ELj4EdiiEEv20rocsparse_direction_T4_S2_S2_S2_S2_21rocsparse_index_base_PKT2_PKT3_PKS2_S3_PS4_PS7_PS2_,@function
_ZN9rocsparseL42csr2bsr_wavefront_per_row_multipass_kernelILj256ELj16ELj4EdiiEEv20rocsparse_direction_T4_S2_S2_S2_S2_21rocsparse_index_base_PKT2_PKT3_PKS2_S3_PS4_PS7_PS2_: ; @_ZN9rocsparseL42csr2bsr_wavefront_per_row_multipass_kernelILj256ELj16ELj4EdiiEEv20rocsparse_direction_T4_S2_S2_S2_S2_21rocsparse_index_base_PKT2_PKT3_PKS2_S3_PS4_PS7_PS2_
; %bb.0:
	s_clause 0x1
	s_load_b128 s[4:7], s[0:1], 0xc
	s_load_b64 s[10:11], s[0:1], 0x0
	v_lshrrev_b32_e32 v7, 4, v0
	v_bfe_u32 v2, v0, 2, 2
	s_load_b64 s[8:9], s[0:1], 0x28
	v_mov_b32_e32 v8, 0
	v_mov_b32_e32 v6, 0
	v_lshl_or_b32 v3, s15, 4, v7
	s_waitcnt lgkmcnt(0)
	s_delay_alu instid0(VALU_DEP_1) | instskip(SKIP_1) | instid1(VALU_DEP_2)
	v_mad_u64_u32 v[4:5], null, v3, s6, v[2:3]
	v_cmp_gt_i32_e32 vcc_lo, s6, v2
	v_cmp_gt_i32_e64 s2, s11, v4
	s_delay_alu instid0(VALU_DEP_1) | instskip(NEXT) | instid1(SALU_CYCLE_1)
	s_and_b32 s3, vcc_lo, s2
	s_and_saveexec_b32 s11, s3
	s_cbranch_execz .LBB109_2
; %bb.1:
	v_ashrrev_i32_e32 v5, 31, v4
	s_delay_alu instid0(VALU_DEP_1) | instskip(NEXT) | instid1(VALU_DEP_1)
	v_lshlrev_b64 v[5:6], 2, v[4:5]
	v_add_co_u32 v5, s2, s8, v5
	s_delay_alu instid0(VALU_DEP_1)
	v_add_co_ci_u32_e64 v6, s2, s9, v6, s2
	global_load_b32 v1, v[5:6], off
	s_waitcnt vmcnt(0)
	v_subrev_nc_u32_e32 v6, s7, v1
.LBB109_2:
	s_or_b32 exec_lo, exec_lo, s11
	s_and_saveexec_b32 s11, s3
	s_cbranch_execz .LBB109_4
; %bb.3:
	v_ashrrev_i32_e32 v5, 31, v4
	s_delay_alu instid0(VALU_DEP_1) | instskip(NEXT) | instid1(VALU_DEP_1)
	v_lshlrev_b64 v[4:5], 2, v[4:5]
	v_add_co_u32 v4, s2, s8, v4
	s_delay_alu instid0(VALU_DEP_1)
	v_add_co_ci_u32_e64 v5, s2, s9, v5, s2
	global_load_b32 v1, v[4:5], off offset:4
	s_waitcnt vmcnt(0)
	v_subrev_nc_u32_e32 v8, s7, v1
.LBB109_4:
	s_or_b32 exec_lo, exec_lo, s11
	s_load_b32 s12, s[0:1], 0x38
	v_mov_b32_e32 v1, 0
	s_mov_b32 s3, exec_lo
	v_cmpx_gt_i32_e64 s4, v3
	s_cbranch_execz .LBB109_6
; %bb.5:
	s_load_b64 s[8:9], s[0:1], 0x48
	v_ashrrev_i32_e32 v4, 31, v3
	s_delay_alu instid0(VALU_DEP_1) | instskip(SKIP_1) | instid1(VALU_DEP_1)
	v_lshlrev_b64 v[3:4], 2, v[3:4]
	s_waitcnt lgkmcnt(0)
	v_add_co_u32 v3, s2, s8, v3
	s_delay_alu instid0(VALU_DEP_1)
	v_add_co_ci_u32_e64 v4, s2, s9, v4, s2
	global_load_b32 v1, v[3:4], off
	s_waitcnt vmcnt(0)
	v_subrev_nc_u32_e32 v1, s12, v1
.LBB109_6:
	s_or_b32 exec_lo, exec_lo, s3
	s_cmp_lt_i32 s5, 1
	s_cbranch_scc1 .LBB109_21
; %bb.7:
	s_load_b64 s[14:15], s[0:1], 0x40
	v_and_b32_e32 v9, 3, v0
	v_dual_mov_b32 v3, 0 :: v_dual_lshlrev_b32 v12, 3, v2
	v_mul_lo_u32 v10, v2, s6
	v_and_b32_e32 v0, 0xf0, v0
	s_delay_alu instid0(VALU_DEP_4) | instskip(NEXT) | instid1(VALU_DEP_4)
	v_mul_lo_u32 v4, v9, s6
	v_mov_b32_e32 v5, v3
	v_mov_b32_e32 v11, v3
	v_cmp_gt_u32_e64 s2, s6, v9
	v_lshlrev_b32_e32 v13, 3, v9
	v_lshl_or_b32 v0, v2, 2, v0
	v_mov_b32_e32 v22, v3
	v_lshlrev_b64 v[10:11], 3, v[10:11]
	v_lshlrev_b64 v[4:5], 3, v[4:5]
	s_and_b32 s4, vcc_lo, s2
	s_cmp_eq_u32 s10, 0
	s_clause 0x1
	s_load_b64 s[10:11], s[0:1], 0x50
	s_load_b64 s[8:9], s[0:1], 0x30
	s_waitcnt lgkmcnt(0)
	v_add_co_u32 v4, vcc_lo, s14, v4
	v_add_co_ci_u32_e32 v5, vcc_lo, s15, v5, vcc_lo
	v_add_co_u32 v10, vcc_lo, s14, v10
	v_add_co_ci_u32_e32 v11, vcc_lo, s15, v11, vcc_lo
	s_delay_alu instid0(VALU_DEP_4) | instskip(NEXT) | instid1(VALU_DEP_4)
	v_add_co_u32 v4, vcc_lo, v4, v12
	v_add_co_ci_u32_e32 v5, vcc_lo, 0, v5, vcc_lo
	s_delay_alu instid0(VALU_DEP_4) | instskip(NEXT) | instid1(VALU_DEP_4)
	v_add_co_u32 v18, vcc_lo, v10, v13
	v_add_co_ci_u32_e32 v17, vcc_lo, 0, v11, vcc_lo
	s_cselect_b32 vcc_lo, -1, 0
	s_abs_i32 s13, s6
	v_mbcnt_lo_u32_b32 v12, -1, 0
	v_cvt_f32_u32_e32 v10, s13
	v_cndmask_b32_e32 v18, v4, v18, vcc_lo
	v_or_b32_e32 v11, v0, v9
	v_mov_b32_e32 v4, v3
	v_xor_b32_e32 v2, 2, v12
	v_rcp_iflag_f32_e32 v10, v10
	v_xor_b32_e32 v14, 8, v12
	v_xor_b32_e32 v15, 4, v12
	v_lshlrev_b32_e32 v19, 2, v12
	v_cmp_gt_i32_e64 s2, 32, v2
	s_mul_hi_u32 s14, s6, s6
	s_mul_i32 s15, s6, s6
	s_ashr_i32 s16, s6, 31
	v_cndmask_b32_e32 v17, v5, v17, vcc_lo
	v_cndmask_b32_e64 v2, v12, v2, s2
	v_dual_mul_f32 v13, 0x4f7ffffe, v10 :: v_dual_lshlrev_b32 v10, 3, v11
	s_load_b64 s[2:3], s[0:1], 0x20
	s_sub_i32 s0, 0, s13
	s_delay_alu instid0(VALU_DEP_2) | instskip(NEXT) | instid1(VALU_DEP_2)
	v_lshlrev_b32_e32 v11, 2, v2
	v_cvt_u32_f32_e32 v2, v13
	v_xor_b32_e32 v13, 1, v12
	s_mov_b32 s1, 0
	s_delay_alu instid0(VALU_DEP_2) | instskip(NEXT) | instid1(VALU_DEP_2)
	v_mul_lo_u32 v16, s0, v2
	v_cmp_gt_i32_e64 s0, 32, v13
	s_delay_alu instid0(VALU_DEP_1) | instskip(SKIP_1) | instid1(VALU_DEP_4)
	v_cndmask_b32_e64 v13, v12, v13, s0
	v_cmp_gt_i32_e64 s0, 32, v14
	v_mul_hi_u32 v20, v2, v16
	v_or_b32_e32 v16, 60, v19
	s_delay_alu instid0(VALU_DEP_3) | instskip(SKIP_1) | instid1(VALU_DEP_2)
	v_cndmask_b32_e64 v14, v12, v14, s0
	v_cmp_gt_i32_e64 s0, 32, v15
	v_lshlrev_b32_e32 v14, 2, v14
	s_delay_alu instid0(VALU_DEP_2) | instskip(SKIP_3) | instid1(VALU_DEP_4)
	v_cndmask_b32_e64 v15, v12, v15, s0
	v_lshlrev_b32_e32 v12, 2, v13
	v_or_b32_e32 v13, 12, v19
	v_dual_mov_b32 v20, 1 :: v_dual_add_nc_u32 v19, v2, v20
	v_lshlrev_b32_e32 v15, 2, v15
	s_branch .LBB109_10
.LBB109_8:                              ;   in Loop: Header=BB109_10 Depth=1
	s_or_b32 exec_lo, exec_lo, s17
	v_mov_b32_e32 v2, 1
.LBB109_9:                              ;   in Loop: Header=BB109_10 Depth=1
	s_or_b32 exec_lo, exec_lo, s0
	ds_bpermute_b32 v5, v14, v21
	v_add_nc_u32_e32 v1, v2, v1
	s_waitcnt lgkmcnt(0)
	s_waitcnt_vscnt null, 0x0
	buffer_gl0_inv
	buffer_gl0_inv
	v_min_i32_e32 v5, v5, v21
	ds_bpermute_b32 v21, v15, v5
	s_waitcnt lgkmcnt(0)
	v_min_i32_e32 v5, v21, v5
	ds_bpermute_b32 v21, v11, v5
	s_waitcnt lgkmcnt(0)
	;; [unrolled: 3-line block ×4, first 2 shown]
	v_cmp_le_i32_e32 vcc_lo, s5, v22
	s_or_b32 s1, vcc_lo, s1
	s_delay_alu instid0(SALU_CYCLE_1)
	s_and_not1_b32 exec_lo, exec_lo, s1
	s_cbranch_execz .LBB109_21
.LBB109_10:                             ; =>This Loop Header: Depth=1
                                        ;     Child Loop BB109_13 Depth 2
	v_add_nc_u32_e32 v5, v6, v9
	v_mov_b32_e32 v21, s5
	v_mov_b32_e32 v23, v8
	s_mov_b32 s17, exec_lo
	ds_store_b8 v7, v3 offset:2048
	ds_store_b64 v10, v[3:4]
	s_waitcnt lgkmcnt(0)
	buffer_gl0_inv
	v_cmpx_lt_i32_e64 v5, v8
	s_cbranch_execz .LBB109_18
; %bb.11:                               ;   in Loop: Header=BB109_10 Depth=1
	v_mul_lo_u32 v2, v22, s6
	v_mov_b32_e32 v21, s5
	v_mov_b32_e32 v23, v8
	s_mov_b32 s18, 0
	s_branch .LBB109_13
.LBB109_12:                             ;   in Loop: Header=BB109_13 Depth=2
	s_or_b32 exec_lo, exec_lo, s19
	v_add_nc_u32_e32 v5, 4, v5
	s_xor_b32 s19, vcc_lo, -1
	s_delay_alu instid0(VALU_DEP_1) | instskip(NEXT) | instid1(VALU_DEP_1)
	v_cmp_ge_i32_e64 s0, v5, v8
	s_or_b32 s0, s19, s0
	s_delay_alu instid0(SALU_CYCLE_1) | instskip(NEXT) | instid1(SALU_CYCLE_1)
	s_and_b32 s0, exec_lo, s0
	s_or_b32 s18, s0, s18
	s_delay_alu instid0(SALU_CYCLE_1)
	s_and_not1_b32 exec_lo, exec_lo, s18
	s_cbranch_execz .LBB109_17
.LBB109_13:                             ;   Parent Loop BB109_10 Depth=1
                                        ; =>  This Inner Loop Header: Depth=2
	v_ashrrev_i32_e32 v6, 31, v5
	s_delay_alu instid0(VALU_DEP_1) | instskip(NEXT) | instid1(VALU_DEP_1)
	v_lshlrev_b64 v[24:25], 2, v[5:6]
	v_add_co_u32 v24, vcc_lo, s8, v24
	s_delay_alu instid0(VALU_DEP_2) | instskip(SKIP_3) | instid1(VALU_DEP_1)
	v_add_co_ci_u32_e32 v25, vcc_lo, s9, v25, vcc_lo
	global_load_b32 v24, v[24:25], off
	s_waitcnt vmcnt(0)
	v_subrev_nc_u32_e32 v24, s7, v24
	v_sub_nc_u32_e32 v25, 0, v24
	s_delay_alu instid0(VALU_DEP_1) | instskip(NEXT) | instid1(VALU_DEP_1)
	v_max_i32_e32 v25, v24, v25
	v_mul_hi_u32 v26, v25, v19
	s_delay_alu instid0(VALU_DEP_1) | instskip(NEXT) | instid1(VALU_DEP_1)
	v_mul_lo_u32 v27, v26, s13
	v_sub_nc_u32_e32 v25, v25, v27
	v_add_nc_u32_e32 v27, 1, v26
	s_delay_alu instid0(VALU_DEP_2) | instskip(SKIP_1) | instid1(VALU_DEP_2)
	v_subrev_nc_u32_e32 v28, s13, v25
	v_cmp_le_u32_e32 vcc_lo, s13, v25
	v_dual_cndmask_b32 v26, v26, v27 :: v_dual_cndmask_b32 v25, v25, v28
	v_ashrrev_i32_e32 v27, 31, v24
	s_delay_alu instid0(VALU_DEP_2) | instskip(NEXT) | instid1(VALU_DEP_3)
	v_add_nc_u32_e32 v28, 1, v26
	v_cmp_le_u32_e32 vcc_lo, s13, v25
	s_delay_alu instid0(VALU_DEP_3) | instskip(NEXT) | instid1(VALU_DEP_3)
	v_xor_b32_e32 v27, s16, v27
	v_cndmask_b32_e32 v25, v26, v28, vcc_lo
	s_delay_alu instid0(VALU_DEP_1) | instskip(NEXT) | instid1(VALU_DEP_1)
	v_xor_b32_e32 v25, v25, v27
	v_sub_nc_u32_e32 v26, v25, v27
	v_mov_b32_e32 v25, v23
	s_delay_alu instid0(VALU_DEP_2) | instskip(SKIP_1) | instid1(VALU_DEP_1)
	v_cmp_eq_u32_e32 vcc_lo, v26, v22
	v_cmp_ne_u32_e64 s0, v26, v22
	s_and_saveexec_b32 s19, s0
	s_delay_alu instid0(SALU_CYCLE_1)
	s_xor_b32 s0, exec_lo, s19
; %bb.14:                               ;   in Loop: Header=BB109_13 Depth=2
	v_min_i32_e32 v21, v26, v21
                                        ; implicit-def: $vgpr24
                                        ; implicit-def: $vgpr25
; %bb.15:                               ;   in Loop: Header=BB109_13 Depth=2
	s_or_saveexec_b32 s19, s0
	v_mov_b32_e32 v23, v5
	s_xor_b32 exec_lo, exec_lo, s19
	s_cbranch_execz .LBB109_12
; %bb.16:                               ;   in Loop: Header=BB109_13 Depth=2
	v_lshlrev_b64 v[26:27], 3, v[5:6]
	v_sub_nc_u32_e32 v6, v24, v2
	v_mov_b32_e32 v23, v25
	s_delay_alu instid0(VALU_DEP_2) | instskip(NEXT) | instid1(VALU_DEP_4)
	v_add_lshl_u32 v6, v6, v0, 3
	v_add_co_u32 v26, s0, s2, v26
	s_delay_alu instid0(VALU_DEP_1)
	v_add_co_ci_u32_e64 v27, s0, s3, v27, s0
	global_load_b64 v[26:27], v[26:27], off
	ds_store_b8 v7, v20 offset:2048
	s_waitcnt vmcnt(0)
	ds_store_b64 v6, v[26:27]
	s_branch .LBB109_12
.LBB109_17:                             ;   in Loop: Header=BB109_10 Depth=1
	s_or_b32 exec_lo, exec_lo, s18
.LBB109_18:                             ;   in Loop: Header=BB109_10 Depth=1
	s_delay_alu instid0(SALU_CYCLE_1)
	s_or_b32 exec_lo, exec_lo, s17
	ds_bpermute_b32 v2, v11, v23
	s_waitcnt lgkmcnt(0)
	buffer_gl0_inv
	v_min_i32_e32 v2, v2, v23
	ds_load_u8 v23, v7 offset:2048
	ds_bpermute_b32 v5, v12, v2
	s_waitcnt lgkmcnt(0)
	v_min_i32_e32 v2, v5, v2
	ds_bpermute_b32 v6, v13, v2
	v_and_b32_e32 v2, 1, v23
	s_delay_alu instid0(VALU_DEP_1)
	v_cmp_eq_u32_e32 vcc_lo, 1, v2
	v_mov_b32_e32 v2, 0
	s_and_saveexec_b32 s0, vcc_lo
	s_cbranch_execz .LBB109_9
; %bb.19:                               ;   in Loop: Header=BB109_10 Depth=1
	v_ashrrev_i32_e32 v2, 31, v1
	v_add_nc_u32_e32 v5, s12, v22
	s_delay_alu instid0(VALU_DEP_2) | instskip(NEXT) | instid1(VALU_DEP_1)
	v_lshlrev_b64 v[23:24], 2, v[1:2]
	v_add_co_u32 v22, vcc_lo, s10, v23
	s_delay_alu instid0(VALU_DEP_2)
	v_add_co_ci_u32_e32 v23, vcc_lo, s11, v24, vcc_lo
	global_store_b32 v[22:23], v5, off
	s_and_saveexec_b32 s17, s4
	s_cbranch_execz .LBB109_8
; %bb.20:                               ;   in Loop: Header=BB109_10 Depth=1
	v_mul_lo_u32 v5, s14, v1
	v_mul_lo_u32 v2, s15, v2
	v_mad_u64_u32 v[22:23], null, s15, v1, 0
	ds_load_b64 v[24:25], v10
	v_add3_u32 v23, v23, v2, v5
	s_delay_alu instid0(VALU_DEP_1) | instskip(NEXT) | instid1(VALU_DEP_1)
	v_lshlrev_b64 v[22:23], 3, v[22:23]
	v_add_co_u32 v22, vcc_lo, v18, v22
	s_delay_alu instid0(VALU_DEP_2)
	v_add_co_ci_u32_e32 v23, vcc_lo, v17, v23, vcc_lo
	s_waitcnt lgkmcnt(0)
	global_store_b64 v[22:23], v[24:25], off
	s_branch .LBB109_8
.LBB109_21:
	s_endpgm
	.section	.rodata,"a",@progbits
	.p2align	6, 0x0
	.amdhsa_kernel _ZN9rocsparseL42csr2bsr_wavefront_per_row_multipass_kernelILj256ELj16ELj4EdiiEEv20rocsparse_direction_T4_S2_S2_S2_S2_21rocsparse_index_base_PKT2_PKT3_PKS2_S3_PS4_PS7_PS2_
		.amdhsa_group_segment_fixed_size 2064
		.amdhsa_private_segment_fixed_size 0
		.amdhsa_kernarg_size 88
		.amdhsa_user_sgpr_count 15
		.amdhsa_user_sgpr_dispatch_ptr 0
		.amdhsa_user_sgpr_queue_ptr 0
		.amdhsa_user_sgpr_kernarg_segment_ptr 1
		.amdhsa_user_sgpr_dispatch_id 0
		.amdhsa_user_sgpr_private_segment_size 0
		.amdhsa_wavefront_size32 1
		.amdhsa_uses_dynamic_stack 0
		.amdhsa_enable_private_segment 0
		.amdhsa_system_sgpr_workgroup_id_x 1
		.amdhsa_system_sgpr_workgroup_id_y 0
		.amdhsa_system_sgpr_workgroup_id_z 0
		.amdhsa_system_sgpr_workgroup_info 0
		.amdhsa_system_vgpr_workitem_id 0
		.amdhsa_next_free_vgpr 29
		.amdhsa_next_free_sgpr 20
		.amdhsa_reserve_vcc 1
		.amdhsa_float_round_mode_32 0
		.amdhsa_float_round_mode_16_64 0
		.amdhsa_float_denorm_mode_32 3
		.amdhsa_float_denorm_mode_16_64 3
		.amdhsa_dx10_clamp 1
		.amdhsa_ieee_mode 1
		.amdhsa_fp16_overflow 0
		.amdhsa_workgroup_processor_mode 1
		.amdhsa_memory_ordered 1
		.amdhsa_forward_progress 0
		.amdhsa_shared_vgpr_count 0
		.amdhsa_exception_fp_ieee_invalid_op 0
		.amdhsa_exception_fp_denorm_src 0
		.amdhsa_exception_fp_ieee_div_zero 0
		.amdhsa_exception_fp_ieee_overflow 0
		.amdhsa_exception_fp_ieee_underflow 0
		.amdhsa_exception_fp_ieee_inexact 0
		.amdhsa_exception_int_div_zero 0
	.end_amdhsa_kernel
	.section	.text._ZN9rocsparseL42csr2bsr_wavefront_per_row_multipass_kernelILj256ELj16ELj4EdiiEEv20rocsparse_direction_T4_S2_S2_S2_S2_21rocsparse_index_base_PKT2_PKT3_PKS2_S3_PS4_PS7_PS2_,"axG",@progbits,_ZN9rocsparseL42csr2bsr_wavefront_per_row_multipass_kernelILj256ELj16ELj4EdiiEEv20rocsparse_direction_T4_S2_S2_S2_S2_21rocsparse_index_base_PKT2_PKT3_PKS2_S3_PS4_PS7_PS2_,comdat
.Lfunc_end109:
	.size	_ZN9rocsparseL42csr2bsr_wavefront_per_row_multipass_kernelILj256ELj16ELj4EdiiEEv20rocsparse_direction_T4_S2_S2_S2_S2_21rocsparse_index_base_PKT2_PKT3_PKS2_S3_PS4_PS7_PS2_, .Lfunc_end109-_ZN9rocsparseL42csr2bsr_wavefront_per_row_multipass_kernelILj256ELj16ELj4EdiiEEv20rocsparse_direction_T4_S2_S2_S2_S2_21rocsparse_index_base_PKT2_PKT3_PKS2_S3_PS4_PS7_PS2_
                                        ; -- End function
	.section	.AMDGPU.csdata,"",@progbits
; Kernel info:
; codeLenInByte = 1524
; NumSgprs: 22
; NumVgprs: 29
; ScratchSize: 0
; MemoryBound: 0
; FloatMode: 240
; IeeeMode: 1
; LDSByteSize: 2064 bytes/workgroup (compile time only)
; SGPRBlocks: 2
; VGPRBlocks: 3
; NumSGPRsForWavesPerEU: 22
; NumVGPRsForWavesPerEU: 29
; Occupancy: 16
; WaveLimiterHint : 0
; COMPUTE_PGM_RSRC2:SCRATCH_EN: 0
; COMPUTE_PGM_RSRC2:USER_SGPR: 15
; COMPUTE_PGM_RSRC2:TRAP_HANDLER: 0
; COMPUTE_PGM_RSRC2:TGID_X_EN: 1
; COMPUTE_PGM_RSRC2:TGID_Y_EN: 0
; COMPUTE_PGM_RSRC2:TGID_Z_EN: 0
; COMPUTE_PGM_RSRC2:TIDIG_COMP_CNT: 0
	.section	.text._ZN9rocsparseL42csr2bsr_wavefront_per_row_multipass_kernelILj256ELj64ELj8EdiiEEv20rocsparse_direction_T4_S2_S2_S2_S2_21rocsparse_index_base_PKT2_PKT3_PKS2_S3_PS4_PS7_PS2_,"axG",@progbits,_ZN9rocsparseL42csr2bsr_wavefront_per_row_multipass_kernelILj256ELj64ELj8EdiiEEv20rocsparse_direction_T4_S2_S2_S2_S2_21rocsparse_index_base_PKT2_PKT3_PKS2_S3_PS4_PS7_PS2_,comdat
	.globl	_ZN9rocsparseL42csr2bsr_wavefront_per_row_multipass_kernelILj256ELj64ELj8EdiiEEv20rocsparse_direction_T4_S2_S2_S2_S2_21rocsparse_index_base_PKT2_PKT3_PKS2_S3_PS4_PS7_PS2_ ; -- Begin function _ZN9rocsparseL42csr2bsr_wavefront_per_row_multipass_kernelILj256ELj64ELj8EdiiEEv20rocsparse_direction_T4_S2_S2_S2_S2_21rocsparse_index_base_PKT2_PKT3_PKS2_S3_PS4_PS7_PS2_
	.p2align	8
	.type	_ZN9rocsparseL42csr2bsr_wavefront_per_row_multipass_kernelILj256ELj64ELj8EdiiEEv20rocsparse_direction_T4_S2_S2_S2_S2_21rocsparse_index_base_PKT2_PKT3_PKS2_S3_PS4_PS7_PS2_,@function
_ZN9rocsparseL42csr2bsr_wavefront_per_row_multipass_kernelILj256ELj64ELj8EdiiEEv20rocsparse_direction_T4_S2_S2_S2_S2_21rocsparse_index_base_PKT2_PKT3_PKS2_S3_PS4_PS7_PS2_: ; @_ZN9rocsparseL42csr2bsr_wavefront_per_row_multipass_kernelILj256ELj64ELj8EdiiEEv20rocsparse_direction_T4_S2_S2_S2_S2_21rocsparse_index_base_PKT2_PKT3_PKS2_S3_PS4_PS7_PS2_
; %bb.0:
	s_clause 0x1
	s_load_b128 s[4:7], s[0:1], 0xc
	s_load_b64 s[10:11], s[0:1], 0x0
	v_lshrrev_b32_e32 v7, 6, v0
	v_bfe_u32 v2, v0, 3, 3
	s_load_b64 s[8:9], s[0:1], 0x28
	v_mov_b32_e32 v8, 0
	v_mov_b32_e32 v6, 0
	v_lshl_or_b32 v3, s15, 2, v7
	s_waitcnt lgkmcnt(0)
	s_delay_alu instid0(VALU_DEP_1) | instskip(SKIP_1) | instid1(VALU_DEP_2)
	v_mad_u64_u32 v[4:5], null, v3, s6, v[2:3]
	v_cmp_gt_i32_e32 vcc_lo, s6, v2
	v_cmp_gt_i32_e64 s2, s11, v4
	s_delay_alu instid0(VALU_DEP_1) | instskip(NEXT) | instid1(SALU_CYCLE_1)
	s_and_b32 s3, vcc_lo, s2
	s_and_saveexec_b32 s11, s3
	s_cbranch_execz .LBB110_2
; %bb.1:
	v_ashrrev_i32_e32 v5, 31, v4
	s_delay_alu instid0(VALU_DEP_1) | instskip(NEXT) | instid1(VALU_DEP_1)
	v_lshlrev_b64 v[5:6], 2, v[4:5]
	v_add_co_u32 v5, s2, s8, v5
	s_delay_alu instid0(VALU_DEP_1)
	v_add_co_ci_u32_e64 v6, s2, s9, v6, s2
	global_load_b32 v1, v[5:6], off
	s_waitcnt vmcnt(0)
	v_subrev_nc_u32_e32 v6, s7, v1
.LBB110_2:
	s_or_b32 exec_lo, exec_lo, s11
	s_and_saveexec_b32 s11, s3
	s_cbranch_execz .LBB110_4
; %bb.3:
	v_ashrrev_i32_e32 v5, 31, v4
	s_delay_alu instid0(VALU_DEP_1) | instskip(NEXT) | instid1(VALU_DEP_1)
	v_lshlrev_b64 v[4:5], 2, v[4:5]
	v_add_co_u32 v4, s2, s8, v4
	s_delay_alu instid0(VALU_DEP_1)
	v_add_co_ci_u32_e64 v5, s2, s9, v5, s2
	global_load_b32 v1, v[4:5], off offset:4
	s_waitcnt vmcnt(0)
	v_subrev_nc_u32_e32 v8, s7, v1
.LBB110_4:
	s_or_b32 exec_lo, exec_lo, s11
	s_load_b32 s12, s[0:1], 0x38
	v_mov_b32_e32 v1, 0
	s_mov_b32 s3, exec_lo
	v_cmpx_gt_i32_e64 s4, v3
	s_cbranch_execz .LBB110_6
; %bb.5:
	s_load_b64 s[8:9], s[0:1], 0x48
	v_ashrrev_i32_e32 v4, 31, v3
	s_delay_alu instid0(VALU_DEP_1) | instskip(SKIP_1) | instid1(VALU_DEP_1)
	v_lshlrev_b64 v[3:4], 2, v[3:4]
	s_waitcnt lgkmcnt(0)
	v_add_co_u32 v3, s2, s8, v3
	s_delay_alu instid0(VALU_DEP_1)
	v_add_co_ci_u32_e64 v4, s2, s9, v4, s2
	global_load_b32 v1, v[3:4], off
	s_waitcnt vmcnt(0)
	v_subrev_nc_u32_e32 v1, s12, v1
.LBB110_6:
	s_or_b32 exec_lo, exec_lo, s3
	s_cmp_lt_i32 s5, 1
	s_cbranch_scc1 .LBB110_21
; %bb.7:
	s_load_b64 s[14:15], s[0:1], 0x40
	v_and_b32_e32 v9, 7, v0
	v_mov_b32_e32 v3, 0
	v_mul_lo_u32 v10, v2, s6
	v_lshlrev_b32_e32 v2, 3, v2
	v_mbcnt_lo_u32_b32 v14, -1, 0
	v_mul_lo_u32 v4, v9, s6
	v_dual_mov_b32 v5, v3 :: v_dual_lshlrev_b32 v12, 3, v9
	v_mov_b32_e32 v11, v3
	v_cmp_gt_u32_e64 s2, s6, v9
	v_and_or_b32 v0, 0xc0, v0, v2
	v_xor_b32_e32 v13, 1, v14
	v_or_b32_e32 v15, 32, v14
	v_lshlrev_b64 v[4:5], 3, v[4:5]
	v_lshlrev_b64 v[10:11], 3, v[10:11]
	s_and_b32 s4, vcc_lo, s2
	s_clause 0x1
	s_load_b64 s[2:3], s[0:1], 0x50
	s_load_b64 s[8:9], s[0:1], 0x30
	s_cmp_eq_u32 s10, 0
	s_load_b64 s[10:11], s[0:1], 0x20
	s_waitcnt lgkmcnt(0)
	v_add_co_u32 v4, vcc_lo, s14, v4
	v_add_co_ci_u32_e32 v5, vcc_lo, s15, v5, vcc_lo
	v_add_co_u32 v10, vcc_lo, s14, v10
	v_add_co_ci_u32_e32 v11, vcc_lo, s15, v11, vcc_lo
	s_delay_alu instid0(VALU_DEP_4) | instskip(NEXT) | instid1(VALU_DEP_4)
	v_add_co_u32 v4, vcc_lo, v4, v2
	v_add_co_ci_u32_e32 v5, vcc_lo, 0, v5, vcc_lo
	s_delay_alu instid0(VALU_DEP_4) | instskip(NEXT) | instid1(VALU_DEP_4)
	v_add_co_u32 v20, vcc_lo, v10, v12
	v_add_co_ci_u32_e32 v19, vcc_lo, 0, v11, vcc_lo
	s_cselect_b32 vcc_lo, -1, 0
	s_abs_i32 s13, s6
	v_xor_b32_e32 v11, 4, v14
	v_cvt_f32_u32_e32 v2, s13
	v_xor_b32_e32 v12, 2, v14
	v_xor_b32_e32 v16, 16, v14
	;; [unrolled: 1-line block ×3, first 2 shown]
	v_cmp_gt_i32_e64 s0, 32, v11
	v_rcp_iflag_f32_e32 v2, v2
	v_cndmask_b32_e32 v20, v4, v20, vcc_lo
	s_mov_b32 s1, 0
	s_mul_hi_u32 s14, s6, s6
	v_cndmask_b32_e64 v11, v14, v11, s0
	v_cmp_gt_i32_e64 s0, 32, v12
	v_cndmask_b32_e32 v19, v5, v19, vcc_lo
	s_mul_i32 s15, s6, s6
	s_ashr_i32 s16, s6, 31
	s_waitcnt_depctr 0xfff
	v_dual_mul_f32 v2, 0x4f7ffffe, v2 :: v_dual_lshlrev_b32 v11, 2, v11
	v_cndmask_b32_e64 v12, v14, v12, s0
	v_cmp_gt_i32_e64 s0, 32, v13
	v_or_b32_e32 v10, v0, v9
	v_mov_b32_e32 v4, v3
	v_cvt_u32_f32_e32 v2, v2
	v_lshlrev_b32_e32 v12, 2, v12
	v_cndmask_b32_e64 v13, v14, v13, s0
	s_sub_i32 s0, 0, s13
	v_lshlrev_b32_e32 v10, 3, v10
	v_mul_lo_u32 v17, s0, v2
	v_cmp_gt_i32_e64 s0, 32, v15
	v_dual_mov_b32 v22, 1 :: v_dual_lshlrev_b32 v13, 2, v13
	v_mov_b32_e32 v24, v3
	s_delay_alu instid0(VALU_DEP_3) | instskip(SKIP_2) | instid1(VALU_DEP_3)
	v_cndmask_b32_e64 v15, v14, v15, s0
	v_cmp_gt_i32_e64 s0, 32, v16
	v_mul_hi_u32 v21, v2, v17
	v_lshlrev_b32_e32 v15, 2, v15
	s_delay_alu instid0(VALU_DEP_3) | instskip(SKIP_1) | instid1(VALU_DEP_4)
	v_cndmask_b32_e64 v16, v14, v16, s0
	v_cmp_gt_i32_e64 s0, 32, v18
	v_add_nc_u32_e32 v21, v2, v21
	s_delay_alu instid0(VALU_DEP_3) | instskip(NEXT) | instid1(VALU_DEP_3)
	v_lshlrev_b32_e32 v16, 2, v16
	v_cndmask_b32_e64 v18, v14, v18, s0
	v_lshl_or_b32 v14, v14, 2, 28
	s_delay_alu instid0(VALU_DEP_2)
	v_lshlrev_b32_e32 v17, 2, v18
	v_bfrev_b32_e32 v18, 0.5
	s_branch .LBB110_10
.LBB110_8:                              ;   in Loop: Header=BB110_10 Depth=1
	s_or_b32 exec_lo, exec_lo, s17
	v_mov_b32_e32 v2, 1
.LBB110_9:                              ;   in Loop: Header=BB110_10 Depth=1
	s_or_b32 exec_lo, exec_lo, s0
	ds_bpermute_b32 v5, v15, v23
	v_add_nc_u32_e32 v1, v2, v1
	s_waitcnt lgkmcnt(0)
	s_waitcnt_vscnt null, 0x0
	buffer_gl0_inv
	buffer_gl0_inv
	v_min_i32_e32 v5, v5, v23
	ds_bpermute_b32 v23, v16, v5
	s_waitcnt lgkmcnt(0)
	v_min_i32_e32 v5, v23, v5
	ds_bpermute_b32 v23, v17, v5
	s_waitcnt lgkmcnt(0)
	;; [unrolled: 3-line block ×6, first 2 shown]
	v_cmp_le_i32_e32 vcc_lo, s5, v24
	s_or_b32 s1, vcc_lo, s1
	s_delay_alu instid0(SALU_CYCLE_1)
	s_and_not1_b32 exec_lo, exec_lo, s1
	s_cbranch_execz .LBB110_21
.LBB110_10:                             ; =>This Loop Header: Depth=1
                                        ;     Child Loop BB110_13 Depth 2
	v_add_nc_u32_e32 v5, v6, v9
	v_mov_b32_e32 v23, s5
	v_mov_b32_e32 v25, v8
	s_mov_b32 s17, exec_lo
	ds_store_b8 v7, v3 offset:2048
	ds_store_b64 v10, v[3:4]
	s_waitcnt lgkmcnt(0)
	buffer_gl0_inv
	v_cmpx_lt_i32_e64 v5, v8
	s_cbranch_execz .LBB110_18
; %bb.11:                               ;   in Loop: Header=BB110_10 Depth=1
	v_mul_lo_u32 v2, v24, s6
	v_mov_b32_e32 v23, s5
	v_mov_b32_e32 v25, v8
	s_mov_b32 s18, 0
	s_branch .LBB110_13
.LBB110_12:                             ;   in Loop: Header=BB110_13 Depth=2
	s_or_b32 exec_lo, exec_lo, s19
	v_add_nc_u32_e32 v5, 8, v5
	s_xor_b32 s19, vcc_lo, -1
	s_delay_alu instid0(VALU_DEP_1) | instskip(NEXT) | instid1(VALU_DEP_1)
	v_cmp_ge_i32_e64 s0, v5, v8
	s_or_b32 s0, s19, s0
	s_delay_alu instid0(SALU_CYCLE_1) | instskip(NEXT) | instid1(SALU_CYCLE_1)
	s_and_b32 s0, exec_lo, s0
	s_or_b32 s18, s0, s18
	s_delay_alu instid0(SALU_CYCLE_1)
	s_and_not1_b32 exec_lo, exec_lo, s18
	s_cbranch_execz .LBB110_17
.LBB110_13:                             ;   Parent Loop BB110_10 Depth=1
                                        ; =>  This Inner Loop Header: Depth=2
	v_ashrrev_i32_e32 v6, 31, v5
	s_delay_alu instid0(VALU_DEP_1) | instskip(NEXT) | instid1(VALU_DEP_1)
	v_lshlrev_b64 v[26:27], 2, v[5:6]
	v_add_co_u32 v26, vcc_lo, s8, v26
	s_delay_alu instid0(VALU_DEP_2) | instskip(SKIP_3) | instid1(VALU_DEP_1)
	v_add_co_ci_u32_e32 v27, vcc_lo, s9, v27, vcc_lo
	global_load_b32 v26, v[26:27], off
	s_waitcnt vmcnt(0)
	v_subrev_nc_u32_e32 v26, s7, v26
	v_sub_nc_u32_e32 v27, 0, v26
	s_delay_alu instid0(VALU_DEP_1) | instskip(NEXT) | instid1(VALU_DEP_1)
	v_max_i32_e32 v27, v26, v27
	v_mul_hi_u32 v28, v27, v21
	s_delay_alu instid0(VALU_DEP_1) | instskip(NEXT) | instid1(VALU_DEP_1)
	v_mul_lo_u32 v29, v28, s13
	v_sub_nc_u32_e32 v27, v27, v29
	v_add_nc_u32_e32 v29, 1, v28
	s_delay_alu instid0(VALU_DEP_2) | instskip(SKIP_1) | instid1(VALU_DEP_2)
	v_subrev_nc_u32_e32 v30, s13, v27
	v_cmp_le_u32_e32 vcc_lo, s13, v27
	v_dual_cndmask_b32 v28, v28, v29 :: v_dual_cndmask_b32 v27, v27, v30
	v_ashrrev_i32_e32 v29, 31, v26
	s_delay_alu instid0(VALU_DEP_2) | instskip(NEXT) | instid1(VALU_DEP_3)
	v_add_nc_u32_e32 v30, 1, v28
	v_cmp_le_u32_e32 vcc_lo, s13, v27
	s_delay_alu instid0(VALU_DEP_3) | instskip(NEXT) | instid1(VALU_DEP_3)
	v_xor_b32_e32 v29, s16, v29
	v_cndmask_b32_e32 v27, v28, v30, vcc_lo
	s_delay_alu instid0(VALU_DEP_1) | instskip(NEXT) | instid1(VALU_DEP_1)
	v_xor_b32_e32 v27, v27, v29
	v_sub_nc_u32_e32 v28, v27, v29
	v_mov_b32_e32 v27, v25
	s_delay_alu instid0(VALU_DEP_2) | instskip(SKIP_1) | instid1(VALU_DEP_1)
	v_cmp_eq_u32_e32 vcc_lo, v28, v24
	v_cmp_ne_u32_e64 s0, v28, v24
	s_and_saveexec_b32 s19, s0
	s_delay_alu instid0(SALU_CYCLE_1)
	s_xor_b32 s0, exec_lo, s19
; %bb.14:                               ;   in Loop: Header=BB110_13 Depth=2
	v_min_i32_e32 v23, v28, v23
                                        ; implicit-def: $vgpr26
                                        ; implicit-def: $vgpr27
; %bb.15:                               ;   in Loop: Header=BB110_13 Depth=2
	s_or_saveexec_b32 s19, s0
	v_mov_b32_e32 v25, v5
	s_xor_b32 exec_lo, exec_lo, s19
	s_cbranch_execz .LBB110_12
; %bb.16:                               ;   in Loop: Header=BB110_13 Depth=2
	v_lshlrev_b64 v[28:29], 3, v[5:6]
	v_sub_nc_u32_e32 v6, v26, v2
	v_mov_b32_e32 v25, v27
	s_delay_alu instid0(VALU_DEP_2) | instskip(NEXT) | instid1(VALU_DEP_4)
	v_add_lshl_u32 v6, v6, v0, 3
	v_add_co_u32 v28, s0, s10, v28
	s_delay_alu instid0(VALU_DEP_1)
	v_add_co_ci_u32_e64 v29, s0, s11, v29, s0
	global_load_b64 v[28:29], v[28:29], off
	ds_store_b8 v7, v22 offset:2048
	s_waitcnt vmcnt(0)
	ds_store_b64 v6, v[28:29]
	s_branch .LBB110_12
.LBB110_17:                             ;   in Loop: Header=BB110_10 Depth=1
	s_or_b32 exec_lo, exec_lo, s18
.LBB110_18:                             ;   in Loop: Header=BB110_10 Depth=1
	s_delay_alu instid0(SALU_CYCLE_1)
	s_or_b32 exec_lo, exec_lo, s17
	ds_bpermute_b32 v2, v11, v25
	s_waitcnt lgkmcnt(0)
	buffer_gl0_inv
	v_min_i32_e32 v2, v2, v25
	ds_load_u8 v25, v7 offset:2048
	ds_bpermute_b32 v5, v12, v2
	s_waitcnt lgkmcnt(0)
	v_min_i32_e32 v2, v5, v2
	ds_bpermute_b32 v5, v13, v2
	s_waitcnt lgkmcnt(0)
	v_min_i32_e32 v2, v5, v2
	ds_bpermute_b32 v6, v14, v2
	v_and_b32_e32 v2, 1, v25
	s_delay_alu instid0(VALU_DEP_1)
	v_cmp_eq_u32_e32 vcc_lo, 1, v2
	v_mov_b32_e32 v2, 0
	s_and_saveexec_b32 s0, vcc_lo
	s_cbranch_execz .LBB110_9
; %bb.19:                               ;   in Loop: Header=BB110_10 Depth=1
	v_ashrrev_i32_e32 v2, 31, v1
	v_add_nc_u32_e32 v5, s12, v24
	s_delay_alu instid0(VALU_DEP_2) | instskip(NEXT) | instid1(VALU_DEP_1)
	v_lshlrev_b64 v[25:26], 2, v[1:2]
	v_add_co_u32 v24, vcc_lo, s2, v25
	s_delay_alu instid0(VALU_DEP_2)
	v_add_co_ci_u32_e32 v25, vcc_lo, s3, v26, vcc_lo
	global_store_b32 v[24:25], v5, off
	s_and_saveexec_b32 s17, s4
	s_cbranch_execz .LBB110_8
; %bb.20:                               ;   in Loop: Header=BB110_10 Depth=1
	v_mul_lo_u32 v5, s14, v1
	v_mul_lo_u32 v2, s15, v2
	v_mad_u64_u32 v[24:25], null, s15, v1, 0
	ds_load_b64 v[26:27], v10
	v_add3_u32 v25, v25, v2, v5
	s_delay_alu instid0(VALU_DEP_1) | instskip(NEXT) | instid1(VALU_DEP_1)
	v_lshlrev_b64 v[24:25], 3, v[24:25]
	v_add_co_u32 v24, vcc_lo, v20, v24
	s_delay_alu instid0(VALU_DEP_2)
	v_add_co_ci_u32_e32 v25, vcc_lo, v19, v25, vcc_lo
	s_waitcnt lgkmcnt(0)
	global_store_b64 v[24:25], v[26:27], off
	s_branch .LBB110_8
.LBB110_21:
	s_endpgm
	.section	.rodata,"a",@progbits
	.p2align	6, 0x0
	.amdhsa_kernel _ZN9rocsparseL42csr2bsr_wavefront_per_row_multipass_kernelILj256ELj64ELj8EdiiEEv20rocsparse_direction_T4_S2_S2_S2_S2_21rocsparse_index_base_PKT2_PKT3_PKS2_S3_PS4_PS7_PS2_
		.amdhsa_group_segment_fixed_size 2056
		.amdhsa_private_segment_fixed_size 0
		.amdhsa_kernarg_size 88
		.amdhsa_user_sgpr_count 15
		.amdhsa_user_sgpr_dispatch_ptr 0
		.amdhsa_user_sgpr_queue_ptr 0
		.amdhsa_user_sgpr_kernarg_segment_ptr 1
		.amdhsa_user_sgpr_dispatch_id 0
		.amdhsa_user_sgpr_private_segment_size 0
		.amdhsa_wavefront_size32 1
		.amdhsa_uses_dynamic_stack 0
		.amdhsa_enable_private_segment 0
		.amdhsa_system_sgpr_workgroup_id_x 1
		.amdhsa_system_sgpr_workgroup_id_y 0
		.amdhsa_system_sgpr_workgroup_id_z 0
		.amdhsa_system_sgpr_workgroup_info 0
		.amdhsa_system_vgpr_workitem_id 0
		.amdhsa_next_free_vgpr 31
		.amdhsa_next_free_sgpr 20
		.amdhsa_reserve_vcc 1
		.amdhsa_float_round_mode_32 0
		.amdhsa_float_round_mode_16_64 0
		.amdhsa_float_denorm_mode_32 3
		.amdhsa_float_denorm_mode_16_64 3
		.amdhsa_dx10_clamp 1
		.amdhsa_ieee_mode 1
		.amdhsa_fp16_overflow 0
		.amdhsa_workgroup_processor_mode 1
		.amdhsa_memory_ordered 1
		.amdhsa_forward_progress 0
		.amdhsa_shared_vgpr_count 0
		.amdhsa_exception_fp_ieee_invalid_op 0
		.amdhsa_exception_fp_denorm_src 0
		.amdhsa_exception_fp_ieee_div_zero 0
		.amdhsa_exception_fp_ieee_overflow 0
		.amdhsa_exception_fp_ieee_underflow 0
		.amdhsa_exception_fp_ieee_inexact 0
		.amdhsa_exception_int_div_zero 0
	.end_amdhsa_kernel
	.section	.text._ZN9rocsparseL42csr2bsr_wavefront_per_row_multipass_kernelILj256ELj64ELj8EdiiEEv20rocsparse_direction_T4_S2_S2_S2_S2_21rocsparse_index_base_PKT2_PKT3_PKS2_S3_PS4_PS7_PS2_,"axG",@progbits,_ZN9rocsparseL42csr2bsr_wavefront_per_row_multipass_kernelILj256ELj64ELj8EdiiEEv20rocsparse_direction_T4_S2_S2_S2_S2_21rocsparse_index_base_PKT2_PKT3_PKS2_S3_PS4_PS7_PS2_,comdat
.Lfunc_end110:
	.size	_ZN9rocsparseL42csr2bsr_wavefront_per_row_multipass_kernelILj256ELj64ELj8EdiiEEv20rocsparse_direction_T4_S2_S2_S2_S2_21rocsparse_index_base_PKT2_PKT3_PKS2_S3_PS4_PS7_PS2_, .Lfunc_end110-_ZN9rocsparseL42csr2bsr_wavefront_per_row_multipass_kernelILj256ELj64ELj8EdiiEEv20rocsparse_direction_T4_S2_S2_S2_S2_21rocsparse_index_base_PKT2_PKT3_PKS2_S3_PS4_PS7_PS2_
                                        ; -- End function
	.section	.AMDGPU.csdata,"",@progbits
; Kernel info:
; codeLenInByte = 1612
; NumSgprs: 22
; NumVgprs: 31
; ScratchSize: 0
; MemoryBound: 0
; FloatMode: 240
; IeeeMode: 1
; LDSByteSize: 2056 bytes/workgroup (compile time only)
; SGPRBlocks: 2
; VGPRBlocks: 3
; NumSGPRsForWavesPerEU: 22
; NumVGPRsForWavesPerEU: 31
; Occupancy: 16
; WaveLimiterHint : 0
; COMPUTE_PGM_RSRC2:SCRATCH_EN: 0
; COMPUTE_PGM_RSRC2:USER_SGPR: 15
; COMPUTE_PGM_RSRC2:TRAP_HANDLER: 0
; COMPUTE_PGM_RSRC2:TGID_X_EN: 1
; COMPUTE_PGM_RSRC2:TGID_Y_EN: 0
; COMPUTE_PGM_RSRC2:TGID_Z_EN: 0
; COMPUTE_PGM_RSRC2:TIDIG_COMP_CNT: 0
	.section	.text._ZN9rocsparseL42csr2bsr_wavefront_per_row_multipass_kernelILj256ELj32ELj8EdiiEEv20rocsparse_direction_T4_S2_S2_S2_S2_21rocsparse_index_base_PKT2_PKT3_PKS2_S3_PS4_PS7_PS2_,"axG",@progbits,_ZN9rocsparseL42csr2bsr_wavefront_per_row_multipass_kernelILj256ELj32ELj8EdiiEEv20rocsparse_direction_T4_S2_S2_S2_S2_21rocsparse_index_base_PKT2_PKT3_PKS2_S3_PS4_PS7_PS2_,comdat
	.globl	_ZN9rocsparseL42csr2bsr_wavefront_per_row_multipass_kernelILj256ELj32ELj8EdiiEEv20rocsparse_direction_T4_S2_S2_S2_S2_21rocsparse_index_base_PKT2_PKT3_PKS2_S3_PS4_PS7_PS2_ ; -- Begin function _ZN9rocsparseL42csr2bsr_wavefront_per_row_multipass_kernelILj256ELj32ELj8EdiiEEv20rocsparse_direction_T4_S2_S2_S2_S2_21rocsparse_index_base_PKT2_PKT3_PKS2_S3_PS4_PS7_PS2_
	.p2align	8
	.type	_ZN9rocsparseL42csr2bsr_wavefront_per_row_multipass_kernelILj256ELj32ELj8EdiiEEv20rocsparse_direction_T4_S2_S2_S2_S2_21rocsparse_index_base_PKT2_PKT3_PKS2_S3_PS4_PS7_PS2_,@function
_ZN9rocsparseL42csr2bsr_wavefront_per_row_multipass_kernelILj256ELj32ELj8EdiiEEv20rocsparse_direction_T4_S2_S2_S2_S2_21rocsparse_index_base_PKT2_PKT3_PKS2_S3_PS4_PS7_PS2_: ; @_ZN9rocsparseL42csr2bsr_wavefront_per_row_multipass_kernelILj256ELj32ELj8EdiiEEv20rocsparse_direction_T4_S2_S2_S2_S2_21rocsparse_index_base_PKT2_PKT3_PKS2_S3_PS4_PS7_PS2_
; %bb.0:
	s_clause 0x1
	s_load_b128 s[4:7], s[0:1], 0xc
	s_load_b64 s[12:13], s[0:1], 0x0
	v_lshrrev_b32_e32 v12, 5, v0
	v_bfe_u32 v2, v0, 2, 3
	s_load_b64 s[8:9], s[0:1], 0x28
	v_dual_mov_b32 v13, 0 :: v_dual_mov_b32 v10, 0
	s_delay_alu instid0(VALU_DEP_3) | instskip(SKIP_1) | instid1(VALU_DEP_1)
	v_lshl_or_b32 v3, s15, 3, v12
	s_waitcnt lgkmcnt(0)
	v_mad_u64_u32 v[4:5], null, v3, s6, v[2:3]
	v_cmp_gt_i32_e32 vcc_lo, s6, v2
	s_delay_alu instid0(VALU_DEP_2) | instskip(NEXT) | instid1(VALU_DEP_1)
	v_cmp_gt_i32_e64 s2, s13, v4
	s_and_b32 s3, vcc_lo, s2
	s_delay_alu instid0(SALU_CYCLE_1)
	s_and_saveexec_b32 s10, s3
	s_cbranch_execz .LBB111_2
; %bb.1:
	v_ashrrev_i32_e32 v5, 31, v4
	s_delay_alu instid0(VALU_DEP_1) | instskip(NEXT) | instid1(VALU_DEP_1)
	v_lshlrev_b64 v[5:6], 2, v[4:5]
	v_add_co_u32 v5, s2, s8, v5
	s_delay_alu instid0(VALU_DEP_1)
	v_add_co_ci_u32_e64 v6, s2, s9, v6, s2
	global_load_b32 v1, v[5:6], off
	s_waitcnt vmcnt(0)
	v_subrev_nc_u32_e32 v10, s7, v1
.LBB111_2:
	s_or_b32 exec_lo, exec_lo, s10
	s_and_saveexec_b32 s10, s3
	s_cbranch_execz .LBB111_4
; %bb.3:
	v_ashrrev_i32_e32 v5, 31, v4
	s_delay_alu instid0(VALU_DEP_1) | instskip(NEXT) | instid1(VALU_DEP_1)
	v_lshlrev_b64 v[4:5], 2, v[4:5]
	v_add_co_u32 v4, s2, s8, v4
	s_delay_alu instid0(VALU_DEP_1)
	v_add_co_ci_u32_e64 v5, s2, s9, v5, s2
	global_load_b32 v1, v[4:5], off offset:4
	s_waitcnt vmcnt(0)
	v_subrev_nc_u32_e32 v13, s7, v1
.LBB111_4:
	s_or_b32 exec_lo, exec_lo, s10
	s_load_b32 s14, s[0:1], 0x38
	v_mov_b32_e32 v1, 0
	s_mov_b32 s3, exec_lo
	v_cmpx_gt_i32_e64 s4, v3
	s_cbranch_execz .LBB111_6
; %bb.5:
	s_load_b64 s[8:9], s[0:1], 0x48
	v_ashrrev_i32_e32 v4, 31, v3
	s_delay_alu instid0(VALU_DEP_1) | instskip(SKIP_1) | instid1(VALU_DEP_1)
	v_lshlrev_b64 v[3:4], 2, v[3:4]
	s_waitcnt lgkmcnt(0)
	v_add_co_u32 v3, s2, s8, v3
	s_delay_alu instid0(VALU_DEP_1)
	v_add_co_ci_u32_e64 v4, s2, s9, v4, s2
	global_load_b32 v1, v[3:4], off
	s_waitcnt vmcnt(0)
	v_subrev_nc_u32_e32 v1, s14, v1
.LBB111_6:
	s_or_b32 exec_lo, exec_lo, s3
	s_cmp_lt_i32 s5, 1
	s_cbranch_scc1 .LBB111_30
; %bb.7:
	v_mbcnt_lo_u32_b32 v6, -1, 0
	s_clause 0x3
	s_load_b64 s[2:3], s[0:1], 0x20
	s_load_b64 s[8:9], s[0:1], 0x50
	;; [unrolled: 1-line block ×4, first 2 shown]
	s_cmp_lg_u32 s12, 0
	s_mov_b32 s12, 0
	v_xor_b32_e32 v3, 2, v6
	v_xor_b32_e32 v4, 1, v6
	s_mov_b32 s13, s12
	v_lshlrev_b32_e32 v7, 3, v2
	v_mul_lo_u32 v2, v2, s6
	v_cmp_gt_i32_e64 s0, 32, v3
	s_cselect_b32 s4, -1, 0
	s_abs_i32 s15, s6
	v_and_b32_e32 v0, 3, v0
	v_cvt_f32_u32_e32 v5, s15
	v_cndmask_b32_e64 v3, v6, v3, s0
	v_cmp_gt_i32_e64 s0, 32, v4
	v_lshl_or_b32 v14, v12, 6, v7
	s_sub_i32 s1, 0, s15
	v_rcp_iflag_f32_e32 v8, v5
	v_dual_mov_b32 v28, 1 :: v_dual_lshlrev_b32 v15, 2, v3
	v_cndmask_b32_e64 v4, v6, v4, s0
	v_mov_b32_e32 v3, 0
	s_waitcnt lgkmcnt(0)
	v_add_co_u32 v18, s0, s18, v7
	s_delay_alu instid0(VALU_DEP_1)
	v_add_co_ci_u32_e64 v19, null, s19, 0, s0
	v_dual_mov_b32 v25, 0x7c :: v_dual_lshlrev_b32 v16, 2, v4
	v_lshlrev_b64 v[4:5], 3, v[2:3]
	v_xor_b32_e32 v2, 16, v6
	v_lshl_or_b32 v17, v6, 2, 12
	v_lshlrev_b32_e32 v29, 3, v0
	v_mov_b32_e32 v31, 0
	s_mul_hi_u32 s16, s6, s6
	v_add_co_u32 v20, s0, s18, v4
	s_delay_alu instid0(VALU_DEP_1)
	v_add_co_ci_u32_e64 v21, s0, s19, v5, s0
	v_cmp_gt_i32_e64 s0, 32, v2
	v_xor_b32_e32 v4, 8, v6
	s_mul_i32 s17, s6, s6
	s_ashr_i32 s18, s6, 31
	v_mov_b32_e32 v9, v3
	v_cndmask_b32_e64 v2, v6, v2, s0
	v_mul_f32_e32 v7, 0x4f7ffffe, v8
	v_cmp_gt_i32_e64 s0, 32, v4
	s_delay_alu instid0(VALU_DEP_3) | instskip(NEXT) | instid1(VALU_DEP_3)
	v_lshlrev_b32_e32 v22, 2, v2
	v_cvt_u32_f32_e32 v5, v7
	v_xor_b32_e32 v7, 4, v6
	s_delay_alu instid0(VALU_DEP_4) | instskip(SKIP_1) | instid1(VALU_DEP_4)
	v_cndmask_b32_e64 v4, v6, v4, s0
	v_mul_lo_u32 v2, v0, s6
	v_mul_lo_u32 v8, s1, v5
	s_delay_alu instid0(VALU_DEP_4) | instskip(NEXT) | instid1(VALU_DEP_4)
	v_cmp_gt_i32_e64 s0, 32, v7
	v_lshlrev_b32_e32 v23, 2, v4
	v_or_b32_e32 v4, v14, v0
	s_delay_alu instid0(VALU_DEP_3)
	v_cndmask_b32_e64 v6, v6, v7, s0
	v_cmp_gt_u32_e64 s0, s6, v0
	v_mul_hi_u32 v7, v5, v8
	v_lshl_add_u32 v8, s6, 2, v2
	v_lshlrev_b32_e32 v26, 3, v4
	v_lshlrev_b32_e32 v24, 2, v6
	v_or_b32_e32 v6, 4, v0
	s_delay_alu instid0(VALU_DEP_4) | instskip(SKIP_1) | instid1(VALU_DEP_3)
	v_lshlrev_b64 v[8:9], 3, v[8:9]
	v_add_nc_u32_e32 v27, v5, v7
	v_cmp_gt_u32_e64 s1, s6, v6
	v_mov_b32_e32 v4, s12
	v_lshlrev_b64 v[6:7], 3, v[2:3]
	v_mov_b32_e32 v5, s13
	s_and_b32 s13, s0, vcc_lo
	s_and_b32 s1, vcc_lo, s1
	s_branch .LBB111_11
.LBB111_8:                              ;   in Loop: Header=BB111_11 Depth=1
	v_mov_b32_e32 v33, s20
.LBB111_9:                              ;   in Loop: Header=BB111_11 Depth=1
	s_or_b32 exec_lo, exec_lo, s19
.LBB111_10:                             ;   in Loop: Header=BB111_11 Depth=1
	s_delay_alu instid0(SALU_CYCLE_1)
	s_or_b32 exec_lo, exec_lo, s0
	ds_bpermute_b32 v2, v22, v30
	v_add_nc_u32_e32 v1, v33, v1
	s_waitcnt lgkmcnt(0)
	s_waitcnt_vscnt null, 0x0
	buffer_gl0_inv
	buffer_gl0_inv
	v_min_i32_e32 v2, v2, v30
	ds_bpermute_b32 v11, v23, v2
	s_waitcnt lgkmcnt(0)
	v_min_i32_e32 v2, v11, v2
	ds_bpermute_b32 v11, v24, v2
	s_waitcnt lgkmcnt(0)
	;; [unrolled: 3-line block ×5, first 2 shown]
	v_cmp_le_i32_e32 vcc_lo, s5, v31
	s_or_b32 s12, vcc_lo, s12
	s_delay_alu instid0(SALU_CYCLE_1)
	s_and_not1_b32 exec_lo, exec_lo, s12
	s_cbranch_execz .LBB111_30
.LBB111_11:                             ; =>This Loop Header: Depth=1
                                        ;     Child Loop BB111_14 Depth 2
	v_add_nc_u32_e32 v10, v10, v0
	v_mov_b32_e32 v30, s5
	v_mov_b32_e32 v32, v13
	s_mov_b32 s19, exec_lo
	ds_store_b8 v12, v3 offset:4096
	ds_store_2addr_b64 v26, v[4:5], v[4:5] offset1:4
	s_waitcnt lgkmcnt(0)
	buffer_gl0_inv
	v_cmpx_lt_i32_e64 v10, v13
	s_cbranch_execz .LBB111_19
; %bb.12:                               ;   in Loop: Header=BB111_11 Depth=1
	v_mul_lo_u32 v2, v31, s6
	v_mov_b32_e32 v30, s5
	v_mov_b32_e32 v32, v13
	s_mov_b32 s20, 0
	s_branch .LBB111_14
.LBB111_13:                             ;   in Loop: Header=BB111_14 Depth=2
	s_or_b32 exec_lo, exec_lo, s21
	v_add_nc_u32_e32 v10, 4, v10
	s_xor_b32 s21, vcc_lo, -1
	s_delay_alu instid0(VALU_DEP_1) | instskip(NEXT) | instid1(VALU_DEP_1)
	v_cmp_ge_i32_e64 s0, v10, v13
	s_or_b32 s0, s21, s0
	s_delay_alu instid0(SALU_CYCLE_1) | instskip(NEXT) | instid1(SALU_CYCLE_1)
	s_and_b32 s0, exec_lo, s0
	s_or_b32 s20, s0, s20
	s_delay_alu instid0(SALU_CYCLE_1)
	s_and_not1_b32 exec_lo, exec_lo, s20
	s_cbranch_execz .LBB111_18
.LBB111_14:                             ;   Parent Loop BB111_11 Depth=1
                                        ; =>  This Inner Loop Header: Depth=2
	v_ashrrev_i32_e32 v11, 31, v10
	s_delay_alu instid0(VALU_DEP_1) | instskip(NEXT) | instid1(VALU_DEP_1)
	v_lshlrev_b64 v[33:34], 2, v[10:11]
	v_add_co_u32 v33, vcc_lo, s10, v33
	s_delay_alu instid0(VALU_DEP_2) | instskip(SKIP_3) | instid1(VALU_DEP_1)
	v_add_co_ci_u32_e32 v34, vcc_lo, s11, v34, vcc_lo
	global_load_b32 v33, v[33:34], off
	s_waitcnt vmcnt(0)
	v_subrev_nc_u32_e32 v33, s7, v33
	v_sub_nc_u32_e32 v34, 0, v33
	s_delay_alu instid0(VALU_DEP_1) | instskip(NEXT) | instid1(VALU_DEP_1)
	v_max_i32_e32 v34, v33, v34
	v_mul_hi_u32 v35, v34, v27
	s_delay_alu instid0(VALU_DEP_1) | instskip(NEXT) | instid1(VALU_DEP_1)
	v_mul_lo_u32 v36, v35, s15
	v_sub_nc_u32_e32 v34, v34, v36
	v_add_nc_u32_e32 v36, 1, v35
	s_delay_alu instid0(VALU_DEP_2) | instskip(SKIP_1) | instid1(VALU_DEP_2)
	v_subrev_nc_u32_e32 v37, s15, v34
	v_cmp_le_u32_e32 vcc_lo, s15, v34
	v_dual_cndmask_b32 v35, v35, v36 :: v_dual_cndmask_b32 v34, v34, v37
	v_ashrrev_i32_e32 v36, 31, v33
	s_delay_alu instid0(VALU_DEP_2) | instskip(NEXT) | instid1(VALU_DEP_3)
	v_add_nc_u32_e32 v37, 1, v35
	v_cmp_le_u32_e32 vcc_lo, s15, v34
	s_delay_alu instid0(VALU_DEP_3) | instskip(NEXT) | instid1(VALU_DEP_3)
	v_xor_b32_e32 v36, s18, v36
	v_cndmask_b32_e32 v34, v35, v37, vcc_lo
	s_delay_alu instid0(VALU_DEP_1) | instskip(NEXT) | instid1(VALU_DEP_1)
	v_xor_b32_e32 v34, v34, v36
	v_sub_nc_u32_e32 v35, v34, v36
	v_mov_b32_e32 v34, v32
	s_delay_alu instid0(VALU_DEP_2) | instskip(SKIP_1) | instid1(VALU_DEP_1)
	v_cmp_eq_u32_e32 vcc_lo, v35, v31
	v_cmp_ne_u32_e64 s0, v35, v31
	s_and_saveexec_b32 s21, s0
	s_delay_alu instid0(SALU_CYCLE_1)
	s_xor_b32 s0, exec_lo, s21
; %bb.15:                               ;   in Loop: Header=BB111_14 Depth=2
	v_min_i32_e32 v30, v35, v30
                                        ; implicit-def: $vgpr33
                                        ; implicit-def: $vgpr34
; %bb.16:                               ;   in Loop: Header=BB111_14 Depth=2
	s_or_saveexec_b32 s21, s0
	v_mov_b32_e32 v32, v10
	s_xor_b32 exec_lo, exec_lo, s21
	s_cbranch_execz .LBB111_13
; %bb.17:                               ;   in Loop: Header=BB111_14 Depth=2
	v_lshlrev_b64 v[35:36], 3, v[10:11]
	v_sub_nc_u32_e32 v11, v33, v2
	v_mov_b32_e32 v32, v34
	s_delay_alu instid0(VALU_DEP_2) | instskip(NEXT) | instid1(VALU_DEP_4)
	v_add_lshl_u32 v11, v14, v11, 3
	v_add_co_u32 v35, s0, s2, v35
	s_delay_alu instid0(VALU_DEP_1)
	v_add_co_ci_u32_e64 v36, s0, s3, v36, s0
	global_load_b64 v[35:36], v[35:36], off
	ds_store_b8 v12, v28 offset:4096
	s_waitcnt vmcnt(0)
	ds_store_b64 v11, v[35:36]
	s_branch .LBB111_13
.LBB111_18:                             ;   in Loop: Header=BB111_11 Depth=1
	s_or_b32 exec_lo, exec_lo, s20
.LBB111_19:                             ;   in Loop: Header=BB111_11 Depth=1
	s_delay_alu instid0(SALU_CYCLE_1)
	s_or_b32 exec_lo, exec_lo, s19
	ds_bpermute_b32 v2, v15, v32
	s_waitcnt lgkmcnt(0)
	buffer_gl0_inv
	ds_load_u8 v11, v12 offset:4096
	s_mov_b32 s0, exec_lo
	v_mov_b32_e32 v33, 0
	v_min_i32_e32 v2, v2, v32
	ds_bpermute_b32 v10, v16, v2
	s_waitcnt lgkmcnt(0)
	v_min_i32_e32 v2, v10, v2
	ds_bpermute_b32 v10, v17, v2
	v_and_b32_e32 v2, 1, v11
	s_delay_alu instid0(VALU_DEP_1)
	v_cmpx_eq_u32_e32 1, v2
	s_cbranch_execz .LBB111_10
; %bb.20:                               ;   in Loop: Header=BB111_11 Depth=1
	v_ashrrev_i32_e32 v2, 31, v1
	v_mul_lo_u32 v11, s16, v1
	v_mad_u64_u32 v[32:33], null, s17, v1, 0
	v_add_nc_u32_e32 v38, s14, v31
	s_delay_alu instid0(VALU_DEP_4) | instskip(NEXT) | instid1(VALU_DEP_1)
	v_mul_lo_u32 v34, s17, v2
	v_add3_u32 v33, v33, v34, v11
	v_lshlrev_b64 v[34:35], 2, v[1:2]
	s_delay_alu instid0(VALU_DEP_2) | instskip(NEXT) | instid1(VALU_DEP_2)
	v_lshlrev_b64 v[36:37], 3, v[32:33]
	v_add_co_u32 v33, vcc_lo, s8, v34
	s_delay_alu instid0(VALU_DEP_3) | instskip(NEXT) | instid1(VALU_DEP_3)
	v_add_co_ci_u32_e32 v34, vcc_lo, s9, v35, vcc_lo
	v_add_co_u32 v31, vcc_lo, v18, v36
	s_delay_alu instid0(VALU_DEP_4)
	v_add_co_ci_u32_e32 v32, vcc_lo, v19, v37, vcc_lo
	v_add_co_u32 v2, vcc_lo, v20, v36
	v_add_co_ci_u32_e32 v11, vcc_lo, v21, v37, vcc_lo
	global_store_b32 v[33:34], v38, off
	s_and_saveexec_b32 s19, s13
	s_cbranch_execz .LBB111_24
; %bb.21:                               ;   in Loop: Header=BB111_11 Depth=1
	s_and_b32 vcc_lo, exec_lo, s4
	s_cbranch_vccz .LBB111_27
; %bb.22:                               ;   in Loop: Header=BB111_11 Depth=1
	ds_load_b64 v[33:34], v26
	v_add_co_u32 v35, vcc_lo, v31, v6
	v_add_co_ci_u32_e32 v36, vcc_lo, v32, v7, vcc_lo
	s_waitcnt lgkmcnt(0)
	global_store_b64 v[35:36], v[33:34], off
	s_cbranch_execnz .LBB111_24
.LBB111_23:                             ;   in Loop: Header=BB111_11 Depth=1
	ds_load_b64 v[33:34], v26
	v_add_co_u32 v35, vcc_lo, v2, v29
	v_add_co_ci_u32_e32 v36, vcc_lo, 0, v11, vcc_lo
	s_waitcnt lgkmcnt(0)
	global_store_b64 v[35:36], v[33:34], off
.LBB111_24:                             ;   in Loop: Header=BB111_11 Depth=1
	s_or_b32 exec_lo, exec_lo, s19
	v_mov_b32_e32 v33, 1
	s_and_saveexec_b32 s19, s1
	s_cbranch_execz .LBB111_9
; %bb.25:                               ;   in Loop: Header=BB111_11 Depth=1
	s_and_not1_b32 vcc_lo, exec_lo, s4
	s_cbranch_vccnz .LBB111_28
; %bb.26:                               ;   in Loop: Header=BB111_11 Depth=1
	ds_load_b64 v[33:34], v26 offset:32
	v_add_co_u32 v31, vcc_lo, v31, v8
	v_add_co_ci_u32_e32 v32, vcc_lo, v32, v9, vcc_lo
	s_mov_b32 s20, 1
	s_waitcnt lgkmcnt(0)
	global_store_b64 v[31:32], v[33:34], off
	s_cbranch_execnz .LBB111_8
	s_branch .LBB111_29
.LBB111_27:                             ;   in Loop: Header=BB111_11 Depth=1
	s_branch .LBB111_23
.LBB111_28:                             ;   in Loop: Header=BB111_11 Depth=1
                                        ; implicit-def: $sgpr20
.LBB111_29:                             ;   in Loop: Header=BB111_11 Depth=1
	ds_load_b64 v[31:32], v26 offset:32
	v_add_co_u32 v33, vcc_lo, v2, v29
	v_add_co_ci_u32_e32 v34, vcc_lo, 0, v11, vcc_lo
	s_mov_b32 s20, 1
	s_waitcnt lgkmcnt(0)
	global_store_b64 v[33:34], v[31:32], off offset:32
	s_branch .LBB111_8
.LBB111_30:
	s_endpgm
	.section	.rodata,"a",@progbits
	.p2align	6, 0x0
	.amdhsa_kernel _ZN9rocsparseL42csr2bsr_wavefront_per_row_multipass_kernelILj256ELj32ELj8EdiiEEv20rocsparse_direction_T4_S2_S2_S2_S2_21rocsparse_index_base_PKT2_PKT3_PKS2_S3_PS4_PS7_PS2_
		.amdhsa_group_segment_fixed_size 4104
		.amdhsa_private_segment_fixed_size 0
		.amdhsa_kernarg_size 88
		.amdhsa_user_sgpr_count 15
		.amdhsa_user_sgpr_dispatch_ptr 0
		.amdhsa_user_sgpr_queue_ptr 0
		.amdhsa_user_sgpr_kernarg_segment_ptr 1
		.amdhsa_user_sgpr_dispatch_id 0
		.amdhsa_user_sgpr_private_segment_size 0
		.amdhsa_wavefront_size32 1
		.amdhsa_uses_dynamic_stack 0
		.amdhsa_enable_private_segment 0
		.amdhsa_system_sgpr_workgroup_id_x 1
		.amdhsa_system_sgpr_workgroup_id_y 0
		.amdhsa_system_sgpr_workgroup_id_z 0
		.amdhsa_system_sgpr_workgroup_info 0
		.amdhsa_system_vgpr_workitem_id 0
		.amdhsa_next_free_vgpr 39
		.amdhsa_next_free_sgpr 22
		.amdhsa_reserve_vcc 1
		.amdhsa_float_round_mode_32 0
		.amdhsa_float_round_mode_16_64 0
		.amdhsa_float_denorm_mode_32 3
		.amdhsa_float_denorm_mode_16_64 3
		.amdhsa_dx10_clamp 1
		.amdhsa_ieee_mode 1
		.amdhsa_fp16_overflow 0
		.amdhsa_workgroup_processor_mode 1
		.amdhsa_memory_ordered 1
		.amdhsa_forward_progress 0
		.amdhsa_shared_vgpr_count 0
		.amdhsa_exception_fp_ieee_invalid_op 0
		.amdhsa_exception_fp_denorm_src 0
		.amdhsa_exception_fp_ieee_div_zero 0
		.amdhsa_exception_fp_ieee_overflow 0
		.amdhsa_exception_fp_ieee_underflow 0
		.amdhsa_exception_fp_ieee_inexact 0
		.amdhsa_exception_int_div_zero 0
	.end_amdhsa_kernel
	.section	.text._ZN9rocsparseL42csr2bsr_wavefront_per_row_multipass_kernelILj256ELj32ELj8EdiiEEv20rocsparse_direction_T4_S2_S2_S2_S2_21rocsparse_index_base_PKT2_PKT3_PKS2_S3_PS4_PS7_PS2_,"axG",@progbits,_ZN9rocsparseL42csr2bsr_wavefront_per_row_multipass_kernelILj256ELj32ELj8EdiiEEv20rocsparse_direction_T4_S2_S2_S2_S2_21rocsparse_index_base_PKT2_PKT3_PKS2_S3_PS4_PS7_PS2_,comdat
.Lfunc_end111:
	.size	_ZN9rocsparseL42csr2bsr_wavefront_per_row_multipass_kernelILj256ELj32ELj8EdiiEEv20rocsparse_direction_T4_S2_S2_S2_S2_21rocsparse_index_base_PKT2_PKT3_PKS2_S3_PS4_PS7_PS2_, .Lfunc_end111-_ZN9rocsparseL42csr2bsr_wavefront_per_row_multipass_kernelILj256ELj32ELj8EdiiEEv20rocsparse_direction_T4_S2_S2_S2_S2_21rocsparse_index_base_PKT2_PKT3_PKS2_S3_PS4_PS7_PS2_
                                        ; -- End function
	.section	.AMDGPU.csdata,"",@progbits
; Kernel info:
; codeLenInByte = 1752
; NumSgprs: 24
; NumVgprs: 39
; ScratchSize: 0
; MemoryBound: 0
; FloatMode: 240
; IeeeMode: 1
; LDSByteSize: 4104 bytes/workgroup (compile time only)
; SGPRBlocks: 2
; VGPRBlocks: 4
; NumSGPRsForWavesPerEU: 24
; NumVGPRsForWavesPerEU: 39
; Occupancy: 16
; WaveLimiterHint : 0
; COMPUTE_PGM_RSRC2:SCRATCH_EN: 0
; COMPUTE_PGM_RSRC2:USER_SGPR: 15
; COMPUTE_PGM_RSRC2:TRAP_HANDLER: 0
; COMPUTE_PGM_RSRC2:TGID_X_EN: 1
; COMPUTE_PGM_RSRC2:TGID_Y_EN: 0
; COMPUTE_PGM_RSRC2:TGID_Z_EN: 0
; COMPUTE_PGM_RSRC2:TIDIG_COMP_CNT: 0
	.section	.text._ZN9rocsparseL42csr2bsr_wavefront_per_row_multipass_kernelILj256ELj64ELj16EdiiEEv20rocsparse_direction_T4_S2_S2_S2_S2_21rocsparse_index_base_PKT2_PKT3_PKS2_S3_PS4_PS7_PS2_,"axG",@progbits,_ZN9rocsparseL42csr2bsr_wavefront_per_row_multipass_kernelILj256ELj64ELj16EdiiEEv20rocsparse_direction_T4_S2_S2_S2_S2_21rocsparse_index_base_PKT2_PKT3_PKS2_S3_PS4_PS7_PS2_,comdat
	.globl	_ZN9rocsparseL42csr2bsr_wavefront_per_row_multipass_kernelILj256ELj64ELj16EdiiEEv20rocsparse_direction_T4_S2_S2_S2_S2_21rocsparse_index_base_PKT2_PKT3_PKS2_S3_PS4_PS7_PS2_ ; -- Begin function _ZN9rocsparseL42csr2bsr_wavefront_per_row_multipass_kernelILj256ELj64ELj16EdiiEEv20rocsparse_direction_T4_S2_S2_S2_S2_21rocsparse_index_base_PKT2_PKT3_PKS2_S3_PS4_PS7_PS2_
	.p2align	8
	.type	_ZN9rocsparseL42csr2bsr_wavefront_per_row_multipass_kernelILj256ELj64ELj16EdiiEEv20rocsparse_direction_T4_S2_S2_S2_S2_21rocsparse_index_base_PKT2_PKT3_PKS2_S3_PS4_PS7_PS2_,@function
_ZN9rocsparseL42csr2bsr_wavefront_per_row_multipass_kernelILj256ELj64ELj16EdiiEEv20rocsparse_direction_T4_S2_S2_S2_S2_21rocsparse_index_base_PKT2_PKT3_PKS2_S3_PS4_PS7_PS2_: ; @_ZN9rocsparseL42csr2bsr_wavefront_per_row_multipass_kernelILj256ELj64ELj16EdiiEEv20rocsparse_direction_T4_S2_S2_S2_S2_21rocsparse_index_base_PKT2_PKT3_PKS2_S3_PS4_PS7_PS2_
; %bb.0:
	s_clause 0x1
	s_load_b128 s[4:7], s[0:1], 0xc
	s_load_b64 s[16:17], s[0:1], 0x0
	v_lshrrev_b32_e32 v16, 6, v0
	v_bfe_u32 v4, v0, 2, 4
	s_load_b64 s[8:9], s[0:1], 0x28
	v_dual_mov_b32 v17, 0 :: v_dual_mov_b32 v14, 0
	s_delay_alu instid0(VALU_DEP_3) | instskip(SKIP_1) | instid1(VALU_DEP_1)
	v_lshl_or_b32 v2, s15, 2, v16
	s_waitcnt lgkmcnt(0)
	v_mad_u64_u32 v[5:6], null, v2, s6, v[4:5]
	v_cmp_gt_i32_e32 vcc_lo, s6, v4
	s_delay_alu instid0(VALU_DEP_2) | instskip(NEXT) | instid1(VALU_DEP_1)
	v_cmp_gt_i32_e64 s2, s17, v5
	s_and_b32 s3, vcc_lo, s2
	s_delay_alu instid0(SALU_CYCLE_1)
	s_and_saveexec_b32 s10, s3
	s_cbranch_execz .LBB112_2
; %bb.1:
	v_ashrrev_i32_e32 v6, 31, v5
	s_delay_alu instid0(VALU_DEP_1) | instskip(NEXT) | instid1(VALU_DEP_1)
	v_lshlrev_b64 v[6:7], 2, v[5:6]
	v_add_co_u32 v6, s2, s8, v6
	s_delay_alu instid0(VALU_DEP_1)
	v_add_co_ci_u32_e64 v7, s2, s9, v7, s2
	global_load_b32 v1, v[6:7], off
	s_waitcnt vmcnt(0)
	v_subrev_nc_u32_e32 v14, s7, v1
.LBB112_2:
	s_or_b32 exec_lo, exec_lo, s10
	s_and_saveexec_b32 s10, s3
	s_cbranch_execz .LBB112_4
; %bb.3:
	v_ashrrev_i32_e32 v6, 31, v5
	s_delay_alu instid0(VALU_DEP_1) | instskip(NEXT) | instid1(VALU_DEP_1)
	v_lshlrev_b64 v[5:6], 2, v[5:6]
	v_add_co_u32 v5, s2, s8, v5
	s_delay_alu instid0(VALU_DEP_1)
	v_add_co_ci_u32_e64 v6, s2, s9, v6, s2
	global_load_b32 v1, v[5:6], off offset:4
	s_waitcnt vmcnt(0)
	v_subrev_nc_u32_e32 v17, s7, v1
.LBB112_4:
	s_or_b32 exec_lo, exec_lo, s10
	s_load_b32 s17, s[0:1], 0x38
	v_mov_b32_e32 v1, 0
	s_mov_b32 s3, exec_lo
	v_cmpx_gt_i32_e64 s4, v2
	s_cbranch_execz .LBB112_6
; %bb.5:
	s_load_b64 s[8:9], s[0:1], 0x48
	v_ashrrev_i32_e32 v3, 31, v2
	s_delay_alu instid0(VALU_DEP_1) | instskip(SKIP_1) | instid1(VALU_DEP_1)
	v_lshlrev_b64 v[1:2], 2, v[2:3]
	s_waitcnt lgkmcnt(0)
	v_add_co_u32 v1, s2, s8, v1
	s_delay_alu instid0(VALU_DEP_1)
	v_add_co_ci_u32_e64 v2, s2, s9, v2, s2
	global_load_b32 v1, v[1:2], off
	s_waitcnt vmcnt(0)
	v_subrev_nc_u32_e32 v1, s17, v1
.LBB112_6:
	s_or_b32 exec_lo, exec_lo, s3
	s_cmp_lt_i32 s5, 1
	s_cbranch_scc1 .LBB112_40
; %bb.7:
	v_mbcnt_lo_u32_b32 v6, -1, 0
	s_clause 0x3
	s_load_b64 s[8:9], s[0:1], 0x20
	s_load_b64 s[10:11], s[0:1], 0x50
	;; [unrolled: 1-line block ×4, first 2 shown]
	s_mov_b32 s14, 0
	v_dual_mov_b32 v36, 0 :: v_dual_lshlrev_b32 v5, 8, v16
	v_xor_b32_e32 v2, 2, v6
	v_xor_b32_e32 v3, 1, v6
	v_and_b32_e32 v0, 3, v0
	v_lshlrev_b32_e32 v7, 3, v4
	v_lshl_or_b32 v18, v4, 4, v5
	v_cmp_gt_i32_e64 s0, 32, v2
	s_cmp_lg_u32 s16, 0
	v_xor_b32_e32 v8, 4, v6
	s_cselect_b32 s4, -1, 0
	s_abs_i32 s19, s6
	v_cndmask_b32_e64 v2, v6, v2, s0
	v_cmp_gt_i32_e64 s0, 32, v3
	s_sub_i32 s1, 0, s19
	v_lshl_or_b32 v21, v6, 2, 12
	s_lshl_b32 s15, s6, 2
	v_lshlrev_b32_e32 v19, 2, v2
	v_cndmask_b32_e64 v3, v6, v3, s0
	v_mul_lo_u32 v2, v4, s6
	s_waitcnt lgkmcnt(0)
	v_add_co_u32 v22, s0, s2, v7
	s_delay_alu instid0(VALU_DEP_1)
	v_add_co_ci_u32_e64 v23, null, s3, 0, s0
	v_dual_mov_b32 v3, 0 :: v_dual_lshlrev_b32 v20, 2, v3
	v_xor_b32_e32 v7, 8, v6
	v_bfrev_b32_e32 v30, 0.5
	v_lshlrev_b32_e32 v34, 3, v0
	s_mul_hi_u32 s16, s6, s6
	v_lshlrev_b64 v[4:5], 3, v[2:3]
	v_or_b32_e32 v2, 32, v6
	s_mul_i32 s18, s6, s6
	v_mov_b32_e32 v9, v3
	v_mov_b32_e32 v11, v3
	;; [unrolled: 1-line block ×3, first 2 shown]
	v_add_co_u32 v24, s0, s2, v4
	s_delay_alu instid0(VALU_DEP_1) | instskip(SKIP_4) | instid1(VALU_DEP_3)
	v_add_co_ci_u32_e64 v25, s0, s3, v5, s0
	v_xor_b32_e32 v4, 16, v6
	v_cmp_gt_i32_e64 s0, 32, v2
	v_cvt_f32_u32_e32 v5, s19
	v_mov_b32_e32 v33, 1
	v_cndmask_b32_e64 v2, v6, v2, s0
	v_cmp_gt_i32_e64 s0, 32, v4
	s_delay_alu instid0(VALU_DEP_4) | instskip(NEXT) | instid1(VALU_DEP_2)
	v_rcp_iflag_f32_e32 v5, v5
	v_lshlrev_b32_e32 v26, 2, v2
	s_delay_alu instid0(VALU_DEP_2) | instskip(SKIP_1) | instid1(VALU_DEP_2)
	v_cndmask_b32_e64 v4, v6, v4, s0
	v_cmp_gt_i32_e64 s0, 32, v7
	v_lshlrev_b32_e32 v27, 2, v4
	s_delay_alu instid0(VALU_DEP_2)
	v_cndmask_b32_e64 v7, v6, v7, s0
	v_cmp_gt_i32_e64 s0, 32, v8
	v_or_b32_e32 v4, v18, v0
	s_delay_alu instid0(TRANS32_DEP_1) | instid1(VALU_DEP_3)
	v_dual_mul_f32 v5, 0x4f7ffffe, v5 :: v_dual_lshlrev_b32 v28, 2, v7
	s_delay_alu instid0(VALU_DEP_3) | instskip(NEXT) | instid1(VALU_DEP_3)
	v_cndmask_b32_e64 v2, v6, v8, s0
	v_lshlrev_b32_e32 v31, 3, v4
	s_delay_alu instid0(VALU_DEP_3)
	v_cvt_u32_f32_e32 v4, v5
	v_or_b32_e32 v5, 4, v0
	v_or_b32_e32 v7, 8, v0
	v_lshlrev_b32_e32 v29, 2, v2
	v_mul_lo_u32 v2, v0, s6
	v_mul_lo_u32 v6, s1, v4
	v_cmp_gt_u32_e64 s1, s6, v5
	v_or_b32_e32 v5, 12, v0
	v_cmp_gt_u32_e64 s0, s6, v0
	v_cmp_gt_u32_e64 s2, s6, v7
	s_delay_alu instid0(VALU_DEP_4)
	s_and_b32 s1, vcc_lo, s1
	v_add_nc_u32_e32 v8, s15, v2
	v_mul_hi_u32 v6, v4, v6
	v_cmp_gt_u32_e64 s3, s6, v5
	s_and_b32 s20, s0, vcc_lo
	s_and_b32 s2, vcc_lo, s2
	v_add_nc_u32_e32 v10, s15, v8
	v_lshlrev_b64 v[8:9], 3, v[8:9]
	s_and_b32 s3, vcc_lo, s3
	s_delay_alu instid0(VALU_DEP_4) | instskip(NEXT) | instid1(VALU_DEP_3)
	v_add_nc_u32_e32 v32, v4, v6
	v_add_nc_u32_e32 v12, s15, v10
	s_mov_b32 s15, s14
	s_delay_alu instid0(SALU_CYCLE_1)
	v_dual_mov_b32 v4, s14 :: v_dual_mov_b32 v5, s15
	v_lshlrev_b64 v[6:7], 3, v[2:3]
	v_lshlrev_b64 v[10:11], 3, v[10:11]
	;; [unrolled: 1-line block ×3, first 2 shown]
	s_ashr_i32 s15, s6, 31
	s_branch .LBB112_11
.LBB112_8:                              ;   in Loop: Header=BB112_11 Depth=1
	v_mov_b32_e32 v38, s22
.LBB112_9:                              ;   in Loop: Header=BB112_11 Depth=1
	s_or_b32 exec_lo, exec_lo, s21
.LBB112_10:                             ;   in Loop: Header=BB112_11 Depth=1
	s_delay_alu instid0(SALU_CYCLE_1)
	s_or_b32 exec_lo, exec_lo, s0
	ds_bpermute_b32 v2, v26, v35
	v_add_nc_u32_e32 v1, v38, v1
	s_waitcnt lgkmcnt(0)
	s_waitcnt_vscnt null, 0x0
	buffer_gl0_inv
	buffer_gl0_inv
	v_min_i32_e32 v2, v2, v35
	ds_bpermute_b32 v15, v27, v2
	s_waitcnt lgkmcnt(0)
	v_min_i32_e32 v2, v15, v2
	ds_bpermute_b32 v15, v28, v2
	s_waitcnt lgkmcnt(0)
	;; [unrolled: 3-line block ×6, first 2 shown]
	v_cmp_le_i32_e32 vcc_lo, s5, v36
	s_or_b32 s14, vcc_lo, s14
	s_delay_alu instid0(SALU_CYCLE_1)
	s_and_not1_b32 exec_lo, exec_lo, s14
	s_cbranch_execz .LBB112_40
.LBB112_11:                             ; =>This Loop Header: Depth=1
                                        ;     Child Loop BB112_14 Depth 2
	v_dual_mov_b32 v35, s5 :: v_dual_add_nc_u32 v14, v14, v0
	v_mov_b32_e32 v37, v17
	s_mov_b32 s21, exec_lo
	ds_store_b8 v16, v3 offset:8192
	ds_store_2addr_b64 v31, v[4:5], v[4:5] offset1:4
	ds_store_2addr_b64 v31, v[4:5], v[4:5] offset0:8 offset1:12
	s_waitcnt lgkmcnt(0)
	buffer_gl0_inv
	v_cmpx_lt_i32_e64 v14, v17
	s_cbranch_execz .LBB112_19
; %bb.12:                               ;   in Loop: Header=BB112_11 Depth=1
	v_mul_lo_u32 v2, v36, s6
	v_mov_b32_e32 v35, s5
	v_mov_b32_e32 v37, v17
	s_mov_b32 s22, 0
	s_branch .LBB112_14
.LBB112_13:                             ;   in Loop: Header=BB112_14 Depth=2
	s_or_b32 exec_lo, exec_lo, s23
	v_add_nc_u32_e32 v14, 4, v14
	s_xor_b32 s23, vcc_lo, -1
	s_delay_alu instid0(VALU_DEP_1) | instskip(NEXT) | instid1(VALU_DEP_1)
	v_cmp_ge_i32_e64 s0, v14, v17
	s_or_b32 s0, s23, s0
	s_delay_alu instid0(SALU_CYCLE_1) | instskip(NEXT) | instid1(SALU_CYCLE_1)
	s_and_b32 s0, exec_lo, s0
	s_or_b32 s22, s0, s22
	s_delay_alu instid0(SALU_CYCLE_1)
	s_and_not1_b32 exec_lo, exec_lo, s22
	s_cbranch_execz .LBB112_18
.LBB112_14:                             ;   Parent Loop BB112_11 Depth=1
                                        ; =>  This Inner Loop Header: Depth=2
	v_ashrrev_i32_e32 v15, 31, v14
	s_delay_alu instid0(VALU_DEP_1) | instskip(NEXT) | instid1(VALU_DEP_1)
	v_lshlrev_b64 v[38:39], 2, v[14:15]
	v_add_co_u32 v38, vcc_lo, s12, v38
	s_delay_alu instid0(VALU_DEP_2) | instskip(SKIP_3) | instid1(VALU_DEP_1)
	v_add_co_ci_u32_e32 v39, vcc_lo, s13, v39, vcc_lo
	global_load_b32 v38, v[38:39], off
	s_waitcnt vmcnt(0)
	v_subrev_nc_u32_e32 v38, s7, v38
	v_sub_nc_u32_e32 v39, 0, v38
	s_delay_alu instid0(VALU_DEP_1) | instskip(NEXT) | instid1(VALU_DEP_1)
	v_max_i32_e32 v39, v38, v39
	v_mul_hi_u32 v40, v39, v32
	s_delay_alu instid0(VALU_DEP_1) | instskip(NEXT) | instid1(VALU_DEP_1)
	v_mul_lo_u32 v41, v40, s19
	v_sub_nc_u32_e32 v39, v39, v41
	v_add_nc_u32_e32 v41, 1, v40
	s_delay_alu instid0(VALU_DEP_2) | instskip(SKIP_1) | instid1(VALU_DEP_2)
	v_subrev_nc_u32_e32 v42, s19, v39
	v_cmp_le_u32_e32 vcc_lo, s19, v39
	v_dual_cndmask_b32 v40, v40, v41 :: v_dual_cndmask_b32 v39, v39, v42
	v_ashrrev_i32_e32 v41, 31, v38
	s_delay_alu instid0(VALU_DEP_2) | instskip(NEXT) | instid1(VALU_DEP_3)
	v_add_nc_u32_e32 v42, 1, v40
	v_cmp_le_u32_e32 vcc_lo, s19, v39
	s_delay_alu instid0(VALU_DEP_3) | instskip(NEXT) | instid1(VALU_DEP_3)
	v_xor_b32_e32 v41, s15, v41
	v_cndmask_b32_e32 v39, v40, v42, vcc_lo
	s_delay_alu instid0(VALU_DEP_1) | instskip(NEXT) | instid1(VALU_DEP_1)
	v_xor_b32_e32 v39, v39, v41
	v_sub_nc_u32_e32 v40, v39, v41
	v_mov_b32_e32 v39, v37
	s_delay_alu instid0(VALU_DEP_2) | instskip(SKIP_1) | instid1(VALU_DEP_1)
	v_cmp_eq_u32_e32 vcc_lo, v40, v36
	v_cmp_ne_u32_e64 s0, v40, v36
	s_and_saveexec_b32 s23, s0
	s_delay_alu instid0(SALU_CYCLE_1)
	s_xor_b32 s0, exec_lo, s23
; %bb.15:                               ;   in Loop: Header=BB112_14 Depth=2
	v_min_i32_e32 v35, v40, v35
                                        ; implicit-def: $vgpr38
                                        ; implicit-def: $vgpr39
; %bb.16:                               ;   in Loop: Header=BB112_14 Depth=2
	s_or_saveexec_b32 s23, s0
	v_mov_b32_e32 v37, v14
	s_xor_b32 exec_lo, exec_lo, s23
	s_cbranch_execz .LBB112_13
; %bb.17:                               ;   in Loop: Header=BB112_14 Depth=2
	v_lshlrev_b64 v[40:41], 3, v[14:15]
	v_sub_nc_u32_e32 v15, v38, v2
	v_mov_b32_e32 v37, v39
	s_delay_alu instid0(VALU_DEP_2) | instskip(NEXT) | instid1(VALU_DEP_4)
	v_add_lshl_u32 v15, v18, v15, 3
	v_add_co_u32 v40, s0, s8, v40
	s_delay_alu instid0(VALU_DEP_1)
	v_add_co_ci_u32_e64 v41, s0, s9, v41, s0
	global_load_b64 v[40:41], v[40:41], off
	ds_store_b8 v16, v33 offset:8192
	s_waitcnt vmcnt(0)
	ds_store_b64 v15, v[40:41]
	s_branch .LBB112_13
.LBB112_18:                             ;   in Loop: Header=BB112_11 Depth=1
	s_or_b32 exec_lo, exec_lo, s22
.LBB112_19:                             ;   in Loop: Header=BB112_11 Depth=1
	s_delay_alu instid0(SALU_CYCLE_1)
	s_or_b32 exec_lo, exec_lo, s21
	ds_bpermute_b32 v2, v19, v37
	s_waitcnt lgkmcnt(0)
	buffer_gl0_inv
	ds_load_u8 v15, v16 offset:8192
	v_mov_b32_e32 v38, 0
	s_mov_b32 s0, exec_lo
	v_min_i32_e32 v2, v2, v37
	ds_bpermute_b32 v14, v20, v2
	s_waitcnt lgkmcnt(0)
	v_min_i32_e32 v2, v14, v2
	ds_bpermute_b32 v14, v21, v2
	v_and_b32_e32 v2, 1, v15
	s_delay_alu instid0(VALU_DEP_1)
	v_cmpx_eq_u32_e32 1, v2
	s_cbranch_execz .LBB112_10
; %bb.20:                               ;   in Loop: Header=BB112_11 Depth=1
	v_ashrrev_i32_e32 v2, 31, v1
	v_mul_lo_u32 v15, s16, v1
	v_mad_u64_u32 v[37:38], null, s18, v1, 0
	v_add_nc_u32_e32 v43, s17, v36
	s_delay_alu instid0(VALU_DEP_4) | instskip(NEXT) | instid1(VALU_DEP_1)
	v_mul_lo_u32 v39, s18, v2
	v_add3_u32 v38, v38, v39, v15
	v_lshlrev_b64 v[39:40], 2, v[1:2]
	s_delay_alu instid0(VALU_DEP_2) | instskip(NEXT) | instid1(VALU_DEP_2)
	v_lshlrev_b64 v[41:42], 3, v[37:38]
	v_add_co_u32 v38, vcc_lo, s10, v39
	s_delay_alu instid0(VALU_DEP_3) | instskip(NEXT) | instid1(VALU_DEP_3)
	v_add_co_ci_u32_e32 v39, vcc_lo, s11, v40, vcc_lo
	v_add_co_u32 v36, vcc_lo, v22, v41
	s_delay_alu instid0(VALU_DEP_4)
	v_add_co_ci_u32_e32 v37, vcc_lo, v23, v42, vcc_lo
	v_add_co_u32 v2, vcc_lo, v24, v41
	v_add_co_ci_u32_e32 v15, vcc_lo, v25, v42, vcc_lo
	global_store_b32 v[38:39], v43, off
	s_and_saveexec_b32 s21, s20
	s_cbranch_execz .LBB112_24
; %bb.21:                               ;   in Loop: Header=BB112_11 Depth=1
	s_and_b32 vcc_lo, exec_lo, s4
	s_cbranch_vccz .LBB112_35
; %bb.22:                               ;   in Loop: Header=BB112_11 Depth=1
	ds_load_b64 v[38:39], v31
	v_add_co_u32 v40, vcc_lo, v36, v6
	v_add_co_ci_u32_e32 v41, vcc_lo, v37, v7, vcc_lo
	s_waitcnt lgkmcnt(0)
	global_store_b64 v[40:41], v[38:39], off
	s_cbranch_execnz .LBB112_24
.LBB112_23:                             ;   in Loop: Header=BB112_11 Depth=1
	ds_load_b64 v[38:39], v31
	v_add_co_u32 v40, vcc_lo, v2, v34
	v_add_co_ci_u32_e32 v41, vcc_lo, 0, v15, vcc_lo
	s_waitcnt lgkmcnt(0)
	global_store_b64 v[40:41], v[38:39], off
.LBB112_24:                             ;   in Loop: Header=BB112_11 Depth=1
	s_or_b32 exec_lo, exec_lo, s21
	s_and_saveexec_b32 s21, s1
	s_cbranch_execz .LBB112_28
; %bb.25:                               ;   in Loop: Header=BB112_11 Depth=1
	s_and_not1_b32 vcc_lo, exec_lo, s4
	s_cbranch_vccnz .LBB112_36
; %bb.26:                               ;   in Loop: Header=BB112_11 Depth=1
	ds_load_b64 v[38:39], v31 offset:32
	v_add_co_u32 v40, vcc_lo, v36, v8
	v_add_co_ci_u32_e32 v41, vcc_lo, v37, v9, vcc_lo
	s_waitcnt lgkmcnt(0)
	global_store_b64 v[40:41], v[38:39], off
	s_cbranch_execnz .LBB112_28
.LBB112_27:                             ;   in Loop: Header=BB112_11 Depth=1
	ds_load_b64 v[38:39], v31 offset:32
	v_add_co_u32 v40, vcc_lo, v2, v34
	v_add_co_ci_u32_e32 v41, vcc_lo, 0, v15, vcc_lo
	s_waitcnt lgkmcnt(0)
	global_store_b64 v[40:41], v[38:39], off offset:32
.LBB112_28:                             ;   in Loop: Header=BB112_11 Depth=1
	s_or_b32 exec_lo, exec_lo, s21
	s_and_saveexec_b32 s21, s2
	s_cbranch_execz .LBB112_32
; %bb.29:                               ;   in Loop: Header=BB112_11 Depth=1
	s_and_not1_b32 vcc_lo, exec_lo, s4
	s_cbranch_vccnz .LBB112_37
; %bb.30:                               ;   in Loop: Header=BB112_11 Depth=1
	ds_load_b64 v[38:39], v31 offset:64
	v_add_co_u32 v40, vcc_lo, v36, v10
	v_add_co_ci_u32_e32 v41, vcc_lo, v37, v11, vcc_lo
	s_waitcnt lgkmcnt(0)
	global_store_b64 v[40:41], v[38:39], off
	s_cbranch_execnz .LBB112_32
.LBB112_31:                             ;   in Loop: Header=BB112_11 Depth=1
	ds_load_b64 v[38:39], v31 offset:64
	v_add_co_u32 v40, vcc_lo, v2, v34
	v_add_co_ci_u32_e32 v41, vcc_lo, 0, v15, vcc_lo
	s_waitcnt lgkmcnt(0)
	global_store_b64 v[40:41], v[38:39], off offset:64
.LBB112_32:                             ;   in Loop: Header=BB112_11 Depth=1
	s_or_b32 exec_lo, exec_lo, s21
	v_mov_b32_e32 v38, 1
	s_and_saveexec_b32 s21, s3
	s_cbranch_execz .LBB112_9
; %bb.33:                               ;   in Loop: Header=BB112_11 Depth=1
	s_and_not1_b32 vcc_lo, exec_lo, s4
	s_cbranch_vccnz .LBB112_38
; %bb.34:                               ;   in Loop: Header=BB112_11 Depth=1
	ds_load_b64 v[38:39], v31 offset:96
	v_add_co_u32 v36, vcc_lo, v36, v12
	v_add_co_ci_u32_e32 v37, vcc_lo, v37, v13, vcc_lo
	s_mov_b32 s22, 1
	s_waitcnt lgkmcnt(0)
	global_store_b64 v[36:37], v[38:39], off
	s_cbranch_execnz .LBB112_8
	s_branch .LBB112_39
.LBB112_35:                             ;   in Loop: Header=BB112_11 Depth=1
	s_branch .LBB112_23
.LBB112_36:                             ;   in Loop: Header=BB112_11 Depth=1
	s_branch .LBB112_27
.LBB112_37:                             ;   in Loop: Header=BB112_11 Depth=1
	s_branch .LBB112_31
.LBB112_38:                             ;   in Loop: Header=BB112_11 Depth=1
                                        ; implicit-def: $sgpr22
.LBB112_39:                             ;   in Loop: Header=BB112_11 Depth=1
	ds_load_b64 v[36:37], v31 offset:96
	v_add_co_u32 v38, vcc_lo, v2, v34
	v_add_co_ci_u32_e32 v39, vcc_lo, 0, v15, vcc_lo
	s_mov_b32 s22, 1
	s_waitcnt lgkmcnt(0)
	global_store_b64 v[38:39], v[36:37], off offset:96
	s_branch .LBB112_8
.LBB112_40:
	s_endpgm
	.section	.rodata,"a",@progbits
	.p2align	6, 0x0
	.amdhsa_kernel _ZN9rocsparseL42csr2bsr_wavefront_per_row_multipass_kernelILj256ELj64ELj16EdiiEEv20rocsparse_direction_T4_S2_S2_S2_S2_21rocsparse_index_base_PKT2_PKT3_PKS2_S3_PS4_PS7_PS2_
		.amdhsa_group_segment_fixed_size 8200
		.amdhsa_private_segment_fixed_size 0
		.amdhsa_kernarg_size 88
		.amdhsa_user_sgpr_count 15
		.amdhsa_user_sgpr_dispatch_ptr 0
		.amdhsa_user_sgpr_queue_ptr 0
		.amdhsa_user_sgpr_kernarg_segment_ptr 1
		.amdhsa_user_sgpr_dispatch_id 0
		.amdhsa_user_sgpr_private_segment_size 0
		.amdhsa_wavefront_size32 1
		.amdhsa_uses_dynamic_stack 0
		.amdhsa_enable_private_segment 0
		.amdhsa_system_sgpr_workgroup_id_x 1
		.amdhsa_system_sgpr_workgroup_id_y 0
		.amdhsa_system_sgpr_workgroup_id_z 0
		.amdhsa_system_sgpr_workgroup_info 0
		.amdhsa_system_vgpr_workitem_id 0
		.amdhsa_next_free_vgpr 44
		.amdhsa_next_free_sgpr 24
		.amdhsa_reserve_vcc 1
		.amdhsa_float_round_mode_32 0
		.amdhsa_float_round_mode_16_64 0
		.amdhsa_float_denorm_mode_32 3
		.amdhsa_float_denorm_mode_16_64 3
		.amdhsa_dx10_clamp 1
		.amdhsa_ieee_mode 1
		.amdhsa_fp16_overflow 0
		.amdhsa_workgroup_processor_mode 1
		.amdhsa_memory_ordered 1
		.amdhsa_forward_progress 0
		.amdhsa_shared_vgpr_count 0
		.amdhsa_exception_fp_ieee_invalid_op 0
		.amdhsa_exception_fp_denorm_src 0
		.amdhsa_exception_fp_ieee_div_zero 0
		.amdhsa_exception_fp_ieee_overflow 0
		.amdhsa_exception_fp_ieee_underflow 0
		.amdhsa_exception_fp_ieee_inexact 0
		.amdhsa_exception_int_div_zero 0
	.end_amdhsa_kernel
	.section	.text._ZN9rocsparseL42csr2bsr_wavefront_per_row_multipass_kernelILj256ELj64ELj16EdiiEEv20rocsparse_direction_T4_S2_S2_S2_S2_21rocsparse_index_base_PKT2_PKT3_PKS2_S3_PS4_PS7_PS2_,"axG",@progbits,_ZN9rocsparseL42csr2bsr_wavefront_per_row_multipass_kernelILj256ELj64ELj16EdiiEEv20rocsparse_direction_T4_S2_S2_S2_S2_21rocsparse_index_base_PKT2_PKT3_PKS2_S3_PS4_PS7_PS2_,comdat
.Lfunc_end112:
	.size	_ZN9rocsparseL42csr2bsr_wavefront_per_row_multipass_kernelILj256ELj64ELj16EdiiEEv20rocsparse_direction_T4_S2_S2_S2_S2_21rocsparse_index_base_PKT2_PKT3_PKS2_S3_PS4_PS7_PS2_, .Lfunc_end112-_ZN9rocsparseL42csr2bsr_wavefront_per_row_multipass_kernelILj256ELj64ELj16EdiiEEv20rocsparse_direction_T4_S2_S2_S2_S2_21rocsparse_index_base_PKT2_PKT3_PKS2_S3_PS4_PS7_PS2_
                                        ; -- End function
	.section	.AMDGPU.csdata,"",@progbits
; Kernel info:
; codeLenInByte = 2064
; NumSgprs: 26
; NumVgprs: 44
; ScratchSize: 0
; MemoryBound: 0
; FloatMode: 240
; IeeeMode: 1
; LDSByteSize: 8200 bytes/workgroup (compile time only)
; SGPRBlocks: 3
; VGPRBlocks: 5
; NumSGPRsForWavesPerEU: 26
; NumVGPRsForWavesPerEU: 44
; Occupancy: 16
; WaveLimiterHint : 0
; COMPUTE_PGM_RSRC2:SCRATCH_EN: 0
; COMPUTE_PGM_RSRC2:USER_SGPR: 15
; COMPUTE_PGM_RSRC2:TRAP_HANDLER: 0
; COMPUTE_PGM_RSRC2:TGID_X_EN: 1
; COMPUTE_PGM_RSRC2:TGID_Y_EN: 0
; COMPUTE_PGM_RSRC2:TGID_Z_EN: 0
; COMPUTE_PGM_RSRC2:TIDIG_COMP_CNT: 0
	.section	.text._ZN9rocsparseL42csr2bsr_wavefront_per_row_multipass_kernelILj256ELj32ELj16EdiiEEv20rocsparse_direction_T4_S2_S2_S2_S2_21rocsparse_index_base_PKT2_PKT3_PKS2_S3_PS4_PS7_PS2_,"axG",@progbits,_ZN9rocsparseL42csr2bsr_wavefront_per_row_multipass_kernelILj256ELj32ELj16EdiiEEv20rocsparse_direction_T4_S2_S2_S2_S2_21rocsparse_index_base_PKT2_PKT3_PKS2_S3_PS4_PS7_PS2_,comdat
	.globl	_ZN9rocsparseL42csr2bsr_wavefront_per_row_multipass_kernelILj256ELj32ELj16EdiiEEv20rocsparse_direction_T4_S2_S2_S2_S2_21rocsparse_index_base_PKT2_PKT3_PKS2_S3_PS4_PS7_PS2_ ; -- Begin function _ZN9rocsparseL42csr2bsr_wavefront_per_row_multipass_kernelILj256ELj32ELj16EdiiEEv20rocsparse_direction_T4_S2_S2_S2_S2_21rocsparse_index_base_PKT2_PKT3_PKS2_S3_PS4_PS7_PS2_
	.p2align	8
	.type	_ZN9rocsparseL42csr2bsr_wavefront_per_row_multipass_kernelILj256ELj32ELj16EdiiEEv20rocsparse_direction_T4_S2_S2_S2_S2_21rocsparse_index_base_PKT2_PKT3_PKS2_S3_PS4_PS7_PS2_,@function
_ZN9rocsparseL42csr2bsr_wavefront_per_row_multipass_kernelILj256ELj32ELj16EdiiEEv20rocsparse_direction_T4_S2_S2_S2_S2_21rocsparse_index_base_PKT2_PKT3_PKS2_S3_PS4_PS7_PS2_: ; @_ZN9rocsparseL42csr2bsr_wavefront_per_row_multipass_kernelILj256ELj32ELj16EdiiEEv20rocsparse_direction_T4_S2_S2_S2_S2_21rocsparse_index_base_PKT2_PKT3_PKS2_S3_PS4_PS7_PS2_
; %bb.0:
	s_clause 0x1
	s_load_b128 s[8:11], s[0:1], 0xc
	s_load_b64 s[4:5], s[0:1], 0x0
	v_lshrrev_b32_e32 v24, 5, v0
	v_bfe_u32 v4, v0, 1, 4
	s_load_b64 s[6:7], s[0:1], 0x28
	v_dual_mov_b32 v25, 0 :: v_dual_mov_b32 v22, 0
	s_delay_alu instid0(VALU_DEP_3) | instskip(SKIP_1) | instid1(VALU_DEP_1)
	v_lshl_or_b32 v2, s15, 3, v24
	s_waitcnt lgkmcnt(0)
	v_mad_u64_u32 v[5:6], null, v2, s10, v[4:5]
	v_cmp_gt_i32_e32 vcc_lo, s10, v4
	s_delay_alu instid0(VALU_DEP_2) | instskip(NEXT) | instid1(VALU_DEP_1)
	v_cmp_gt_i32_e64 s2, s5, v5
	s_and_b32 s3, vcc_lo, s2
	s_delay_alu instid0(SALU_CYCLE_1)
	s_and_saveexec_b32 s5, s3
	s_cbranch_execz .LBB113_2
; %bb.1:
	v_ashrrev_i32_e32 v6, 31, v5
	s_delay_alu instid0(VALU_DEP_1) | instskip(NEXT) | instid1(VALU_DEP_1)
	v_lshlrev_b64 v[6:7], 2, v[5:6]
	v_add_co_u32 v6, s2, s6, v6
	s_delay_alu instid0(VALU_DEP_1)
	v_add_co_ci_u32_e64 v7, s2, s7, v7, s2
	global_load_b32 v1, v[6:7], off
	s_waitcnt vmcnt(0)
	v_subrev_nc_u32_e32 v22, s11, v1
.LBB113_2:
	s_or_b32 exec_lo, exec_lo, s5
	s_and_saveexec_b32 s5, s3
	s_cbranch_execz .LBB113_4
; %bb.3:
	v_ashrrev_i32_e32 v6, 31, v5
	s_delay_alu instid0(VALU_DEP_1) | instskip(NEXT) | instid1(VALU_DEP_1)
	v_lshlrev_b64 v[5:6], 2, v[5:6]
	v_add_co_u32 v5, s2, s6, v5
	s_delay_alu instid0(VALU_DEP_1)
	v_add_co_ci_u32_e64 v6, s2, s7, v6, s2
	global_load_b32 v1, v[5:6], off offset:4
	s_waitcnt vmcnt(0)
	v_subrev_nc_u32_e32 v25, s11, v1
.LBB113_4:
	s_or_b32 exec_lo, exec_lo, s5
	s_load_b32 s20, s[0:1], 0x38
	v_mov_b32_e32 v1, 0
	s_mov_b32 s3, exec_lo
	v_cmpx_gt_i32_e64 s8, v2
	s_cbranch_execz .LBB113_6
; %bb.5:
	s_load_b64 s[6:7], s[0:1], 0x48
	v_ashrrev_i32_e32 v3, 31, v2
	s_delay_alu instid0(VALU_DEP_1) | instskip(SKIP_1) | instid1(VALU_DEP_1)
	v_lshlrev_b64 v[1:2], 2, v[2:3]
	s_waitcnt lgkmcnt(0)
	v_add_co_u32 v1, s2, s6, v1
	s_delay_alu instid0(VALU_DEP_1)
	v_add_co_ci_u32_e64 v2, s2, s7, v2, s2
	global_load_b32 v1, v[1:2], off
	s_waitcnt vmcnt(0)
	v_subrev_nc_u32_e32 v1, s20, v1
.LBB113_6:
	s_or_b32 exec_lo, exec_lo, s3
	s_cmp_lt_i32 s9, 1
	s_cbranch_scc1 .LBB113_60
; %bb.7:
	v_mbcnt_lo_u32_b32 v6, -1, 0
	s_clause 0x3
	s_load_b64 s[12:13], s[0:1], 0x20
	s_load_b64 s[14:15], s[0:1], 0x50
	;; [unrolled: 1-line block ×4, first 2 shown]
	s_mov_b32 s18, 0
	v_lshlrev_b32_e32 v3, 8, v24
	v_xor_b32_e32 v2, 1, v6
	v_and_b32_e32 v0, 1, v0
	v_dual_mov_b32 v40, 1 :: v_dual_lshlrev_b32 v7, 3, v4
	s_delay_alu instid0(VALU_DEP_4) | instskip(NEXT) | instid1(VALU_DEP_4)
	v_lshl_or_b32 v26, v4, 4, v3
	v_cmp_gt_i32_e64 s0, 32, v2
	v_mov_b32_e32 v3, 0
	s_cmp_lg_u32 s4, 0
	v_lshl_or_b32 v27, v6, 2, 4
	s_cselect_b32 s8, -1, 0
	v_cndmask_b32_e64 v5, v6, v2, s0
	v_mul_lo_u32 v2, v4, s10
	s_abs_i32 s23, s10
	s_lshl_b32 s19, s10, 1
	s_sub_i32 s6, 0, s23
	v_dual_mov_b32 v37, 0x7c :: v_dual_lshlrev_b32 v28, 2, v5
	s_waitcnt lgkmcnt(0)
	v_add_co_u32 v29, s0, s2, v7
	s_delay_alu instid0(VALU_DEP_3) | instskip(SKIP_4) | instid1(VALU_DEP_4)
	v_lshlrev_b64 v[4:5], 3, v[2:3]
	v_xor_b32_e32 v2, 16, v6
	v_add_co_ci_u32_e64 v30, null, s3, 0, s0
	v_xor_b32_e32 v7, 2, v6
	s_mul_hi_u32 s21, s10, s10
	v_add_co_u32 v31, s0, s2, v4
	s_delay_alu instid0(VALU_DEP_1)
	v_add_co_ci_u32_e64 v32, s0, s3, v5, s0
	v_xor_b32_e32 v4, 8, v6
	v_cmp_gt_i32_e64 s0, 32, v2
	v_xor_b32_e32 v5, 4, v6
	s_mul_i32 s22, s10, s10
	v_dual_mov_b32 v42, 0 :: v_dual_mov_b32 v9, v3
	s_delay_alu instid0(VALU_DEP_3)
	v_cndmask_b32_e64 v2, v6, v2, s0
	v_cmp_gt_i32_e64 s0, 32, v4
	v_mov_b32_e32 v13, v3
	v_mov_b32_e32 v11, v3
	;; [unrolled: 1-line block ×3, first 2 shown]
	v_lshlrev_b32_e32 v33, 2, v2
	v_cndmask_b32_e64 v4, v6, v4, s0
	v_cmp_gt_i32_e64 s0, 32, v5
	v_mul_lo_u32 v2, v0, s10
	v_mov_b32_e32 v17, v3
	s_delay_alu instid0(VALU_DEP_4) | instskip(NEXT) | instid1(VALU_DEP_4)
	v_dual_mov_b32 v19, v3 :: v_dual_lshlrev_b32 v34, 2, v4
	v_cndmask_b32_e64 v5, v6, v5, s0
	v_or_b32_e32 v4, v26, v0
	v_cmp_gt_i32_e64 s0, 32, v7
	v_mov_b32_e32 v21, v3
	s_delay_alu instid0(VALU_DEP_4)
	v_lshlrev_b32_e32 v35, 2, v5
	v_cvt_f32_u32_e32 v5, s23
	v_lshlrev_b32_e32 v38, 3, v4
	v_or_b32_e32 v4, 2, v0
	v_cndmask_b32_e64 v6, v6, v7, s0
	v_cmp_gt_u32_e64 s0, s10, v0
	v_rcp_iflag_f32_e32 v5, v5
	v_add_nc_u32_e32 v8, s19, v2
	v_cmp_gt_u32_e64 s1, s10, v4
	v_or_b32_e32 v4, 4, v0
	v_lshlrev_b32_e32 v36, 2, v6
	v_or_b32_e32 v6, 6, v0
	s_and_b32 s24, s0, vcc_lo
	s_and_b32 s1, vcc_lo, s1
	v_cmp_gt_u32_e64 s2, s10, v4
	v_or_b32_e32 v4, 8, v0
	v_dual_mul_f32 v5, 0x4f7ffffe, v5 :: v_dual_add_nc_u32 v10, s19, v8
	v_cmp_gt_u32_e64 s3, s10, v6
	v_or_b32_e32 v6, 10, v0
	s_delay_alu instid0(VALU_DEP_4) | instskip(NEXT) | instid1(VALU_DEP_4)
	v_cmp_gt_u32_e64 s4, s10, v4
	v_cvt_u32_f32_e32 v4, v5
	v_add_nc_u32_e32 v12, s19, v10
	v_or_b32_e32 v5, 12, v0
	v_cmp_gt_u32_e64 s5, s10, v6
	v_or_b32_e32 v6, 14, v0
	v_mul_lo_u32 v7, s6, v4
	v_add_nc_u32_e32 v14, s19, v12
	v_cmp_gt_u32_e64 s6, s10, v5
	v_lshlrev_b64 v[8:9], 3, v[8:9]
	v_cmp_gt_u32_e64 s7, s10, v6
	v_lshlrev_b64 v[10:11], 3, v[10:11]
	v_add_nc_u32_e32 v16, s19, v14
	v_lshlrev_b64 v[12:13], 3, v[12:13]
	v_mul_hi_u32 v5, v4, v7
	v_lshlrev_b64 v[6:7], 3, v[2:3]
	v_lshlrev_b64 v[14:15], 3, v[14:15]
	v_add_nc_u32_e32 v18, s19, v16
	v_lshlrev_b64 v[16:17], 3, v[16:17]
	s_and_b32 s2, vcc_lo, s2
	s_and_b32 s3, vcc_lo, s3
	;; [unrolled: 1-line block ×3, first 2 shown]
	v_add_nc_u32_e32 v20, s19, v18
	s_mov_b32 s19, s18
	v_dual_mov_b32 v4, s18 :: v_dual_add_nc_u32 v39, v4, v5
	v_mov_b32_e32 v5, s19
	v_lshlrev_b64 v[18:19], 3, v[18:19]
	v_lshlrev_b64 v[20:21], 3, v[20:21]
	s_and_b32 s5, vcc_lo, s5
	s_and_b32 s6, vcc_lo, s6
	;; [unrolled: 1-line block ×3, first 2 shown]
	s_ashr_i32 s19, s10, 31
	s_branch .LBB113_11
.LBB113_8:                              ;   in Loop: Header=BB113_11 Depth=1
	v_mov_b32_e32 v44, s26
.LBB113_9:                              ;   in Loop: Header=BB113_11 Depth=1
	s_or_b32 exec_lo, exec_lo, s25
.LBB113_10:                             ;   in Loop: Header=BB113_11 Depth=1
	s_delay_alu instid0(SALU_CYCLE_1)
	s_or_b32 exec_lo, exec_lo, s0
	ds_bpermute_b32 v2, v33, v41
	v_add_nc_u32_e32 v1, v44, v1
	s_waitcnt lgkmcnt(0)
	s_waitcnt_vscnt null, 0x0
	buffer_gl0_inv
	buffer_gl0_inv
	v_min_i32_e32 v2, v2, v41
	ds_bpermute_b32 v23, v34, v2
	s_waitcnt lgkmcnt(0)
	v_min_i32_e32 v2, v23, v2
	ds_bpermute_b32 v23, v35, v2
	s_waitcnt lgkmcnt(0)
	;; [unrolled: 3-line block ×5, first 2 shown]
	v_cmp_le_i32_e32 vcc_lo, s9, v42
	s_or_b32 s18, vcc_lo, s18
	s_delay_alu instid0(SALU_CYCLE_1)
	s_and_not1_b32 exec_lo, exec_lo, s18
	s_cbranch_execz .LBB113_60
.LBB113_11:                             ; =>This Loop Header: Depth=1
                                        ;     Child Loop BB113_14 Depth 2
	v_dual_mov_b32 v41, s9 :: v_dual_add_nc_u32 v22, v22, v0
	v_mov_b32_e32 v43, v25
	s_mov_b32 s25, exec_lo
	ds_store_b8 v24, v3 offset:16384
	ds_store_2addr_b64 v38, v[4:5], v[4:5] offset1:2
	ds_store_2addr_b64 v38, v[4:5], v[4:5] offset0:4 offset1:6
	ds_store_2addr_b64 v38, v[4:5], v[4:5] offset0:8 offset1:10
	;; [unrolled: 1-line block ×3, first 2 shown]
	s_waitcnt lgkmcnt(0)
	buffer_gl0_inv
	v_cmpx_lt_i32_e64 v22, v25
	s_cbranch_execz .LBB113_19
; %bb.12:                               ;   in Loop: Header=BB113_11 Depth=1
	v_mul_lo_u32 v2, v42, s10
	v_mov_b32_e32 v41, s9
	v_mov_b32_e32 v43, v25
	s_mov_b32 s26, 0
	s_branch .LBB113_14
.LBB113_13:                             ;   in Loop: Header=BB113_14 Depth=2
	s_or_b32 exec_lo, exec_lo, s27
	v_add_nc_u32_e32 v22, 2, v22
	s_xor_b32 s27, vcc_lo, -1
	s_delay_alu instid0(VALU_DEP_1) | instskip(NEXT) | instid1(VALU_DEP_1)
	v_cmp_ge_i32_e64 s0, v22, v25
	s_or_b32 s0, s27, s0
	s_delay_alu instid0(SALU_CYCLE_1) | instskip(NEXT) | instid1(SALU_CYCLE_1)
	s_and_b32 s0, exec_lo, s0
	s_or_b32 s26, s0, s26
	s_delay_alu instid0(SALU_CYCLE_1)
	s_and_not1_b32 exec_lo, exec_lo, s26
	s_cbranch_execz .LBB113_18
.LBB113_14:                             ;   Parent Loop BB113_11 Depth=1
                                        ; =>  This Inner Loop Header: Depth=2
	v_ashrrev_i32_e32 v23, 31, v22
	s_delay_alu instid0(VALU_DEP_1) | instskip(NEXT) | instid1(VALU_DEP_1)
	v_lshlrev_b64 v[44:45], 2, v[22:23]
	v_add_co_u32 v44, vcc_lo, s16, v44
	s_delay_alu instid0(VALU_DEP_2) | instskip(SKIP_3) | instid1(VALU_DEP_1)
	v_add_co_ci_u32_e32 v45, vcc_lo, s17, v45, vcc_lo
	global_load_b32 v44, v[44:45], off
	s_waitcnt vmcnt(0)
	v_subrev_nc_u32_e32 v44, s11, v44
	v_sub_nc_u32_e32 v45, 0, v44
	s_delay_alu instid0(VALU_DEP_1) | instskip(NEXT) | instid1(VALU_DEP_1)
	v_max_i32_e32 v45, v44, v45
	v_mul_hi_u32 v46, v45, v39
	s_delay_alu instid0(VALU_DEP_1) | instskip(NEXT) | instid1(VALU_DEP_1)
	v_mul_lo_u32 v47, v46, s23
	v_sub_nc_u32_e32 v45, v45, v47
	v_add_nc_u32_e32 v47, 1, v46
	s_delay_alu instid0(VALU_DEP_2) | instskip(SKIP_1) | instid1(VALU_DEP_2)
	v_subrev_nc_u32_e32 v48, s23, v45
	v_cmp_le_u32_e32 vcc_lo, s23, v45
	v_dual_cndmask_b32 v46, v46, v47 :: v_dual_cndmask_b32 v45, v45, v48
	v_ashrrev_i32_e32 v47, 31, v44
	s_delay_alu instid0(VALU_DEP_2) | instskip(NEXT) | instid1(VALU_DEP_3)
	v_add_nc_u32_e32 v48, 1, v46
	v_cmp_le_u32_e32 vcc_lo, s23, v45
	s_delay_alu instid0(VALU_DEP_3) | instskip(NEXT) | instid1(VALU_DEP_3)
	v_xor_b32_e32 v47, s19, v47
	v_cndmask_b32_e32 v45, v46, v48, vcc_lo
	s_delay_alu instid0(VALU_DEP_1) | instskip(NEXT) | instid1(VALU_DEP_1)
	v_xor_b32_e32 v45, v45, v47
	v_sub_nc_u32_e32 v46, v45, v47
	v_mov_b32_e32 v45, v43
	s_delay_alu instid0(VALU_DEP_2) | instskip(SKIP_1) | instid1(VALU_DEP_1)
	v_cmp_eq_u32_e32 vcc_lo, v46, v42
	v_cmp_ne_u32_e64 s0, v46, v42
	s_and_saveexec_b32 s27, s0
	s_delay_alu instid0(SALU_CYCLE_1)
	s_xor_b32 s0, exec_lo, s27
; %bb.15:                               ;   in Loop: Header=BB113_14 Depth=2
	v_min_i32_e32 v41, v46, v41
                                        ; implicit-def: $vgpr44
                                        ; implicit-def: $vgpr45
; %bb.16:                               ;   in Loop: Header=BB113_14 Depth=2
	s_or_saveexec_b32 s27, s0
	v_mov_b32_e32 v43, v22
	s_xor_b32 exec_lo, exec_lo, s27
	s_cbranch_execz .LBB113_13
; %bb.17:                               ;   in Loop: Header=BB113_14 Depth=2
	v_lshlrev_b64 v[46:47], 3, v[22:23]
	v_sub_nc_u32_e32 v23, v44, v2
	v_mov_b32_e32 v43, v45
	s_delay_alu instid0(VALU_DEP_2) | instskip(NEXT) | instid1(VALU_DEP_4)
	v_add_lshl_u32 v23, v26, v23, 3
	v_add_co_u32 v46, s0, s12, v46
	s_delay_alu instid0(VALU_DEP_1)
	v_add_co_ci_u32_e64 v47, s0, s13, v47, s0
	global_load_b64 v[46:47], v[46:47], off
	ds_store_b8 v24, v40 offset:16384
	s_waitcnt vmcnt(0)
	ds_store_b64 v23, v[46:47]
	s_branch .LBB113_13
.LBB113_18:                             ;   in Loop: Header=BB113_11 Depth=1
	s_or_b32 exec_lo, exec_lo, s26
.LBB113_19:                             ;   in Loop: Header=BB113_11 Depth=1
	s_delay_alu instid0(SALU_CYCLE_1)
	s_or_b32 exec_lo, exec_lo, s25
	ds_bpermute_b32 v2, v28, v43
	s_waitcnt lgkmcnt(0)
	buffer_gl0_inv
	ds_load_u8 v23, v24 offset:16384
	v_mov_b32_e32 v44, 0
	s_mov_b32 s0, exec_lo
	v_min_i32_e32 v2, v2, v43
	ds_bpermute_b32 v22, v27, v2
	s_waitcnt lgkmcnt(1)
	v_and_b32_e32 v2, 1, v23
	s_delay_alu instid0(VALU_DEP_1)
	v_cmpx_eq_u32_e32 1, v2
	s_cbranch_execz .LBB113_10
; %bb.20:                               ;   in Loop: Header=BB113_11 Depth=1
	v_ashrrev_i32_e32 v2, 31, v1
	v_mul_lo_u32 v23, s21, v1
	v_mad_u64_u32 v[43:44], null, s22, v1, 0
	v_add_nc_u32_e32 v49, s20, v42
	s_delay_alu instid0(VALU_DEP_4) | instskip(NEXT) | instid1(VALU_DEP_1)
	v_mul_lo_u32 v45, s22, v2
	v_add3_u32 v44, v44, v45, v23
	v_lshlrev_b64 v[45:46], 2, v[1:2]
	s_delay_alu instid0(VALU_DEP_2) | instskip(NEXT) | instid1(VALU_DEP_2)
	v_lshlrev_b64 v[47:48], 3, v[43:44]
	v_add_co_u32 v44, vcc_lo, s14, v45
	s_delay_alu instid0(VALU_DEP_3) | instskip(NEXT) | instid1(VALU_DEP_3)
	v_add_co_ci_u32_e32 v45, vcc_lo, s15, v46, vcc_lo
	v_add_co_u32 v42, vcc_lo, v29, v47
	s_delay_alu instid0(VALU_DEP_4)
	v_add_co_ci_u32_e32 v43, vcc_lo, v30, v48, vcc_lo
	v_add_co_u32 v2, vcc_lo, v31, v47
	v_add_co_ci_u32_e32 v23, vcc_lo, v32, v48, vcc_lo
	global_store_b32 v[44:45], v49, off
	s_and_saveexec_b32 s25, s24
	s_cbranch_execz .LBB113_24
; %bb.21:                               ;   in Loop: Header=BB113_11 Depth=1
	s_and_b32 vcc_lo, exec_lo, s8
	s_cbranch_vccz .LBB113_51
; %bb.22:                               ;   in Loop: Header=BB113_11 Depth=1
	ds_load_b64 v[44:45], v38
	v_add_co_u32 v46, vcc_lo, v42, v6
	v_add_co_ci_u32_e32 v47, vcc_lo, v43, v7, vcc_lo
	s_waitcnt lgkmcnt(0)
	global_store_b64 v[46:47], v[44:45], off
	s_cbranch_execnz .LBB113_24
.LBB113_23:                             ;   in Loop: Header=BB113_11 Depth=1
	ds_load_b64 v[44:45], v38
	v_lshlrev_b32_e32 v46, 3, v0
	s_delay_alu instid0(VALU_DEP_1)
	v_add_co_u32 v46, vcc_lo, v2, v46
	v_add_co_ci_u32_e32 v47, vcc_lo, 0, v23, vcc_lo
	s_waitcnt lgkmcnt(0)
	global_store_b64 v[46:47], v[44:45], off
.LBB113_24:                             ;   in Loop: Header=BB113_11 Depth=1
	s_or_b32 exec_lo, exec_lo, s25
	s_and_saveexec_b32 s25, s1
	s_cbranch_execz .LBB113_28
; %bb.25:                               ;   in Loop: Header=BB113_11 Depth=1
	s_and_not1_b32 vcc_lo, exec_lo, s8
	s_cbranch_vccnz .LBB113_52
; %bb.26:                               ;   in Loop: Header=BB113_11 Depth=1
	ds_load_b64 v[44:45], v38 offset:16
	v_add_co_u32 v46, vcc_lo, v42, v8
	v_add_co_ci_u32_e32 v47, vcc_lo, v43, v9, vcc_lo
	s_waitcnt lgkmcnt(0)
	global_store_b64 v[46:47], v[44:45], off
	s_cbranch_execnz .LBB113_28
.LBB113_27:                             ;   in Loop: Header=BB113_11 Depth=1
	ds_load_b64 v[44:45], v38 offset:16
	v_lshlrev_b32_e32 v46, 3, v0
	s_delay_alu instid0(VALU_DEP_1)
	v_add_co_u32 v46, vcc_lo, v2, v46
	v_add_co_ci_u32_e32 v47, vcc_lo, 0, v23, vcc_lo
	s_waitcnt lgkmcnt(0)
	global_store_b64 v[46:47], v[44:45], off offset:16
.LBB113_28:                             ;   in Loop: Header=BB113_11 Depth=1
	s_or_b32 exec_lo, exec_lo, s25
	s_and_saveexec_b32 s25, s2
	s_cbranch_execz .LBB113_32
; %bb.29:                               ;   in Loop: Header=BB113_11 Depth=1
	s_and_not1_b32 vcc_lo, exec_lo, s8
	s_cbranch_vccnz .LBB113_53
; %bb.30:                               ;   in Loop: Header=BB113_11 Depth=1
	ds_load_b64 v[44:45], v38 offset:32
	v_add_co_u32 v46, vcc_lo, v42, v10
	v_add_co_ci_u32_e32 v47, vcc_lo, v43, v11, vcc_lo
	s_waitcnt lgkmcnt(0)
	global_store_b64 v[46:47], v[44:45], off
	s_cbranch_execnz .LBB113_32
.LBB113_31:                             ;   in Loop: Header=BB113_11 Depth=1
	ds_load_b64 v[44:45], v38 offset:32
	v_lshlrev_b32_e32 v46, 3, v0
	s_delay_alu instid0(VALU_DEP_1)
	v_add_co_u32 v46, vcc_lo, v2, v46
	v_add_co_ci_u32_e32 v47, vcc_lo, 0, v23, vcc_lo
	s_waitcnt lgkmcnt(0)
	global_store_b64 v[46:47], v[44:45], off offset:32
.LBB113_32:                             ;   in Loop: Header=BB113_11 Depth=1
	s_or_b32 exec_lo, exec_lo, s25
	s_and_saveexec_b32 s25, s3
	s_cbranch_execz .LBB113_36
; %bb.33:                               ;   in Loop: Header=BB113_11 Depth=1
	s_and_not1_b32 vcc_lo, exec_lo, s8
	s_cbranch_vccnz .LBB113_54
; %bb.34:                               ;   in Loop: Header=BB113_11 Depth=1
	ds_load_b64 v[44:45], v38 offset:48
	v_add_co_u32 v46, vcc_lo, v42, v12
	v_add_co_ci_u32_e32 v47, vcc_lo, v43, v13, vcc_lo
	s_waitcnt lgkmcnt(0)
	global_store_b64 v[46:47], v[44:45], off
	s_cbranch_execnz .LBB113_36
.LBB113_35:                             ;   in Loop: Header=BB113_11 Depth=1
	ds_load_b64 v[44:45], v38 offset:48
	v_lshlrev_b32_e32 v46, 3, v0
	s_delay_alu instid0(VALU_DEP_1)
	v_add_co_u32 v46, vcc_lo, v2, v46
	v_add_co_ci_u32_e32 v47, vcc_lo, 0, v23, vcc_lo
	s_waitcnt lgkmcnt(0)
	global_store_b64 v[46:47], v[44:45], off offset:48
.LBB113_36:                             ;   in Loop: Header=BB113_11 Depth=1
	s_or_b32 exec_lo, exec_lo, s25
	s_and_saveexec_b32 s25, s4
	s_cbranch_execz .LBB113_40
; %bb.37:                               ;   in Loop: Header=BB113_11 Depth=1
	s_and_not1_b32 vcc_lo, exec_lo, s8
	s_cbranch_vccnz .LBB113_55
; %bb.38:                               ;   in Loop: Header=BB113_11 Depth=1
	ds_load_b64 v[44:45], v38 offset:64
	v_add_co_u32 v46, vcc_lo, v42, v14
	v_add_co_ci_u32_e32 v47, vcc_lo, v43, v15, vcc_lo
	s_waitcnt lgkmcnt(0)
	global_store_b64 v[46:47], v[44:45], off
	s_cbranch_execnz .LBB113_40
.LBB113_39:                             ;   in Loop: Header=BB113_11 Depth=1
	ds_load_b64 v[44:45], v38 offset:64
	v_lshlrev_b32_e32 v46, 3, v0
	s_delay_alu instid0(VALU_DEP_1)
	v_add_co_u32 v46, vcc_lo, v2, v46
	v_add_co_ci_u32_e32 v47, vcc_lo, 0, v23, vcc_lo
	s_waitcnt lgkmcnt(0)
	global_store_b64 v[46:47], v[44:45], off offset:64
.LBB113_40:                             ;   in Loop: Header=BB113_11 Depth=1
	s_or_b32 exec_lo, exec_lo, s25
	s_and_saveexec_b32 s25, s5
	s_cbranch_execz .LBB113_44
; %bb.41:                               ;   in Loop: Header=BB113_11 Depth=1
	s_and_not1_b32 vcc_lo, exec_lo, s8
	s_cbranch_vccnz .LBB113_56
; %bb.42:                               ;   in Loop: Header=BB113_11 Depth=1
	ds_load_b64 v[44:45], v38 offset:80
	v_add_co_u32 v46, vcc_lo, v42, v16
	v_add_co_ci_u32_e32 v47, vcc_lo, v43, v17, vcc_lo
	s_waitcnt lgkmcnt(0)
	global_store_b64 v[46:47], v[44:45], off
	s_cbranch_execnz .LBB113_44
.LBB113_43:                             ;   in Loop: Header=BB113_11 Depth=1
	ds_load_b64 v[44:45], v38 offset:80
	v_lshlrev_b32_e32 v46, 3, v0
	s_delay_alu instid0(VALU_DEP_1)
	v_add_co_u32 v46, vcc_lo, v2, v46
	v_add_co_ci_u32_e32 v47, vcc_lo, 0, v23, vcc_lo
	s_waitcnt lgkmcnt(0)
	global_store_b64 v[46:47], v[44:45], off offset:80
.LBB113_44:                             ;   in Loop: Header=BB113_11 Depth=1
	s_or_b32 exec_lo, exec_lo, s25
	s_and_saveexec_b32 s25, s6
	s_cbranch_execz .LBB113_48
; %bb.45:                               ;   in Loop: Header=BB113_11 Depth=1
	s_and_not1_b32 vcc_lo, exec_lo, s8
	s_cbranch_vccnz .LBB113_57
; %bb.46:                               ;   in Loop: Header=BB113_11 Depth=1
	ds_load_b64 v[44:45], v38 offset:96
	v_add_co_u32 v46, vcc_lo, v42, v18
	v_add_co_ci_u32_e32 v47, vcc_lo, v43, v19, vcc_lo
	s_waitcnt lgkmcnt(0)
	global_store_b64 v[46:47], v[44:45], off
	s_cbranch_execnz .LBB113_48
.LBB113_47:                             ;   in Loop: Header=BB113_11 Depth=1
	ds_load_b64 v[44:45], v38 offset:96
	v_lshlrev_b32_e32 v46, 3, v0
	s_delay_alu instid0(VALU_DEP_1)
	v_add_co_u32 v46, vcc_lo, v2, v46
	v_add_co_ci_u32_e32 v47, vcc_lo, 0, v23, vcc_lo
	s_waitcnt lgkmcnt(0)
	global_store_b64 v[46:47], v[44:45], off offset:96
.LBB113_48:                             ;   in Loop: Header=BB113_11 Depth=1
	s_or_b32 exec_lo, exec_lo, s25
	v_mov_b32_e32 v44, 1
	s_and_saveexec_b32 s25, s7
	s_cbranch_execz .LBB113_9
; %bb.49:                               ;   in Loop: Header=BB113_11 Depth=1
	s_and_not1_b32 vcc_lo, exec_lo, s8
	s_cbranch_vccnz .LBB113_58
; %bb.50:                               ;   in Loop: Header=BB113_11 Depth=1
	ds_load_b64 v[44:45], v38 offset:112
	v_add_co_u32 v42, vcc_lo, v42, v20
	v_add_co_ci_u32_e32 v43, vcc_lo, v43, v21, vcc_lo
	s_mov_b32 s26, 1
	s_waitcnt lgkmcnt(0)
	global_store_b64 v[42:43], v[44:45], off
	s_cbranch_execnz .LBB113_8
	s_branch .LBB113_59
.LBB113_51:                             ;   in Loop: Header=BB113_11 Depth=1
	s_branch .LBB113_23
.LBB113_52:                             ;   in Loop: Header=BB113_11 Depth=1
	s_branch .LBB113_27
.LBB113_53:                             ;   in Loop: Header=BB113_11 Depth=1
	s_branch .LBB113_31
.LBB113_54:                             ;   in Loop: Header=BB113_11 Depth=1
	s_branch .LBB113_35
.LBB113_55:                             ;   in Loop: Header=BB113_11 Depth=1
	s_branch .LBB113_39
.LBB113_56:                             ;   in Loop: Header=BB113_11 Depth=1
	s_branch .LBB113_43
.LBB113_57:                             ;   in Loop: Header=BB113_11 Depth=1
	s_branch .LBB113_47
.LBB113_58:                             ;   in Loop: Header=BB113_11 Depth=1
                                        ; implicit-def: $sgpr26
.LBB113_59:                             ;   in Loop: Header=BB113_11 Depth=1
	ds_load_b64 v[42:43], v38 offset:112
	v_lshlrev_b32_e32 v44, 3, v0
	s_mov_b32 s26, 1
	s_delay_alu instid0(VALU_DEP_1)
	v_add_co_u32 v44, vcc_lo, v2, v44
	v_add_co_ci_u32_e32 v45, vcc_lo, 0, v23, vcc_lo
	s_waitcnt lgkmcnt(0)
	global_store_b64 v[44:45], v[42:43], off offset:112
	s_branch .LBB113_8
.LBB113_60:
	s_endpgm
	.section	.rodata,"a",@progbits
	.p2align	6, 0x0
	.amdhsa_kernel _ZN9rocsparseL42csr2bsr_wavefront_per_row_multipass_kernelILj256ELj32ELj16EdiiEEv20rocsparse_direction_T4_S2_S2_S2_S2_21rocsparse_index_base_PKT2_PKT3_PKS2_S3_PS4_PS7_PS2_
		.amdhsa_group_segment_fixed_size 16392
		.amdhsa_private_segment_fixed_size 0
		.amdhsa_kernarg_size 88
		.amdhsa_user_sgpr_count 15
		.amdhsa_user_sgpr_dispatch_ptr 0
		.amdhsa_user_sgpr_queue_ptr 0
		.amdhsa_user_sgpr_kernarg_segment_ptr 1
		.amdhsa_user_sgpr_dispatch_id 0
		.amdhsa_user_sgpr_private_segment_size 0
		.amdhsa_wavefront_size32 1
		.amdhsa_uses_dynamic_stack 0
		.amdhsa_enable_private_segment 0
		.amdhsa_system_sgpr_workgroup_id_x 1
		.amdhsa_system_sgpr_workgroup_id_y 0
		.amdhsa_system_sgpr_workgroup_id_z 0
		.amdhsa_system_sgpr_workgroup_info 0
		.amdhsa_system_vgpr_workitem_id 0
		.amdhsa_next_free_vgpr 50
		.amdhsa_next_free_sgpr 28
		.amdhsa_reserve_vcc 1
		.amdhsa_float_round_mode_32 0
		.amdhsa_float_round_mode_16_64 0
		.amdhsa_float_denorm_mode_32 3
		.amdhsa_float_denorm_mode_16_64 3
		.amdhsa_dx10_clamp 1
		.amdhsa_ieee_mode 1
		.amdhsa_fp16_overflow 0
		.amdhsa_workgroup_processor_mode 1
		.amdhsa_memory_ordered 1
		.amdhsa_forward_progress 0
		.amdhsa_shared_vgpr_count 0
		.amdhsa_exception_fp_ieee_invalid_op 0
		.amdhsa_exception_fp_denorm_src 0
		.amdhsa_exception_fp_ieee_div_zero 0
		.amdhsa_exception_fp_ieee_overflow 0
		.amdhsa_exception_fp_ieee_underflow 0
		.amdhsa_exception_fp_ieee_inexact 0
		.amdhsa_exception_int_div_zero 0
	.end_amdhsa_kernel
	.section	.text._ZN9rocsparseL42csr2bsr_wavefront_per_row_multipass_kernelILj256ELj32ELj16EdiiEEv20rocsparse_direction_T4_S2_S2_S2_S2_21rocsparse_index_base_PKT2_PKT3_PKS2_S3_PS4_PS7_PS2_,"axG",@progbits,_ZN9rocsparseL42csr2bsr_wavefront_per_row_multipass_kernelILj256ELj32ELj16EdiiEEv20rocsparse_direction_T4_S2_S2_S2_S2_21rocsparse_index_base_PKT2_PKT3_PKS2_S3_PS4_PS7_PS2_,comdat
.Lfunc_end113:
	.size	_ZN9rocsparseL42csr2bsr_wavefront_per_row_multipass_kernelILj256ELj32ELj16EdiiEEv20rocsparse_direction_T4_S2_S2_S2_S2_21rocsparse_index_base_PKT2_PKT3_PKS2_S3_PS4_PS7_PS2_, .Lfunc_end113-_ZN9rocsparseL42csr2bsr_wavefront_per_row_multipass_kernelILj256ELj32ELj16EdiiEEv20rocsparse_direction_T4_S2_S2_S2_S2_21rocsparse_index_base_PKT2_PKT3_PKS2_S3_PS4_PS7_PS2_
                                        ; -- End function
	.section	.AMDGPU.csdata,"",@progbits
; Kernel info:
; codeLenInByte = 2572
; NumSgprs: 30
; NumVgprs: 50
; ScratchSize: 0
; MemoryBound: 0
; FloatMode: 240
; IeeeMode: 1
; LDSByteSize: 16392 bytes/workgroup (compile time only)
; SGPRBlocks: 3
; VGPRBlocks: 6
; NumSGPRsForWavesPerEU: 30
; NumVGPRsForWavesPerEU: 50
; Occupancy: 14
; WaveLimiterHint : 0
; COMPUTE_PGM_RSRC2:SCRATCH_EN: 0
; COMPUTE_PGM_RSRC2:USER_SGPR: 15
; COMPUTE_PGM_RSRC2:TRAP_HANDLER: 0
; COMPUTE_PGM_RSRC2:TGID_X_EN: 1
; COMPUTE_PGM_RSRC2:TGID_Y_EN: 0
; COMPUTE_PGM_RSRC2:TGID_Z_EN: 0
; COMPUTE_PGM_RSRC2:TIDIG_COMP_CNT: 0
	.section	.text._ZN9rocsparseL38csr2bsr_block_per_row_multipass_kernelILj256ELj32EdiiEEv20rocsparse_direction_T3_S2_S2_S2_S2_21rocsparse_index_base_PKT1_PKT2_PKS2_S3_PS4_PS7_PS2_,"axG",@progbits,_ZN9rocsparseL38csr2bsr_block_per_row_multipass_kernelILj256ELj32EdiiEEv20rocsparse_direction_T3_S2_S2_S2_S2_21rocsparse_index_base_PKT1_PKT2_PKS2_S3_PS4_PS7_PS2_,comdat
	.globl	_ZN9rocsparseL38csr2bsr_block_per_row_multipass_kernelILj256ELj32EdiiEEv20rocsparse_direction_T3_S2_S2_S2_S2_21rocsparse_index_base_PKT1_PKT2_PKS2_S3_PS4_PS7_PS2_ ; -- Begin function _ZN9rocsparseL38csr2bsr_block_per_row_multipass_kernelILj256ELj32EdiiEEv20rocsparse_direction_T3_S2_S2_S2_S2_21rocsparse_index_base_PKT1_PKT2_PKS2_S3_PS4_PS7_PS2_
	.p2align	8
	.type	_ZN9rocsparseL38csr2bsr_block_per_row_multipass_kernelILj256ELj32EdiiEEv20rocsparse_direction_T3_S2_S2_S2_S2_21rocsparse_index_base_PKT1_PKT2_PKS2_S3_PS4_PS7_PS2_,@function
_ZN9rocsparseL38csr2bsr_block_per_row_multipass_kernelILj256ELj32EdiiEEv20rocsparse_direction_T3_S2_S2_S2_S2_21rocsparse_index_base_PKT1_PKT2_PKS2_S3_PS4_PS7_PS2_: ; @_ZN9rocsparseL38csr2bsr_block_per_row_multipass_kernelILj256ELj32EdiiEEv20rocsparse_direction_T3_S2_S2_S2_S2_21rocsparse_index_base_PKT1_PKT2_PKS2_S3_PS4_PS7_PS2_
; %bb.0:
	s_clause 0x1
	s_load_b128 s[16:19], s[0:1], 0x10
	s_load_b64 s[8:9], s[0:1], 0x0
	v_lshrrev_b32_e32 v1, 3, v0
	s_load_b64 s[6:7], s[0:1], 0x28
	s_mov_b32 s4, s15
	v_mov_b32_e32 v13, 0
	v_mov_b32_e32 v11, 0
	s_waitcnt lgkmcnt(0)
	v_mad_u64_u32 v[2:3], null, s4, s17, v[1:2]
	v_cmp_gt_i32_e32 vcc_lo, s17, v1
	s_delay_alu instid0(VALU_DEP_2) | instskip(NEXT) | instid1(VALU_DEP_1)
	v_cmp_gt_i32_e64 s2, s9, v2
	s_and_b32 s3, vcc_lo, s2
	s_delay_alu instid0(SALU_CYCLE_1)
	s_and_saveexec_b32 s5, s3
	s_cbranch_execnz .LBB114_3
; %bb.1:
	s_or_b32 exec_lo, exec_lo, s5
	s_and_saveexec_b32 s5, s3
	s_cbranch_execnz .LBB114_4
.LBB114_2:
	s_or_b32 exec_lo, exec_lo, s5
	s_cmp_lt_i32 s16, 1
	s_cbranch_scc0 .LBB114_5
	s_branch .LBB114_41
.LBB114_3:
	v_ashrrev_i32_e32 v3, 31, v2
	s_delay_alu instid0(VALU_DEP_1) | instskip(NEXT) | instid1(VALU_DEP_1)
	v_lshlrev_b64 v[3:4], 2, v[2:3]
	v_add_co_u32 v3, s2, s6, v3
	s_delay_alu instid0(VALU_DEP_1)
	v_add_co_ci_u32_e64 v4, s2, s7, v4, s2
	global_load_b32 v3, v[3:4], off
	s_waitcnt vmcnt(0)
	v_subrev_nc_u32_e32 v11, s18, v3
	s_or_b32 exec_lo, exec_lo, s5
	s_and_saveexec_b32 s5, s3
	s_cbranch_execz .LBB114_2
.LBB114_4:
	v_ashrrev_i32_e32 v3, 31, v2
	s_delay_alu instid0(VALU_DEP_1) | instskip(NEXT) | instid1(VALU_DEP_1)
	v_lshlrev_b64 v[2:3], 2, v[2:3]
	v_add_co_u32 v2, s2, s6, v2
	s_delay_alu instid0(VALU_DEP_1)
	v_add_co_ci_u32_e64 v3, s2, s7, v3, s2
	global_load_b32 v2, v[2:3], off offset:4
	s_waitcnt vmcnt(0)
	v_subrev_nc_u32_e32 v13, s18, v2
	s_or_b32 exec_lo, exec_lo, s5
	s_cmp_lt_i32 s16, 1
	s_cbranch_scc1 .LBB114_41
.LBB114_5:
	s_clause 0x4
	s_load_b128 s[20:23], s[0:1], 0x40
	s_load_b64 s[14:15], s[0:1], 0x50
	s_load_b64 s[24:25], s[0:1], 0x20
	s_load_b64 s[26:27], s[0:1], 0x30
	s_load_b32 s19, s[0:1], 0x38
	s_ashr_i32 s5, s4, 31
	v_mbcnt_lo_u32_b32 v5, -1, 0
	s_lshl_b64 s[0:1], s[4:5], 2
	s_mov_b32 s10, 0
	v_cmp_gt_u32_e64 s2, 32, v0
	v_cmp_gt_u32_e64 s3, 16, v0
	v_cmp_gt_u32_e64 s4, 8, v0
	v_cmp_gt_u32_e64 s5, 4, v0
	v_cmp_gt_u32_e64 s6, 2, v0
	s_mov_b32 s11, s10
	v_dual_mov_b32 v3, s10 :: v_dual_and_b32 v14, 7, v0
	v_cmp_eq_u32_e64 s7, 0, v0
	v_dual_mov_b32 v4, s11 :: v_dual_lshlrev_b32 v7, 3, v1
	s_waitcnt lgkmcnt(0)
	s_add_u32 s0, s22, s0
	s_addc_u32 s1, s23, s1
	v_xor_b32_e32 v6, 2, v5
	s_load_b32 s12, s[0:1], 0x0
	v_cmp_gt_u32_e64 s0, 0x80, v0
	v_cmp_gt_u32_e64 s1, 64, v0
	v_xor_b32_e32 v9, 1, v5
	v_dual_mov_b32 v2, 0 :: v_dual_lshlrev_b32 v15, 5, v1
	v_mul_lo_u32 v1, v1, s17
	v_lshl_or_b32 v17, v5, 2, 28
	v_or_b32_e32 v19, 8, v14
	v_or_b32_e32 v22, 24, v14
	;; [unrolled: 1-line block ×3, first 2 shown]
	v_lshlrev_b32_e32 v12, 3, v14
	v_or_b32_e32 v18, v15, v14
	v_cmp_gt_u32_e64 s9, s17, v14
	v_lshlrev_b64 v[24:25], 3, v[1:2]
	v_mul_lo_u32 v1, v14, s17
	v_cmp_gt_u32_e64 s11, s17, v20
	v_lshlrev_b32_e32 v18, 3, v18
	s_mul_hi_u32 s28, s17, s17
	s_mul_i32 s29, s17, s17
	s_waitcnt lgkmcnt(0)
	s_sub_i32 s22, s12, s19
	s_cmp_eq_u32 s8, 0
	v_cmp_gt_u32_e64 s12, s17, v22
	s_cselect_b32 s8, -1, 0
	s_abs_i32 s30, s17
	s_lshl_b32 s23, s17, 3
	v_cvt_f32_u32_e32 v21, s30
	s_sub_i32 s13, 0, s30
	v_mov_b32_e32 v28, v2
	s_and_b32 s11, vcc_lo, s11
	s_and_b32 s12, vcc_lo, s12
	v_rcp_iflag_f32_e32 v21, v21
	v_lshlrev_b32_e32 v16, 2, v0
	v_xor_b32_e32 v0, 4, v5
	s_delay_alu instid0(VALU_DEP_1) | instskip(NEXT) | instid1(VALU_DEP_1)
	v_cmp_gt_i32_e64 s10, 32, v0
	v_cndmask_b32_e64 v0, v5, v0, s10
	v_cmp_gt_i32_e64 s10, 32, v6
	v_mov_b32_e32 v8, v2
	s_delay_alu instid0(VALU_DEP_2) | instskip(SKIP_1) | instid1(VALU_DEP_2)
	v_cndmask_b32_e64 v6, v5, v6, s10
	v_cmp_gt_i32_e64 s10, 32, v9
	v_lshlrev_b32_e32 v20, 2, v6
	s_delay_alu instid0(VALU_DEP_2) | instskip(SKIP_3) | instid1(VALU_DEP_4)
	v_cndmask_b32_e64 v5, v5, v9, s10
	v_mul_f32_e32 v9, 0x4f7ffffe, v21
	v_cmp_gt_u32_e64 s10, s17, v19
	v_dual_mov_b32 v10, v2 :: v_dual_lshlrev_b32 v19, 2, v0
	v_lshlrev_b32_e32 v21, 2, v5
	s_delay_alu instid0(VALU_DEP_4) | instskip(SKIP_2) | instid1(VALU_DEP_2)
	v_cvt_u32_f32_e32 v26, v9
	v_lshlrev_b64 v[5:6], 3, v[1:2]
	s_and_b32 s10, vcc_lo, s10
	v_mul_lo_u32 v0, s13, v26
	v_add_co_u32 v22, s13, s20, v7
	v_add_nc_u32_e32 v7, s23, v1
	v_add_co_ci_u32_e64 v23, null, s21, 0, s13
	v_add_co_u32 v1, s13, s20, v24
	s_delay_alu instid0(VALU_DEP_3) | instskip(SKIP_2) | instid1(VALU_DEP_4)
	v_add_nc_u32_e32 v9, s23, v7
	v_mul_hi_u32 v29, v26, v0
	v_add_co_ci_u32_e64 v25, s13, s21, v25, s13
	v_add_co_u32 v24, s13, v1, v12
	s_delay_alu instid0(VALU_DEP_4) | instskip(SKIP_3) | instid1(VALU_DEP_4)
	v_add_nc_u32_e32 v27, s23, v9
	v_lshlrev_b64 v[0:1], 3, v[7:8]
	v_lshlrev_b64 v[7:8], 3, v[9:10]
	v_add_co_ci_u32_e64 v25, s13, 0, v25, s13
	v_lshlrev_b64 v[9:10], 3, v[27:28]
	v_dual_mov_b32 v27, 1 :: v_dual_add_nc_u32 v26, v26, v29
	v_mov_b32_e32 v29, 0
	s_and_b32 s13, vcc_lo, s9
	s_ashr_i32 s20, s17, 31
	s_branch .LBB114_7
.LBB114_6:                              ;   in Loop: Header=BB114_7 Depth=1
	s_or_b32 exec_lo, exec_lo, s21
	s_waitcnt lgkmcnt(0)
	s_barrier
	buffer_gl0_inv
	ds_load_b32 v29, v2
	s_add_i32 s22, s9, s22
	s_waitcnt lgkmcnt(0)
	s_barrier
	buffer_gl0_inv
	v_cmp_gt_i32_e32 vcc_lo, s16, v29
	s_cbranch_vccz .LBB114_41
.LBB114_7:                              ; =>This Loop Header: Depth=1
                                        ;     Child Loop BB114_10 Depth 2
	v_dual_mov_b32 v28, s16 :: v_dual_add_nc_u32 v11, v11, v14
	v_mov_b32_e32 v31, v13
	s_mov_b32 s21, exec_lo
	ds_store_b8 v2, v2 offset:8192
	ds_store_2addr_b64 v18, v[3:4], v[3:4] offset1:8
	ds_store_2addr_b64 v18, v[3:4], v[3:4] offset0:16 offset1:24
	s_waitcnt lgkmcnt(0)
	s_barrier
	buffer_gl0_inv
	v_cmpx_lt_i32_e64 v11, v13
	s_cbranch_execz .LBB114_15
; %bb.8:                                ;   in Loop: Header=BB114_7 Depth=1
	v_mul_lo_u32 v30, v29, s17
	v_dual_mov_b32 v28, s16 :: v_dual_mov_b32 v31, v13
	s_mov_b32 s23, 0
	s_branch .LBB114_10
.LBB114_9:                              ;   in Loop: Header=BB114_10 Depth=2
	s_or_b32 exec_lo, exec_lo, s31
	v_add_nc_u32_e32 v11, 8, v11
	s_xor_b32 s31, vcc_lo, -1
	s_delay_alu instid0(VALU_DEP_1) | instskip(NEXT) | instid1(VALU_DEP_1)
	v_cmp_ge_i32_e64 s9, v11, v13
	s_or_b32 s9, s31, s9
	s_delay_alu instid0(SALU_CYCLE_1) | instskip(NEXT) | instid1(SALU_CYCLE_1)
	s_and_b32 s9, exec_lo, s9
	s_or_b32 s23, s9, s23
	s_delay_alu instid0(SALU_CYCLE_1)
	s_and_not1_b32 exec_lo, exec_lo, s23
	s_cbranch_execz .LBB114_14
.LBB114_10:                             ;   Parent Loop BB114_7 Depth=1
                                        ; =>  This Inner Loop Header: Depth=2
	v_ashrrev_i32_e32 v12, 31, v11
	s_delay_alu instid0(VALU_DEP_1) | instskip(NEXT) | instid1(VALU_DEP_1)
	v_lshlrev_b64 v[32:33], 2, v[11:12]
	v_add_co_u32 v32, vcc_lo, s26, v32
	s_delay_alu instid0(VALU_DEP_2) | instskip(SKIP_3) | instid1(VALU_DEP_1)
	v_add_co_ci_u32_e32 v33, vcc_lo, s27, v33, vcc_lo
	global_load_b32 v32, v[32:33], off
	s_waitcnt vmcnt(0)
	v_subrev_nc_u32_e32 v32, s18, v32
	v_sub_nc_u32_e32 v33, 0, v32
	s_delay_alu instid0(VALU_DEP_1) | instskip(NEXT) | instid1(VALU_DEP_1)
	v_max_i32_e32 v33, v32, v33
	v_mul_hi_u32 v34, v33, v26
	s_delay_alu instid0(VALU_DEP_1) | instskip(NEXT) | instid1(VALU_DEP_1)
	v_mul_lo_u32 v35, v34, s30
	v_sub_nc_u32_e32 v33, v33, v35
	v_add_nc_u32_e32 v35, 1, v34
	s_delay_alu instid0(VALU_DEP_2) | instskip(SKIP_1) | instid1(VALU_DEP_2)
	v_subrev_nc_u32_e32 v36, s30, v33
	v_cmp_le_u32_e32 vcc_lo, s30, v33
	v_dual_cndmask_b32 v34, v34, v35 :: v_dual_cndmask_b32 v33, v33, v36
	v_ashrrev_i32_e32 v35, 31, v32
	s_delay_alu instid0(VALU_DEP_2) | instskip(NEXT) | instid1(VALU_DEP_3)
	v_add_nc_u32_e32 v36, 1, v34
	v_cmp_le_u32_e32 vcc_lo, s30, v33
	s_delay_alu instid0(VALU_DEP_3) | instskip(NEXT) | instid1(VALU_DEP_3)
	v_xor_b32_e32 v35, s20, v35
	v_cndmask_b32_e32 v33, v34, v36, vcc_lo
	s_delay_alu instid0(VALU_DEP_1) | instskip(NEXT) | instid1(VALU_DEP_1)
	v_xor_b32_e32 v33, v33, v35
	v_sub_nc_u32_e32 v34, v33, v35
	v_mov_b32_e32 v33, v31
	s_delay_alu instid0(VALU_DEP_2) | instskip(SKIP_1) | instid1(VALU_DEP_1)
	v_cmp_eq_u32_e32 vcc_lo, v34, v29
	v_cmp_ne_u32_e64 s9, v34, v29
	s_and_saveexec_b32 s31, s9
	s_delay_alu instid0(SALU_CYCLE_1)
	s_xor_b32 s9, exec_lo, s31
; %bb.11:                               ;   in Loop: Header=BB114_10 Depth=2
	v_min_i32_e32 v28, v34, v28
                                        ; implicit-def: $vgpr32
                                        ; implicit-def: $vgpr33
; %bb.12:                               ;   in Loop: Header=BB114_10 Depth=2
	s_or_saveexec_b32 s31, s9
	v_mov_b32_e32 v31, v11
	s_xor_b32 exec_lo, exec_lo, s31
	s_cbranch_execz .LBB114_9
; %bb.13:                               ;   in Loop: Header=BB114_10 Depth=2
	v_lshlrev_b64 v[34:35], 3, v[11:12]
	v_sub_nc_u32_e32 v12, v32, v30
	v_mov_b32_e32 v31, v33
	s_delay_alu instid0(VALU_DEP_2) | instskip(NEXT) | instid1(VALU_DEP_4)
	v_add_lshl_u32 v12, v12, v15, 3
	v_add_co_u32 v34, s9, s24, v34
	s_delay_alu instid0(VALU_DEP_1)
	v_add_co_ci_u32_e64 v35, s9, s25, v35, s9
	global_load_b64 v[34:35], v[34:35], off
	ds_store_b8 v2, v27 offset:8192
	s_waitcnt vmcnt(0)
	ds_store_b64 v12, v[34:35]
	s_branch .LBB114_9
.LBB114_14:                             ;   in Loop: Header=BB114_7 Depth=1
	s_or_b32 exec_lo, exec_lo, s23
.LBB114_15:                             ;   in Loop: Header=BB114_7 Depth=1
	s_delay_alu instid0(SALU_CYCLE_1)
	s_or_b32 exec_lo, exec_lo, s21
	ds_bpermute_b32 v11, v19, v31
	s_waitcnt lgkmcnt(0)
	s_barrier
	buffer_gl0_inv
	ds_load_u8 v30, v2 offset:8192
	s_mov_b32 s9, 0
	v_min_i32_e32 v11, v11, v31
	s_waitcnt lgkmcnt(0)
	v_cmp_eq_u32_e32 vcc_lo, 0, v30
	ds_bpermute_b32 v12, v20, v11
	s_and_b32 vcc_lo, exec_lo, vcc_lo
	s_waitcnt lgkmcnt(0)
	v_min_i32_e32 v11, v12, v11
	ds_bpermute_b32 v12, v21, v11
	s_waitcnt lgkmcnt(0)
	v_min_i32_e32 v11, v12, v11
	ds_bpermute_b32 v11, v17, v11
	s_cbranch_vccnz .LBB114_22
; %bb.16:                               ;   in Loop: Header=BB114_7 Depth=1
	s_ashr_i32 s23, s22, 31
	s_mul_hi_u32 s9, s29, s22
	s_lshl_b64 s[34:35], s[22:23], 2
	s_mul_i32 s21, s29, s23
	s_add_u32 s34, s14, s34
	s_addc_u32 s35, s15, s35
	s_add_i32 s9, s9, s21
	s_mul_i32 s21, s28, s22
	s_mul_i32 s36, s29, s22
	s_add_i32 s37, s9, s21
	v_add_nc_u32_e32 v32, s19, v29
	s_lshl_b64 s[36:37], s[36:37], 3
	s_delay_alu instid0(SALU_CYCLE_1)
	v_add_co_u32 v12, vcc_lo, v22, s36
	v_add_co_ci_u32_e32 v29, vcc_lo, s37, v23, vcc_lo
	v_add_co_u32 v30, vcc_lo, v24, s36
	v_add_co_ci_u32_e32 v31, vcc_lo, s37, v25, vcc_lo
	global_store_b32 v2, v32, s[34:35]
	s_and_saveexec_b32 s9, s13
	s_cbranch_execnz .LBB114_38
; %bb.17:                               ;   in Loop: Header=BB114_7 Depth=1
	s_or_b32 exec_lo, exec_lo, s9
	s_and_saveexec_b32 s9, s10
	s_cbranch_execnz .LBB114_39
.LBB114_18:                             ;   in Loop: Header=BB114_7 Depth=1
	s_or_b32 exec_lo, exec_lo, s9
	s_and_saveexec_b32 s9, s11
	s_cbranch_execnz .LBB114_40
.LBB114_19:                             ;   in Loop: Header=BB114_7 Depth=1
	s_or_b32 exec_lo, exec_lo, s9
	s_and_saveexec_b32 s9, s12
	s_cbranch_execz .LBB114_21
.LBB114_20:                             ;   in Loop: Header=BB114_7 Depth=1
	ds_load_b64 v[32:33], v18 offset:192
	v_add_co_u32 v34, vcc_lo, 0xc0, v30
	v_add_co_ci_u32_e32 v30, vcc_lo, 0, v31, vcc_lo
	v_add_co_u32 v12, vcc_lo, v12, v9
	v_add_co_ci_u32_e32 v29, vcc_lo, v29, v10, vcc_lo
	s_delay_alu instid0(VALU_DEP_1) | instskip(NEXT) | instid1(VALU_DEP_3)
	v_cndmask_b32_e64 v30, v29, v30, s8
	v_cndmask_b32_e64 v29, v12, v34, s8
	s_waitcnt lgkmcnt(0)
	global_store_b64 v[29:30], v[32:33], off
.LBB114_21:                             ;   in Loop: Header=BB114_7 Depth=1
	s_or_b32 exec_lo, exec_lo, s9
	s_mov_b32 s9, 1
.LBB114_22:                             ;   in Loop: Header=BB114_7 Depth=1
	s_waitcnt lgkmcnt(0)
	s_waitcnt_vscnt null, 0x0
	s_barrier
	buffer_gl0_inv
	ds_store_b32 v16, v28
	s_waitcnt lgkmcnt(0)
	s_barrier
	buffer_gl0_inv
	s_and_saveexec_b32 s21, s0
	s_cbranch_execz .LBB114_24
; %bb.23:                               ;   in Loop: Header=BB114_7 Depth=1
	ds_load_2addr_stride64_b32 v[28:29], v16 offset1:2
	s_waitcnt lgkmcnt(0)
	v_min_i32_e32 v12, v29, v28
	ds_store_b32 v16, v12
.LBB114_24:                             ;   in Loop: Header=BB114_7 Depth=1
	s_or_b32 exec_lo, exec_lo, s21
	s_waitcnt lgkmcnt(0)
	s_barrier
	buffer_gl0_inv
	s_and_saveexec_b32 s21, s1
	s_cbranch_execz .LBB114_26
; %bb.25:                               ;   in Loop: Header=BB114_7 Depth=1
	ds_load_2addr_stride64_b32 v[28:29], v16 offset1:1
	s_waitcnt lgkmcnt(0)
	v_min_i32_e32 v12, v29, v28
	ds_store_b32 v16, v12
.LBB114_26:                             ;   in Loop: Header=BB114_7 Depth=1
	s_or_b32 exec_lo, exec_lo, s21
	s_waitcnt lgkmcnt(0)
	s_barrier
	buffer_gl0_inv
	s_and_saveexec_b32 s21, s2
	s_cbranch_execz .LBB114_28
; %bb.27:                               ;   in Loop: Header=BB114_7 Depth=1
	ds_load_2addr_b32 v[28:29], v16 offset1:32
	s_waitcnt lgkmcnt(0)
	v_min_i32_e32 v12, v29, v28
	ds_store_b32 v16, v12
.LBB114_28:                             ;   in Loop: Header=BB114_7 Depth=1
	s_or_b32 exec_lo, exec_lo, s21
	s_waitcnt lgkmcnt(0)
	s_barrier
	buffer_gl0_inv
	s_and_saveexec_b32 s21, s3
	s_cbranch_execz .LBB114_30
; %bb.29:                               ;   in Loop: Header=BB114_7 Depth=1
	ds_load_2addr_b32 v[28:29], v16 offset1:16
	s_waitcnt lgkmcnt(0)
	v_min_i32_e32 v12, v29, v28
	ds_store_b32 v16, v12
.LBB114_30:                             ;   in Loop: Header=BB114_7 Depth=1
	;; [unrolled: 12-line block ×5, first 2 shown]
	s_or_b32 exec_lo, exec_lo, s21
	s_waitcnt lgkmcnt(0)
	s_barrier
	buffer_gl0_inv
	s_and_saveexec_b32 s21, s7
	s_cbranch_execz .LBB114_6
; %bb.37:                               ;   in Loop: Header=BB114_7 Depth=1
	ds_load_b64 v[28:29], v2
	s_waitcnt lgkmcnt(0)
	v_min_i32_e32 v12, v29, v28
	ds_store_b32 v2, v12
	s_branch .LBB114_6
.LBB114_38:                             ;   in Loop: Header=BB114_7 Depth=1
	ds_load_b64 v[32:33], v18
	v_add_co_u32 v34, vcc_lo, v12, v5
	v_add_co_ci_u32_e32 v35, vcc_lo, v29, v6, vcc_lo
	s_delay_alu instid0(VALU_DEP_2) | instskip(NEXT) | instid1(VALU_DEP_2)
	v_cndmask_b32_e64 v34, v34, v30, s8
	v_cndmask_b32_e64 v35, v35, v31, s8
	s_waitcnt lgkmcnt(0)
	global_store_b64 v[34:35], v[32:33], off
	s_or_b32 exec_lo, exec_lo, s9
	s_and_saveexec_b32 s9, s10
	s_cbranch_execz .LBB114_18
.LBB114_39:                             ;   in Loop: Header=BB114_7 Depth=1
	ds_load_b64 v[32:33], v18 offset:64
	v_add_co_u32 v34, vcc_lo, v30, 64
	v_add_co_ci_u32_e32 v35, vcc_lo, 0, v31, vcc_lo
	v_add_co_u32 v36, vcc_lo, v12, v0
	v_add_co_ci_u32_e32 v37, vcc_lo, v29, v1, vcc_lo
	s_delay_alu instid0(VALU_DEP_2) | instskip(NEXT) | instid1(VALU_DEP_2)
	v_cndmask_b32_e64 v34, v36, v34, s8
	v_cndmask_b32_e64 v35, v37, v35, s8
	s_waitcnt lgkmcnt(0)
	global_store_b64 v[34:35], v[32:33], off
	s_or_b32 exec_lo, exec_lo, s9
	s_and_saveexec_b32 s9, s11
	s_cbranch_execz .LBB114_19
.LBB114_40:                             ;   in Loop: Header=BB114_7 Depth=1
	ds_load_b64 v[32:33], v18 offset:128
	v_add_co_u32 v34, vcc_lo, 0x80, v30
	v_add_co_ci_u32_e32 v35, vcc_lo, 0, v31, vcc_lo
	v_add_co_u32 v36, vcc_lo, v12, v7
	v_add_co_ci_u32_e32 v37, vcc_lo, v29, v8, vcc_lo
	s_delay_alu instid0(VALU_DEP_2) | instskip(NEXT) | instid1(VALU_DEP_2)
	v_cndmask_b32_e64 v34, v36, v34, s8
	v_cndmask_b32_e64 v35, v37, v35, s8
	s_waitcnt lgkmcnt(0)
	global_store_b64 v[34:35], v[32:33], off
	s_or_b32 exec_lo, exec_lo, s9
	s_and_saveexec_b32 s9, s12
	s_cbranch_execnz .LBB114_20
	s_branch .LBB114_21
.LBB114_41:
	s_endpgm
	.section	.rodata,"a",@progbits
	.p2align	6, 0x0
	.amdhsa_kernel _ZN9rocsparseL38csr2bsr_block_per_row_multipass_kernelILj256ELj32EdiiEEv20rocsparse_direction_T3_S2_S2_S2_S2_21rocsparse_index_base_PKT1_PKT2_PKS2_S3_PS4_PS7_PS2_
		.amdhsa_group_segment_fixed_size 8200
		.amdhsa_private_segment_fixed_size 0
		.amdhsa_kernarg_size 88
		.amdhsa_user_sgpr_count 15
		.amdhsa_user_sgpr_dispatch_ptr 0
		.amdhsa_user_sgpr_queue_ptr 0
		.amdhsa_user_sgpr_kernarg_segment_ptr 1
		.amdhsa_user_sgpr_dispatch_id 0
		.amdhsa_user_sgpr_private_segment_size 0
		.amdhsa_wavefront_size32 1
		.amdhsa_uses_dynamic_stack 0
		.amdhsa_enable_private_segment 0
		.amdhsa_system_sgpr_workgroup_id_x 1
		.amdhsa_system_sgpr_workgroup_id_y 0
		.amdhsa_system_sgpr_workgroup_id_z 0
		.amdhsa_system_sgpr_workgroup_info 0
		.amdhsa_system_vgpr_workitem_id 0
		.amdhsa_next_free_vgpr 38
		.amdhsa_next_free_sgpr 38
		.amdhsa_reserve_vcc 1
		.amdhsa_float_round_mode_32 0
		.amdhsa_float_round_mode_16_64 0
		.amdhsa_float_denorm_mode_32 3
		.amdhsa_float_denorm_mode_16_64 3
		.amdhsa_dx10_clamp 1
		.amdhsa_ieee_mode 1
		.amdhsa_fp16_overflow 0
		.amdhsa_workgroup_processor_mode 1
		.amdhsa_memory_ordered 1
		.amdhsa_forward_progress 0
		.amdhsa_shared_vgpr_count 0
		.amdhsa_exception_fp_ieee_invalid_op 0
		.amdhsa_exception_fp_denorm_src 0
		.amdhsa_exception_fp_ieee_div_zero 0
		.amdhsa_exception_fp_ieee_overflow 0
		.amdhsa_exception_fp_ieee_underflow 0
		.amdhsa_exception_fp_ieee_inexact 0
		.amdhsa_exception_int_div_zero 0
	.end_amdhsa_kernel
	.section	.text._ZN9rocsparseL38csr2bsr_block_per_row_multipass_kernelILj256ELj32EdiiEEv20rocsparse_direction_T3_S2_S2_S2_S2_21rocsparse_index_base_PKT1_PKT2_PKS2_S3_PS4_PS7_PS2_,"axG",@progbits,_ZN9rocsparseL38csr2bsr_block_per_row_multipass_kernelILj256ELj32EdiiEEv20rocsparse_direction_T3_S2_S2_S2_S2_21rocsparse_index_base_PKT1_PKT2_PKS2_S3_PS4_PS7_PS2_,comdat
.Lfunc_end114:
	.size	_ZN9rocsparseL38csr2bsr_block_per_row_multipass_kernelILj256ELj32EdiiEEv20rocsparse_direction_T3_S2_S2_S2_S2_21rocsparse_index_base_PKT1_PKT2_PKS2_S3_PS4_PS7_PS2_, .Lfunc_end114-_ZN9rocsparseL38csr2bsr_block_per_row_multipass_kernelILj256ELj32EdiiEEv20rocsparse_direction_T3_S2_S2_S2_S2_21rocsparse_index_base_PKT1_PKT2_PKS2_S3_PS4_PS7_PS2_
                                        ; -- End function
	.section	.AMDGPU.csdata,"",@progbits
; Kernel info:
; codeLenInByte = 2288
; NumSgprs: 40
; NumVgprs: 38
; ScratchSize: 0
; MemoryBound: 0
; FloatMode: 240
; IeeeMode: 1
; LDSByteSize: 8200 bytes/workgroup (compile time only)
; SGPRBlocks: 4
; VGPRBlocks: 4
; NumSGPRsForWavesPerEU: 40
; NumVGPRsForWavesPerEU: 38
; Occupancy: 16
; WaveLimiterHint : 0
; COMPUTE_PGM_RSRC2:SCRATCH_EN: 0
; COMPUTE_PGM_RSRC2:USER_SGPR: 15
; COMPUTE_PGM_RSRC2:TRAP_HANDLER: 0
; COMPUTE_PGM_RSRC2:TGID_X_EN: 1
; COMPUTE_PGM_RSRC2:TGID_Y_EN: 0
; COMPUTE_PGM_RSRC2:TGID_Z_EN: 0
; COMPUTE_PGM_RSRC2:TIDIG_COMP_CNT: 0
	.section	.text._ZN9rocsparseL38csr2bsr_block_per_row_multipass_kernelILj256ELj64EdiiEEv20rocsparse_direction_T3_S2_S2_S2_S2_21rocsparse_index_base_PKT1_PKT2_PKS2_S3_PS4_PS7_PS2_,"axG",@progbits,_ZN9rocsparseL38csr2bsr_block_per_row_multipass_kernelILj256ELj64EdiiEEv20rocsparse_direction_T3_S2_S2_S2_S2_21rocsparse_index_base_PKT1_PKT2_PKS2_S3_PS4_PS7_PS2_,comdat
	.globl	_ZN9rocsparseL38csr2bsr_block_per_row_multipass_kernelILj256ELj64EdiiEEv20rocsparse_direction_T3_S2_S2_S2_S2_21rocsparse_index_base_PKT1_PKT2_PKS2_S3_PS4_PS7_PS2_ ; -- Begin function _ZN9rocsparseL38csr2bsr_block_per_row_multipass_kernelILj256ELj64EdiiEEv20rocsparse_direction_T3_S2_S2_S2_S2_21rocsparse_index_base_PKT1_PKT2_PKS2_S3_PS4_PS7_PS2_
	.p2align	8
	.type	_ZN9rocsparseL38csr2bsr_block_per_row_multipass_kernelILj256ELj64EdiiEEv20rocsparse_direction_T3_S2_S2_S2_S2_21rocsparse_index_base_PKT1_PKT2_PKS2_S3_PS4_PS7_PS2_,@function
_ZN9rocsparseL38csr2bsr_block_per_row_multipass_kernelILj256ELj64EdiiEEv20rocsparse_direction_T3_S2_S2_S2_S2_21rocsparse_index_base_PKT1_PKT2_PKS2_S3_PS4_PS7_PS2_: ; @_ZN9rocsparseL38csr2bsr_block_per_row_multipass_kernelILj256ELj64EdiiEEv20rocsparse_direction_T3_S2_S2_S2_S2_21rocsparse_index_base_PKT1_PKT2_PKS2_S3_PS4_PS7_PS2_
; %bb.0:
	s_mov_b32 s10, s15
	s_clause 0x1
	s_load_b128 s[12:15], s[0:1], 0x10
	s_load_b64 s[8:9], s[0:1], 0x0
	v_lshrrev_b32_e32 v1, 2, v0
	s_load_b64 s[4:5], s[0:1], 0x28
	v_mov_b32_e32 v37, 0
	v_mov_b32_e32 v35, 0
	s_waitcnt lgkmcnt(0)
	v_mad_u64_u32 v[2:3], null, s10, s13, v[1:2]
	v_cmp_gt_i32_e32 vcc_lo, s13, v1
	s_delay_alu instid0(VALU_DEP_2) | instskip(NEXT) | instid1(VALU_DEP_1)
	v_cmp_gt_i32_e64 s2, s9, v2
	s_and_b32 s3, vcc_lo, s2
	s_delay_alu instid0(SALU_CYCLE_1)
	s_and_saveexec_b32 s6, s3
	s_cbranch_execnz .LBB115_3
; %bb.1:
	s_or_b32 exec_lo, exec_lo, s6
	s_and_saveexec_b32 s6, s3
	s_cbranch_execnz .LBB115_4
.LBB115_2:
	s_or_b32 exec_lo, exec_lo, s6
	s_cmp_lt_i32 s12, 1
	s_cbranch_scc0 .LBB115_5
	s_branch .LBB115_65
.LBB115_3:
	v_ashrrev_i32_e32 v3, 31, v2
	s_delay_alu instid0(VALU_DEP_1) | instskip(NEXT) | instid1(VALU_DEP_1)
	v_lshlrev_b64 v[3:4], 2, v[2:3]
	v_add_co_u32 v3, s2, s4, v3
	s_delay_alu instid0(VALU_DEP_1)
	v_add_co_ci_u32_e64 v4, s2, s5, v4, s2
	global_load_b32 v3, v[3:4], off
	s_waitcnt vmcnt(0)
	v_subrev_nc_u32_e32 v35, s14, v3
	s_or_b32 exec_lo, exec_lo, s6
	s_and_saveexec_b32 s6, s3
	s_cbranch_execz .LBB115_2
.LBB115_4:
	v_ashrrev_i32_e32 v3, 31, v2
	s_delay_alu instid0(VALU_DEP_1) | instskip(NEXT) | instid1(VALU_DEP_1)
	v_lshlrev_b64 v[2:3], 2, v[2:3]
	v_add_co_u32 v2, s2, s4, v2
	s_delay_alu instid0(VALU_DEP_1)
	v_add_co_ci_u32_e64 v3, s2, s5, v3, s2
	global_load_b32 v2, v[2:3], off offset:4
	s_waitcnt vmcnt(0)
	v_subrev_nc_u32_e32 v37, s14, v2
	s_or_b32 exec_lo, exec_lo, s6
	s_cmp_lt_i32 s12, 1
	s_cbranch_scc1 .LBB115_65
.LBB115_5:
	s_clause 0x4
	s_load_b128 s[4:7], s[0:1], 0x40
	s_load_b64 s[16:17], s[0:1], 0x50
	s_load_b64 s[18:19], s[0:1], 0x20
	;; [unrolled: 1-line block ×3, first 2 shown]
	s_load_b32 s15, s[0:1], 0x38
	v_mbcnt_lo_u32_b32 v3, -1, 0
	s_ashr_i32 s11, s10, 31
	v_dual_mov_b32 v2, 0 :: v_dual_lshlrev_b32 v39, 6, v1
	s_lshl_b64 s[0:1], s[10:11], 2
	s_delay_alu instid0(VALU_DEP_2)
	v_xor_b32_e32 v4, 2, v3
	v_xor_b32_e32 v6, 1, v3
	v_lshlrev_b32_e32 v5, 3, v1
	v_mul_lo_u32 v1, v1, s13
	v_lshl_or_b32 v41, v3, 2, 12
	s_mov_b32 s24, 0
	v_and_b32_e32 v38, 3, v0
	v_lshlrev_b32_e32 v40, 2, v0
	v_cmp_gt_u32_e64 s3, 32, v0
	v_mov_b32_e32 v52, 0
	s_waitcnt lgkmcnt(0)
	s_add_u32 s0, s6, s0
	s_addc_u32 s1, s7, s1
	v_lshlrev_b32_e32 v8, 3, v38
	s_load_b32 s2, s[0:1], 0x0
	v_cmp_gt_i32_e64 s1, 32, v4
	v_cmp_gt_u32_e64 s0, 0x80, v0
	v_cmp_gt_u32_e64 s6, 4, v0
	;; [unrolled: 1-line block ×4, first 2 shown]
	v_cndmask_b32_e64 v7, v3, v4, s1
	v_cmp_gt_i32_e64 s1, 32, v6
	s_mul_hi_u32 s26, s13, s13
	s_mul_i32 s27, s13, s13
	v_mov_b32_e32 v50, 1
	v_lshlrev_b32_e32 v42, 2, v7
	v_cndmask_b32_e64 v6, v3, v6, s1
	v_lshlrev_b64 v[3:4], 3, v[1:2]
	v_mov_b32_e32 v10, v2
	v_mov_b32_e32 v12, v2
	s_delay_alu instid0(VALU_DEP_4) | instskip(SKIP_2) | instid1(VALU_DEP_1)
	v_dual_mov_b32 v14, v2 :: v_dual_lshlrev_b32 v43, 2, v6
	v_mov_b32_e32 v6, v2
	v_add_co_u32 v44, s1, s4, v5
	v_add_co_ci_u32_e64 v45, null, s5, 0, s1
	v_add_co_u32 v1, s1, s4, v3
	s_delay_alu instid0(VALU_DEP_1)
	v_add_co_ci_u32_e64 v3, s1, s5, v4, s1
	s_waitcnt lgkmcnt(0)
	s_sub_i32 s22, s2, s15
	s_cmp_eq_u32 s8, 0
	v_cmp_gt_u32_e64 s2, 64, v0
	v_cmp_gt_u32_e64 s4, 16, v0
	;; [unrolled: 1-line block ×3, first 2 shown]
	v_cmp_eq_u32_e64 s8, 0, v0
	v_or_b32_e32 v0, 4, v38
	v_or_b32_e32 v4, 8, v38
	v_add_co_u32 v46, s1, v1, v8
	v_mov_b32_e32 v8, v2
	v_add_co_ci_u32_e64 v47, s1, 0, v3, s1
	s_cselect_b32 s1, -1, 0
	v_or_b32_e32 v3, v39, v38
	v_cmp_gt_u32_e64 s10, s13, v0
	s_and_b32 s11, vcc_lo, s9
	v_cmp_gt_u32_e64 s9, s13, v4
	v_or_b32_e32 v0, 12, v38
	v_lshlrev_b32_e32 v48, 3, v3
	v_or_b32_e32 v3, 16, v38
	s_and_b32 s28, vcc_lo, s10
	s_and_b32 s29, vcc_lo, s9
	v_cmp_gt_u32_e64 s9, s13, v0
	v_or_b32_e32 v0, 20, v38
	v_cmp_gt_u32_e64 s10, s13, v3
	v_or_b32_e32 v3, 28, v38
	s_abs_i32 s37, s13
	s_and_b32 s30, vcc_lo, s9
	v_cmp_gt_u32_e64 s9, s13, v0
	v_or_b32_e32 v0, 24, v38
	s_and_b32 s31, vcc_lo, s10
	v_cmp_gt_u32_e64 s10, s13, v3
	v_cvt_f32_u32_e32 v3, s37
	s_and_b32 s33, vcc_lo, s9
	v_cmp_gt_u32_e64 s9, s13, v0
	v_or_b32_e32 v0, 32, v38
	s_lshl_b32 s23, s13, 2
	v_rcp_iflag_f32_e32 v3, v3
	s_sub_i32 s25, 0, s37
	s_and_b32 s34, vcc_lo, s9
	v_cmp_gt_u32_e64 s9, s13, v0
	v_or_b32_e32 v0, 36, v38
	v_or_b32_e32 v4, 40, v38
	s_and_b32 s35, vcc_lo, s10
	v_mov_b32_e32 v16, v2
	s_and_b32 s36, vcc_lo, s9
	v_cmp_gt_u32_e64 s9, s13, v0
	v_or_b32_e32 v0, 44, v38
	v_cmp_gt_u32_e64 s10, s13, v4
	v_or_b32_e32 v4, 52, v38
	v_mov_b32_e32 v18, v2
	s_and_b32 s38, vcc_lo, s9
	v_cmp_gt_u32_e64 s9, s13, v0
	v_mul_f32_e32 v0, 0x4f7ffffe, v3
	v_or_b32_e32 v3, 48, v38
	s_and_b32 s39, vcc_lo, s10
	v_cmp_gt_u32_e64 s10, s13, v4
	s_and_b32 s40, vcc_lo, s9
	v_cvt_u32_f32_e32 v0, v0
	v_cmp_gt_u32_e64 s9, s13, v3
	v_or_b32_e32 v4, 56, v38
	s_and_b32 s42, vcc_lo, s10
	v_mov_b32_e32 v20, v2
	v_mul_lo_u32 v3, s25, v0
	s_and_b32 s41, vcc_lo, s9
	v_cmp_gt_u32_e64 s9, s13, v4
	s_mov_b32 s25, s24
	v_mov_b32_e32 v22, v2
	v_mov_b32_e32 v24, v2
	;; [unrolled: 1-line block ×4, first 2 shown]
	v_mul_hi_u32 v3, v0, v3
	v_mov_b32_e32 v30, v2
	v_mov_b32_e32 v32, v2
	s_delay_alu instid0(VALU_DEP_3)
	v_dual_mov_b32 v34, v2 :: v_dual_add_nc_u32 v49, v0, v3
	v_mov_b32_e32 v3, s24
	v_mul_lo_u32 v1, v38, s13
	v_or_b32_e32 v33, 60, v38
	v_mov_b32_e32 v4, s25
	s_and_b32 s24, vcc_lo, s9
	s_ashr_i32 s25, s13, 31
	s_delay_alu instid0(VALU_DEP_2) | instskip(NEXT) | instid1(VALU_DEP_4)
	v_cmp_gt_u32_e64 s10, s13, v33
	v_add_nc_u32_e32 v5, s23, v1
	v_lshlrev_b64 v[0:1], 3, v[1:2]
	s_delay_alu instid0(VALU_DEP_3) | instskip(NEXT) | instid1(VALU_DEP_2)
	s_and_b32 s10, vcc_lo, s10
	v_add_nc_u32_e32 v7, s23, v5
	v_lshlrev_b64 v[5:6], 3, v[5:6]
	s_delay_alu instid0(VALU_DEP_2) | instskip(SKIP_1) | instid1(VALU_DEP_2)
	v_add_nc_u32_e32 v9, s23, v7
	v_lshlrev_b64 v[7:8], 3, v[7:8]
	v_add_nc_u32_e32 v11, s23, v9
	v_lshlrev_b64 v[9:10], 3, v[9:10]
	s_delay_alu instid0(VALU_DEP_2) | instskip(SKIP_1) | instid1(VALU_DEP_2)
	v_add_nc_u32_e32 v13, s23, v11
	v_lshlrev_b64 v[11:12], 3, v[11:12]
	;; [unrolled: 5-line block ×7, first 2 shown]
	v_lshlrev_b64 v[33:34], 3, v[33:34]
	s_branch .LBB115_7
.LBB115_6:                              ;   in Loop: Header=BB115_7 Depth=1
	s_or_b32 exec_lo, exec_lo, s23
	s_waitcnt lgkmcnt(0)
	s_barrier
	buffer_gl0_inv
	ds_load_b32 v52, v2
	s_add_i32 s22, s9, s22
	s_waitcnt lgkmcnt(0)
	s_barrier
	buffer_gl0_inv
	v_cmp_gt_i32_e32 vcc_lo, s12, v52
	s_cbranch_vccz .LBB115_65
.LBB115_7:                              ; =>This Loop Header: Depth=1
                                        ;     Child Loop BB115_10 Depth 2
	v_dual_mov_b32 v54, v37 :: v_dual_add_nc_u32 v35, v35, v38
	v_mov_b32_e32 v51, s12
	s_mov_b32 s23, exec_lo
	ds_store_b8 v2, v2 offset:32768
	ds_store_2addr_b64 v48, v[3:4], v[3:4] offset1:4
	ds_store_2addr_b64 v48, v[3:4], v[3:4] offset0:8 offset1:12
	ds_store_2addr_b64 v48, v[3:4], v[3:4] offset0:16 offset1:20
	;; [unrolled: 1-line block ×7, first 2 shown]
	s_waitcnt lgkmcnt(0)
	s_barrier
	buffer_gl0_inv
	v_cmpx_lt_i32_e64 v35, v37
	s_cbranch_execz .LBB115_15
; %bb.8:                                ;   in Loop: Header=BB115_7 Depth=1
	v_mul_lo_u32 v53, v52, s13
	v_dual_mov_b32 v51, s12 :: v_dual_mov_b32 v54, v37
	s_mov_b32 s43, 0
	s_branch .LBB115_10
.LBB115_9:                              ;   in Loop: Header=BB115_10 Depth=2
	s_or_b32 exec_lo, exec_lo, s44
	v_add_nc_u32_e32 v35, 4, v35
	s_xor_b32 s44, vcc_lo, -1
	s_delay_alu instid0(VALU_DEP_1) | instskip(NEXT) | instid1(VALU_DEP_1)
	v_cmp_ge_i32_e64 s9, v35, v37
	s_or_b32 s9, s44, s9
	s_delay_alu instid0(SALU_CYCLE_1) | instskip(NEXT) | instid1(SALU_CYCLE_1)
	s_and_b32 s9, exec_lo, s9
	s_or_b32 s43, s9, s43
	s_delay_alu instid0(SALU_CYCLE_1)
	s_and_not1_b32 exec_lo, exec_lo, s43
	s_cbranch_execz .LBB115_14
.LBB115_10:                             ;   Parent Loop BB115_7 Depth=1
                                        ; =>  This Inner Loop Header: Depth=2
	v_ashrrev_i32_e32 v36, 31, v35
	s_delay_alu instid0(VALU_DEP_1) | instskip(NEXT) | instid1(VALU_DEP_1)
	v_lshlrev_b64 v[55:56], 2, v[35:36]
	v_add_co_u32 v55, vcc_lo, s20, v55
	s_delay_alu instid0(VALU_DEP_2) | instskip(SKIP_3) | instid1(VALU_DEP_1)
	v_add_co_ci_u32_e32 v56, vcc_lo, s21, v56, vcc_lo
	global_load_b32 v55, v[55:56], off
	s_waitcnt vmcnt(0)
	v_subrev_nc_u32_e32 v55, s14, v55
	v_sub_nc_u32_e32 v56, 0, v55
	s_delay_alu instid0(VALU_DEP_1) | instskip(NEXT) | instid1(VALU_DEP_1)
	v_max_i32_e32 v56, v55, v56
	v_mul_hi_u32 v57, v56, v49
	s_delay_alu instid0(VALU_DEP_1) | instskip(NEXT) | instid1(VALU_DEP_1)
	v_mul_lo_u32 v58, v57, s37
	v_sub_nc_u32_e32 v56, v56, v58
	v_add_nc_u32_e32 v58, 1, v57
	s_delay_alu instid0(VALU_DEP_2) | instskip(SKIP_1) | instid1(VALU_DEP_2)
	v_subrev_nc_u32_e32 v59, s37, v56
	v_cmp_le_u32_e32 vcc_lo, s37, v56
	v_dual_cndmask_b32 v57, v57, v58 :: v_dual_cndmask_b32 v56, v56, v59
	v_ashrrev_i32_e32 v58, 31, v55
	s_delay_alu instid0(VALU_DEP_2) | instskip(NEXT) | instid1(VALU_DEP_3)
	v_add_nc_u32_e32 v59, 1, v57
	v_cmp_le_u32_e32 vcc_lo, s37, v56
	s_delay_alu instid0(VALU_DEP_3) | instskip(NEXT) | instid1(VALU_DEP_3)
	v_xor_b32_e32 v58, s25, v58
	v_cndmask_b32_e32 v56, v57, v59, vcc_lo
	s_delay_alu instid0(VALU_DEP_1) | instskip(NEXT) | instid1(VALU_DEP_1)
	v_xor_b32_e32 v56, v56, v58
	v_sub_nc_u32_e32 v57, v56, v58
	v_mov_b32_e32 v56, v54
	s_delay_alu instid0(VALU_DEP_2) | instskip(SKIP_1) | instid1(VALU_DEP_1)
	v_cmp_eq_u32_e32 vcc_lo, v57, v52
	v_cmp_ne_u32_e64 s9, v57, v52
	s_and_saveexec_b32 s44, s9
	s_delay_alu instid0(SALU_CYCLE_1)
	s_xor_b32 s9, exec_lo, s44
; %bb.11:                               ;   in Loop: Header=BB115_10 Depth=2
	v_min_i32_e32 v51, v57, v51
                                        ; implicit-def: $vgpr55
                                        ; implicit-def: $vgpr56
; %bb.12:                               ;   in Loop: Header=BB115_10 Depth=2
	s_or_saveexec_b32 s44, s9
	v_mov_b32_e32 v54, v35
	s_xor_b32 exec_lo, exec_lo, s44
	s_cbranch_execz .LBB115_9
; %bb.13:                               ;   in Loop: Header=BB115_10 Depth=2
	v_lshlrev_b64 v[57:58], 3, v[35:36]
	v_sub_nc_u32_e32 v36, v55, v53
	v_mov_b32_e32 v54, v56
	s_delay_alu instid0(VALU_DEP_2) | instskip(NEXT) | instid1(VALU_DEP_4)
	v_add_lshl_u32 v36, v36, v39, 3
	v_add_co_u32 v57, s9, s18, v57
	s_delay_alu instid0(VALU_DEP_1)
	v_add_co_ci_u32_e64 v58, s9, s19, v58, s9
	global_load_b64 v[57:58], v[57:58], off
	ds_store_b8 v2, v50 offset:32768
	s_waitcnt vmcnt(0)
	ds_store_b64 v36, v[57:58]
	s_branch .LBB115_9
.LBB115_14:                             ;   in Loop: Header=BB115_7 Depth=1
	s_or_b32 exec_lo, exec_lo, s43
.LBB115_15:                             ;   in Loop: Header=BB115_7 Depth=1
	s_delay_alu instid0(SALU_CYCLE_1)
	s_or_b32 exec_lo, exec_lo, s23
	ds_bpermute_b32 v35, v42, v54
	s_waitcnt lgkmcnt(0)
	s_barrier
	buffer_gl0_inv
	ds_load_u8 v53, v2 offset:32768
	s_mov_b32 s9, 0
	v_min_i32_e32 v35, v35, v54
	s_waitcnt lgkmcnt(0)
	v_cmp_eq_u32_e32 vcc_lo, 0, v53
	ds_bpermute_b32 v36, v43, v35
	s_waitcnt lgkmcnt(0)
	v_min_i32_e32 v35, v36, v35
	ds_bpermute_b32 v35, v41, v35
	s_cbranch_vccnz .LBB115_34
; %bb.16:                               ;   in Loop: Header=BB115_7 Depth=1
	s_ashr_i32 s23, s22, 31
	s_mul_hi_u32 s9, s27, s22
	s_lshl_b64 s[44:45], s[22:23], 2
	s_mul_i32 s23, s27, s23
	s_add_u32 s44, s16, s44
	s_addc_u32 s45, s17, s45
	s_add_i32 s9, s9, s23
	s_mul_i32 s23, s26, s22
	s_mul_i32 s46, s27, s22
	s_add_i32 s47, s9, s23
	v_add_nc_u32_e32 v55, s15, v52
	s_lshl_b64 s[46:47], s[46:47], 3
	s_delay_alu instid0(SALU_CYCLE_1)
	v_add_co_u32 v36, vcc_lo, v44, s46
	v_add_co_ci_u32_e32 v52, vcc_lo, s47, v45, vcc_lo
	v_add_co_u32 v53, vcc_lo, v46, s46
	v_add_co_ci_u32_e32 v54, vcc_lo, s47, v47, vcc_lo
	global_store_b32 v2, v55, s[44:45]
	s_and_saveexec_b32 s9, s11
	s_cbranch_execnz .LBB115_50
; %bb.17:                               ;   in Loop: Header=BB115_7 Depth=1
	s_or_b32 exec_lo, exec_lo, s9
	s_and_saveexec_b32 s9, s28
	s_cbranch_execnz .LBB115_51
.LBB115_18:                             ;   in Loop: Header=BB115_7 Depth=1
	s_or_b32 exec_lo, exec_lo, s9
	s_and_saveexec_b32 s9, s29
	s_cbranch_execnz .LBB115_52
.LBB115_19:                             ;   in Loop: Header=BB115_7 Depth=1
	s_or_b32 exec_lo, exec_lo, s9
	s_and_saveexec_b32 s9, s30
	s_cbranch_execnz .LBB115_53
.LBB115_20:                             ;   in Loop: Header=BB115_7 Depth=1
	s_or_b32 exec_lo, exec_lo, s9
	s_and_saveexec_b32 s9, s31
	s_cbranch_execnz .LBB115_54
.LBB115_21:                             ;   in Loop: Header=BB115_7 Depth=1
	s_or_b32 exec_lo, exec_lo, s9
	s_and_saveexec_b32 s9, s33
	s_cbranch_execnz .LBB115_55
.LBB115_22:                             ;   in Loop: Header=BB115_7 Depth=1
	s_or_b32 exec_lo, exec_lo, s9
	s_and_saveexec_b32 s9, s34
	s_cbranch_execnz .LBB115_56
.LBB115_23:                             ;   in Loop: Header=BB115_7 Depth=1
	s_or_b32 exec_lo, exec_lo, s9
	s_and_saveexec_b32 s9, s35
	s_cbranch_execnz .LBB115_57
.LBB115_24:                             ;   in Loop: Header=BB115_7 Depth=1
	s_or_b32 exec_lo, exec_lo, s9
	s_and_saveexec_b32 s9, s36
	s_cbranch_execnz .LBB115_58
.LBB115_25:                             ;   in Loop: Header=BB115_7 Depth=1
	s_or_b32 exec_lo, exec_lo, s9
	s_and_saveexec_b32 s9, s38
	s_cbranch_execnz .LBB115_59
.LBB115_26:                             ;   in Loop: Header=BB115_7 Depth=1
	s_or_b32 exec_lo, exec_lo, s9
	s_and_saveexec_b32 s9, s39
	s_cbranch_execnz .LBB115_60
.LBB115_27:                             ;   in Loop: Header=BB115_7 Depth=1
	s_or_b32 exec_lo, exec_lo, s9
	s_and_saveexec_b32 s9, s40
	s_cbranch_execnz .LBB115_61
.LBB115_28:                             ;   in Loop: Header=BB115_7 Depth=1
	s_or_b32 exec_lo, exec_lo, s9
	s_and_saveexec_b32 s9, s41
	s_cbranch_execnz .LBB115_62
.LBB115_29:                             ;   in Loop: Header=BB115_7 Depth=1
	s_or_b32 exec_lo, exec_lo, s9
	s_and_saveexec_b32 s9, s42
	s_cbranch_execnz .LBB115_63
.LBB115_30:                             ;   in Loop: Header=BB115_7 Depth=1
	s_or_b32 exec_lo, exec_lo, s9
	s_and_saveexec_b32 s9, s24
	s_cbranch_execnz .LBB115_64
.LBB115_31:                             ;   in Loop: Header=BB115_7 Depth=1
	s_or_b32 exec_lo, exec_lo, s9
	s_and_saveexec_b32 s9, s10
	s_cbranch_execz .LBB115_33
.LBB115_32:                             ;   in Loop: Header=BB115_7 Depth=1
	ds_load_b64 v[55:56], v48 offset:480
	v_add_co_u32 v57, vcc_lo, 0x1e0, v53
	v_add_co_ci_u32_e32 v53, vcc_lo, 0, v54, vcc_lo
	v_add_co_u32 v36, vcc_lo, v36, v33
	v_add_co_ci_u32_e32 v52, vcc_lo, v52, v34, vcc_lo
	s_delay_alu instid0(VALU_DEP_1) | instskip(NEXT) | instid1(VALU_DEP_3)
	v_cndmask_b32_e64 v53, v52, v53, s1
	v_cndmask_b32_e64 v52, v36, v57, s1
	s_waitcnt lgkmcnt(0)
	global_store_b64 v[52:53], v[55:56], off
.LBB115_33:                             ;   in Loop: Header=BB115_7 Depth=1
	s_or_b32 exec_lo, exec_lo, s9
	s_mov_b32 s9, 1
.LBB115_34:                             ;   in Loop: Header=BB115_7 Depth=1
	s_waitcnt lgkmcnt(0)
	s_waitcnt_vscnt null, 0x0
	s_barrier
	buffer_gl0_inv
	ds_store_b32 v40, v51
	s_waitcnt lgkmcnt(0)
	s_barrier
	buffer_gl0_inv
	s_and_saveexec_b32 s23, s0
	s_cbranch_execz .LBB115_36
; %bb.35:                               ;   in Loop: Header=BB115_7 Depth=1
	ds_load_2addr_stride64_b32 v[51:52], v40 offset1:2
	s_waitcnt lgkmcnt(0)
	v_min_i32_e32 v36, v52, v51
	ds_store_b32 v40, v36
.LBB115_36:                             ;   in Loop: Header=BB115_7 Depth=1
	s_or_b32 exec_lo, exec_lo, s23
	s_waitcnt lgkmcnt(0)
	s_barrier
	buffer_gl0_inv
	s_and_saveexec_b32 s23, s2
	s_cbranch_execz .LBB115_38
; %bb.37:                               ;   in Loop: Header=BB115_7 Depth=1
	ds_load_2addr_stride64_b32 v[51:52], v40 offset1:1
	s_waitcnt lgkmcnt(0)
	v_min_i32_e32 v36, v52, v51
	ds_store_b32 v40, v36
.LBB115_38:                             ;   in Loop: Header=BB115_7 Depth=1
	s_or_b32 exec_lo, exec_lo, s23
	s_waitcnt lgkmcnt(0)
	s_barrier
	buffer_gl0_inv
	s_and_saveexec_b32 s23, s3
	s_cbranch_execz .LBB115_40
; %bb.39:                               ;   in Loop: Header=BB115_7 Depth=1
	ds_load_2addr_b32 v[51:52], v40 offset1:32
	s_waitcnt lgkmcnt(0)
	v_min_i32_e32 v36, v52, v51
	ds_store_b32 v40, v36
.LBB115_40:                             ;   in Loop: Header=BB115_7 Depth=1
	s_or_b32 exec_lo, exec_lo, s23
	s_waitcnt lgkmcnt(0)
	s_barrier
	buffer_gl0_inv
	s_and_saveexec_b32 s23, s4
	s_cbranch_execz .LBB115_42
; %bb.41:                               ;   in Loop: Header=BB115_7 Depth=1
	ds_load_2addr_b32 v[51:52], v40 offset1:16
	s_waitcnt lgkmcnt(0)
	v_min_i32_e32 v36, v52, v51
	ds_store_b32 v40, v36
.LBB115_42:                             ;   in Loop: Header=BB115_7 Depth=1
	;; [unrolled: 12-line block ×5, first 2 shown]
	s_or_b32 exec_lo, exec_lo, s23
	s_waitcnt lgkmcnt(0)
	s_barrier
	buffer_gl0_inv
	s_and_saveexec_b32 s23, s8
	s_cbranch_execz .LBB115_6
; %bb.49:                               ;   in Loop: Header=BB115_7 Depth=1
	ds_load_b64 v[51:52], v2
	s_waitcnt lgkmcnt(0)
	v_min_i32_e32 v36, v52, v51
	ds_store_b32 v2, v36
	s_branch .LBB115_6
.LBB115_50:                             ;   in Loop: Header=BB115_7 Depth=1
	ds_load_b64 v[55:56], v48
	v_add_co_u32 v57, vcc_lo, v36, v0
	v_add_co_ci_u32_e32 v58, vcc_lo, v52, v1, vcc_lo
	s_delay_alu instid0(VALU_DEP_2) | instskip(NEXT) | instid1(VALU_DEP_2)
	v_cndmask_b32_e64 v57, v57, v53, s1
	v_cndmask_b32_e64 v58, v58, v54, s1
	s_waitcnt lgkmcnt(0)
	global_store_b64 v[57:58], v[55:56], off
	s_or_b32 exec_lo, exec_lo, s9
	s_and_saveexec_b32 s9, s28
	s_cbranch_execz .LBB115_18
.LBB115_51:                             ;   in Loop: Header=BB115_7 Depth=1
	ds_load_b64 v[55:56], v48 offset:32
	v_add_co_u32 v57, vcc_lo, v53, 32
	v_add_co_ci_u32_e32 v58, vcc_lo, 0, v54, vcc_lo
	v_add_co_u32 v59, vcc_lo, v36, v5
	v_add_co_ci_u32_e32 v60, vcc_lo, v52, v6, vcc_lo
	s_delay_alu instid0(VALU_DEP_2) | instskip(NEXT) | instid1(VALU_DEP_2)
	v_cndmask_b32_e64 v57, v59, v57, s1
	v_cndmask_b32_e64 v58, v60, v58, s1
	s_waitcnt lgkmcnt(0)
	global_store_b64 v[57:58], v[55:56], off
	s_or_b32 exec_lo, exec_lo, s9
	s_and_saveexec_b32 s9, s29
	s_cbranch_execz .LBB115_19
.LBB115_52:                             ;   in Loop: Header=BB115_7 Depth=1
	ds_load_b64 v[55:56], v48 offset:64
	v_add_co_u32 v57, vcc_lo, v53, 64
	v_add_co_ci_u32_e32 v58, vcc_lo, 0, v54, vcc_lo
	v_add_co_u32 v59, vcc_lo, v36, v7
	v_add_co_ci_u32_e32 v60, vcc_lo, v52, v8, vcc_lo
	s_delay_alu instid0(VALU_DEP_2) | instskip(NEXT) | instid1(VALU_DEP_2)
	v_cndmask_b32_e64 v57, v59, v57, s1
	v_cndmask_b32_e64 v58, v60, v58, s1
	s_waitcnt lgkmcnt(0)
	global_store_b64 v[57:58], v[55:56], off
	s_or_b32 exec_lo, exec_lo, s9
	s_and_saveexec_b32 s9, s30
	s_cbranch_execz .LBB115_20
.LBB115_53:                             ;   in Loop: Header=BB115_7 Depth=1
	ds_load_b64 v[55:56], v48 offset:96
	v_add_co_u32 v57, vcc_lo, 0x60, v53
	v_add_co_ci_u32_e32 v58, vcc_lo, 0, v54, vcc_lo
	v_add_co_u32 v59, vcc_lo, v36, v9
	v_add_co_ci_u32_e32 v60, vcc_lo, v52, v10, vcc_lo
	s_delay_alu instid0(VALU_DEP_2) | instskip(NEXT) | instid1(VALU_DEP_2)
	v_cndmask_b32_e64 v57, v59, v57, s1
	v_cndmask_b32_e64 v58, v60, v58, s1
	s_waitcnt lgkmcnt(0)
	global_store_b64 v[57:58], v[55:56], off
	s_or_b32 exec_lo, exec_lo, s9
	s_and_saveexec_b32 s9, s31
	s_cbranch_execz .LBB115_21
.LBB115_54:                             ;   in Loop: Header=BB115_7 Depth=1
	ds_load_b64 v[55:56], v48 offset:128
	v_add_co_u32 v57, vcc_lo, 0x80, v53
	v_add_co_ci_u32_e32 v58, vcc_lo, 0, v54, vcc_lo
	v_add_co_u32 v59, vcc_lo, v36, v11
	v_add_co_ci_u32_e32 v60, vcc_lo, v52, v12, vcc_lo
	s_delay_alu instid0(VALU_DEP_2) | instskip(NEXT) | instid1(VALU_DEP_2)
	v_cndmask_b32_e64 v57, v59, v57, s1
	v_cndmask_b32_e64 v58, v60, v58, s1
	s_waitcnt lgkmcnt(0)
	global_store_b64 v[57:58], v[55:56], off
	s_or_b32 exec_lo, exec_lo, s9
	s_and_saveexec_b32 s9, s33
	s_cbranch_execz .LBB115_22
.LBB115_55:                             ;   in Loop: Header=BB115_7 Depth=1
	ds_load_b64 v[55:56], v48 offset:160
	v_add_co_u32 v57, vcc_lo, 0xa0, v53
	v_add_co_ci_u32_e32 v58, vcc_lo, 0, v54, vcc_lo
	v_add_co_u32 v59, vcc_lo, v36, v13
	v_add_co_ci_u32_e32 v60, vcc_lo, v52, v14, vcc_lo
	s_delay_alu instid0(VALU_DEP_2) | instskip(NEXT) | instid1(VALU_DEP_2)
	v_cndmask_b32_e64 v57, v59, v57, s1
	v_cndmask_b32_e64 v58, v60, v58, s1
	s_waitcnt lgkmcnt(0)
	global_store_b64 v[57:58], v[55:56], off
	s_or_b32 exec_lo, exec_lo, s9
	s_and_saveexec_b32 s9, s34
	s_cbranch_execz .LBB115_23
.LBB115_56:                             ;   in Loop: Header=BB115_7 Depth=1
	ds_load_b64 v[55:56], v48 offset:192
	v_add_co_u32 v57, vcc_lo, 0xc0, v53
	v_add_co_ci_u32_e32 v58, vcc_lo, 0, v54, vcc_lo
	v_add_co_u32 v59, vcc_lo, v36, v15
	v_add_co_ci_u32_e32 v60, vcc_lo, v52, v16, vcc_lo
	s_delay_alu instid0(VALU_DEP_2) | instskip(NEXT) | instid1(VALU_DEP_2)
	v_cndmask_b32_e64 v57, v59, v57, s1
	v_cndmask_b32_e64 v58, v60, v58, s1
	s_waitcnt lgkmcnt(0)
	global_store_b64 v[57:58], v[55:56], off
	s_or_b32 exec_lo, exec_lo, s9
	s_and_saveexec_b32 s9, s35
	s_cbranch_execz .LBB115_24
.LBB115_57:                             ;   in Loop: Header=BB115_7 Depth=1
	ds_load_b64 v[55:56], v48 offset:224
	v_add_co_u32 v57, vcc_lo, 0xe0, v53
	v_add_co_ci_u32_e32 v58, vcc_lo, 0, v54, vcc_lo
	v_add_co_u32 v59, vcc_lo, v36, v17
	v_add_co_ci_u32_e32 v60, vcc_lo, v52, v18, vcc_lo
	s_delay_alu instid0(VALU_DEP_2) | instskip(NEXT) | instid1(VALU_DEP_2)
	v_cndmask_b32_e64 v57, v59, v57, s1
	v_cndmask_b32_e64 v58, v60, v58, s1
	s_waitcnt lgkmcnt(0)
	global_store_b64 v[57:58], v[55:56], off
	s_or_b32 exec_lo, exec_lo, s9
	s_and_saveexec_b32 s9, s36
	s_cbranch_execz .LBB115_25
.LBB115_58:                             ;   in Loop: Header=BB115_7 Depth=1
	ds_load_b64 v[55:56], v48 offset:256
	v_add_co_u32 v57, vcc_lo, 0x100, v53
	v_add_co_ci_u32_e32 v58, vcc_lo, 0, v54, vcc_lo
	v_add_co_u32 v59, vcc_lo, v36, v19
	v_add_co_ci_u32_e32 v60, vcc_lo, v52, v20, vcc_lo
	s_delay_alu instid0(VALU_DEP_2) | instskip(NEXT) | instid1(VALU_DEP_2)
	v_cndmask_b32_e64 v57, v59, v57, s1
	v_cndmask_b32_e64 v58, v60, v58, s1
	s_waitcnt lgkmcnt(0)
	global_store_b64 v[57:58], v[55:56], off
	s_or_b32 exec_lo, exec_lo, s9
	s_and_saveexec_b32 s9, s38
	s_cbranch_execz .LBB115_26
.LBB115_59:                             ;   in Loop: Header=BB115_7 Depth=1
	ds_load_b64 v[55:56], v48 offset:288
	v_add_co_u32 v57, vcc_lo, 0x120, v53
	v_add_co_ci_u32_e32 v58, vcc_lo, 0, v54, vcc_lo
	v_add_co_u32 v59, vcc_lo, v36, v21
	v_add_co_ci_u32_e32 v60, vcc_lo, v52, v22, vcc_lo
	s_delay_alu instid0(VALU_DEP_2) | instskip(NEXT) | instid1(VALU_DEP_2)
	v_cndmask_b32_e64 v57, v59, v57, s1
	v_cndmask_b32_e64 v58, v60, v58, s1
	s_waitcnt lgkmcnt(0)
	global_store_b64 v[57:58], v[55:56], off
	s_or_b32 exec_lo, exec_lo, s9
	s_and_saveexec_b32 s9, s39
	s_cbranch_execz .LBB115_27
.LBB115_60:                             ;   in Loop: Header=BB115_7 Depth=1
	ds_load_b64 v[55:56], v48 offset:320
	v_add_co_u32 v57, vcc_lo, 0x140, v53
	v_add_co_ci_u32_e32 v58, vcc_lo, 0, v54, vcc_lo
	v_add_co_u32 v59, vcc_lo, v36, v23
	v_add_co_ci_u32_e32 v60, vcc_lo, v52, v24, vcc_lo
	s_delay_alu instid0(VALU_DEP_2) | instskip(NEXT) | instid1(VALU_DEP_2)
	v_cndmask_b32_e64 v57, v59, v57, s1
	v_cndmask_b32_e64 v58, v60, v58, s1
	s_waitcnt lgkmcnt(0)
	global_store_b64 v[57:58], v[55:56], off
	s_or_b32 exec_lo, exec_lo, s9
	s_and_saveexec_b32 s9, s40
	s_cbranch_execz .LBB115_28
.LBB115_61:                             ;   in Loop: Header=BB115_7 Depth=1
	ds_load_b64 v[55:56], v48 offset:352
	v_add_co_u32 v57, vcc_lo, 0x160, v53
	v_add_co_ci_u32_e32 v58, vcc_lo, 0, v54, vcc_lo
	v_add_co_u32 v59, vcc_lo, v36, v25
	v_add_co_ci_u32_e32 v60, vcc_lo, v52, v26, vcc_lo
	s_delay_alu instid0(VALU_DEP_2) | instskip(NEXT) | instid1(VALU_DEP_2)
	v_cndmask_b32_e64 v57, v59, v57, s1
	v_cndmask_b32_e64 v58, v60, v58, s1
	s_waitcnt lgkmcnt(0)
	global_store_b64 v[57:58], v[55:56], off
	s_or_b32 exec_lo, exec_lo, s9
	s_and_saveexec_b32 s9, s41
	s_cbranch_execz .LBB115_29
.LBB115_62:                             ;   in Loop: Header=BB115_7 Depth=1
	ds_load_b64 v[55:56], v48 offset:384
	v_add_co_u32 v57, vcc_lo, 0x180, v53
	v_add_co_ci_u32_e32 v58, vcc_lo, 0, v54, vcc_lo
	v_add_co_u32 v59, vcc_lo, v36, v27
	v_add_co_ci_u32_e32 v60, vcc_lo, v52, v28, vcc_lo
	s_delay_alu instid0(VALU_DEP_2) | instskip(NEXT) | instid1(VALU_DEP_2)
	v_cndmask_b32_e64 v57, v59, v57, s1
	v_cndmask_b32_e64 v58, v60, v58, s1
	s_waitcnt lgkmcnt(0)
	global_store_b64 v[57:58], v[55:56], off
	s_or_b32 exec_lo, exec_lo, s9
	s_and_saveexec_b32 s9, s42
	s_cbranch_execz .LBB115_30
.LBB115_63:                             ;   in Loop: Header=BB115_7 Depth=1
	ds_load_b64 v[55:56], v48 offset:416
	v_add_co_u32 v57, vcc_lo, 0x1a0, v53
	v_add_co_ci_u32_e32 v58, vcc_lo, 0, v54, vcc_lo
	v_add_co_u32 v59, vcc_lo, v36, v29
	v_add_co_ci_u32_e32 v60, vcc_lo, v52, v30, vcc_lo
	s_delay_alu instid0(VALU_DEP_2) | instskip(NEXT) | instid1(VALU_DEP_2)
	v_cndmask_b32_e64 v57, v59, v57, s1
	v_cndmask_b32_e64 v58, v60, v58, s1
	s_waitcnt lgkmcnt(0)
	global_store_b64 v[57:58], v[55:56], off
	s_or_b32 exec_lo, exec_lo, s9
	s_and_saveexec_b32 s9, s24
	s_cbranch_execz .LBB115_31
.LBB115_64:                             ;   in Loop: Header=BB115_7 Depth=1
	ds_load_b64 v[55:56], v48 offset:448
	v_add_co_u32 v57, vcc_lo, 0x1c0, v53
	v_add_co_ci_u32_e32 v58, vcc_lo, 0, v54, vcc_lo
	v_add_co_u32 v59, vcc_lo, v36, v31
	v_add_co_ci_u32_e32 v60, vcc_lo, v52, v32, vcc_lo
	s_delay_alu instid0(VALU_DEP_2) | instskip(NEXT) | instid1(VALU_DEP_2)
	v_cndmask_b32_e64 v57, v59, v57, s1
	v_cndmask_b32_e64 v58, v60, v58, s1
	s_waitcnt lgkmcnt(0)
	global_store_b64 v[57:58], v[55:56], off
	s_or_b32 exec_lo, exec_lo, s9
	s_and_saveexec_b32 s9, s10
	s_cbranch_execnz .LBB115_32
	s_branch .LBB115_33
.LBB115_65:
	s_endpgm
	.section	.rodata,"a",@progbits
	.p2align	6, 0x0
	.amdhsa_kernel _ZN9rocsparseL38csr2bsr_block_per_row_multipass_kernelILj256ELj64EdiiEEv20rocsparse_direction_T3_S2_S2_S2_S2_21rocsparse_index_base_PKT1_PKT2_PKS2_S3_PS4_PS7_PS2_
		.amdhsa_group_segment_fixed_size 32776
		.amdhsa_private_segment_fixed_size 0
		.amdhsa_kernarg_size 88
		.amdhsa_user_sgpr_count 15
		.amdhsa_user_sgpr_dispatch_ptr 0
		.amdhsa_user_sgpr_queue_ptr 0
		.amdhsa_user_sgpr_kernarg_segment_ptr 1
		.amdhsa_user_sgpr_dispatch_id 0
		.amdhsa_user_sgpr_private_segment_size 0
		.amdhsa_wavefront_size32 1
		.amdhsa_uses_dynamic_stack 0
		.amdhsa_enable_private_segment 0
		.amdhsa_system_sgpr_workgroup_id_x 1
		.amdhsa_system_sgpr_workgroup_id_y 0
		.amdhsa_system_sgpr_workgroup_id_z 0
		.amdhsa_system_sgpr_workgroup_info 0
		.amdhsa_system_vgpr_workitem_id 0
		.amdhsa_next_free_vgpr 61
		.amdhsa_next_free_sgpr 48
		.amdhsa_reserve_vcc 1
		.amdhsa_float_round_mode_32 0
		.amdhsa_float_round_mode_16_64 0
		.amdhsa_float_denorm_mode_32 3
		.amdhsa_float_denorm_mode_16_64 3
		.amdhsa_dx10_clamp 1
		.amdhsa_ieee_mode 1
		.amdhsa_fp16_overflow 0
		.amdhsa_workgroup_processor_mode 1
		.amdhsa_memory_ordered 1
		.amdhsa_forward_progress 0
		.amdhsa_shared_vgpr_count 0
		.amdhsa_exception_fp_ieee_invalid_op 0
		.amdhsa_exception_fp_denorm_src 0
		.amdhsa_exception_fp_ieee_div_zero 0
		.amdhsa_exception_fp_ieee_overflow 0
		.amdhsa_exception_fp_ieee_underflow 0
		.amdhsa_exception_fp_ieee_inexact 0
		.amdhsa_exception_int_div_zero 0
	.end_amdhsa_kernel
	.section	.text._ZN9rocsparseL38csr2bsr_block_per_row_multipass_kernelILj256ELj64EdiiEEv20rocsparse_direction_T3_S2_S2_S2_S2_21rocsparse_index_base_PKT1_PKT2_PKS2_S3_PS4_PS7_PS2_,"axG",@progbits,_ZN9rocsparseL38csr2bsr_block_per_row_multipass_kernelILj256ELj64EdiiEEv20rocsparse_direction_T3_S2_S2_S2_S2_21rocsparse_index_base_PKT1_PKT2_PKS2_S3_PS4_PS7_PS2_,comdat
.Lfunc_end115:
	.size	_ZN9rocsparseL38csr2bsr_block_per_row_multipass_kernelILj256ELj64EdiiEEv20rocsparse_direction_T3_S2_S2_S2_S2_21rocsparse_index_base_PKT1_PKT2_PKS2_S3_PS4_PS7_PS2_, .Lfunc_end115-_ZN9rocsparseL38csr2bsr_block_per_row_multipass_kernelILj256ELj64EdiiEEv20rocsparse_direction_T3_S2_S2_S2_S2_21rocsparse_index_base_PKT1_PKT2_PKS2_S3_PS4_PS7_PS2_
                                        ; -- End function
	.section	.AMDGPU.csdata,"",@progbits
; Kernel info:
; codeLenInByte = 3804
; NumSgprs: 50
; NumVgprs: 61
; ScratchSize: 0
; MemoryBound: 0
; FloatMode: 240
; IeeeMode: 1
; LDSByteSize: 32776 bytes/workgroup (compile time only)
; SGPRBlocks: 6
; VGPRBlocks: 7
; NumSGPRsForWavesPerEU: 50
; NumVGPRsForWavesPerEU: 61
; Occupancy: 6
; WaveLimiterHint : 0
; COMPUTE_PGM_RSRC2:SCRATCH_EN: 0
; COMPUTE_PGM_RSRC2:USER_SGPR: 15
; COMPUTE_PGM_RSRC2:TRAP_HANDLER: 0
; COMPUTE_PGM_RSRC2:TGID_X_EN: 1
; COMPUTE_PGM_RSRC2:TGID_Y_EN: 0
; COMPUTE_PGM_RSRC2:TGID_Z_EN: 0
; COMPUTE_PGM_RSRC2:TIDIG_COMP_CNT: 0
	.section	.text._ZN9rocsparseL21csr2bsr_65_inf_kernelILj32EdiiEEv20rocsparse_direction_T2_S2_S2_S2_S2_S2_21rocsparse_index_base_PKT0_PKT1_PKS2_S3_PS4_PS7_PS2_SD_SE_SC_,"axG",@progbits,_ZN9rocsparseL21csr2bsr_65_inf_kernelILj32EdiiEEv20rocsparse_direction_T2_S2_S2_S2_S2_S2_21rocsparse_index_base_PKT0_PKT1_PKS2_S3_PS4_PS7_PS2_SD_SE_SC_,comdat
	.globl	_ZN9rocsparseL21csr2bsr_65_inf_kernelILj32EdiiEEv20rocsparse_direction_T2_S2_S2_S2_S2_S2_21rocsparse_index_base_PKT0_PKT1_PKS2_S3_PS4_PS7_PS2_SD_SE_SC_ ; -- Begin function _ZN9rocsparseL21csr2bsr_65_inf_kernelILj32EdiiEEv20rocsparse_direction_T2_S2_S2_S2_S2_S2_21rocsparse_index_base_PKT0_PKT1_PKS2_S3_PS4_PS7_PS2_SD_SE_SC_
	.p2align	8
	.type	_ZN9rocsparseL21csr2bsr_65_inf_kernelILj32EdiiEEv20rocsparse_direction_T2_S2_S2_S2_S2_S2_21rocsparse_index_base_PKT0_PKT1_PKS2_S3_PS4_PS7_PS2_SD_SE_SC_,@function
_ZN9rocsparseL21csr2bsr_65_inf_kernelILj32EdiiEEv20rocsparse_direction_T2_S2_S2_S2_S2_S2_21rocsparse_index_base_PKT0_PKT1_PKS2_S3_PS4_PS7_PS2_SD_SE_SC_: ; @_ZN9rocsparseL21csr2bsr_65_inf_kernelILj32EdiiEEv20rocsparse_direction_T2_S2_S2_S2_S2_S2_21rocsparse_index_base_PKT0_PKT1_PKS2_S3_PS4_PS7_PS2_SD_SE_SC_
; %bb.0:
	s_clause 0x2
	s_load_b128 s[4:7], s[0:1], 0x0
	s_load_b64 s[2:3], s[0:1], 0x58
	s_load_b32 s26, s[0:1], 0x38
	s_mov_b32 s22, s15
	s_mov_b32 s25, 0
	s_waitcnt lgkmcnt(0)
	s_cmp_ge_i32 s15, s7
	s_mov_b32 s7, 0
	s_cbranch_scc1 .LBB116_2
; %bb.1:
	s_load_b64 s[8:9], s[0:1], 0x48
	s_ashr_i32 s23, s22, 31
	s_delay_alu instid0(SALU_CYCLE_1)
	s_lshl_b64 s[10:11], s[22:23], 2
	s_waitcnt lgkmcnt(0)
	s_add_u32 s8, s8, s10
	s_addc_u32 s9, s9, s11
	s_load_b32 s7, s[8:9], 0x0
	s_waitcnt lgkmcnt(0)
	s_sub_i32 s7, s7, s26
.LBB116_2:
	s_load_b128 s[8:11], s[0:1], 0x14
	s_waitcnt lgkmcnt(0)
	v_mul_lo_u32 v3, v0, s9
	s_mul_i32 s11, s22, s9
	s_delay_alu instid0(SALU_CYCLE_1) | instskip(NEXT) | instid1(SALU_CYCLE_1)
	s_lshl_b32 s24, s11, 6
	s_lshl_b64 s[12:13], s[24:25], 2
	s_delay_alu instid0(SALU_CYCLE_1) | instskip(NEXT) | instid1(VALU_DEP_1)
	s_add_u32 s27, s2, s12
	v_ashrrev_i32_e32 v4, 31, v3
	s_addc_u32 s28, s3, s13
	s_lshl_b32 s24, s9, 5
	s_cmp_gt_i32 s9, 0
	s_cselect_b32 s11, -1, 0
	v_lshlrev_b64 v[6:7], 2, v[3:4]
	s_cmp_lt_i32 s9, 1
	s_delay_alu instid0(VALU_DEP_1) | instskip(NEXT) | instid1(VALU_DEP_2)
	v_add_co_u32 v1, vcc_lo, s27, v6
	v_add_co_ci_u32_e32 v2, vcc_lo, s28, v7, vcc_lo
	s_cbranch_scc1 .LBB116_7
; %bb.3:
	s_load_b64 s[12:13], s[0:1], 0x28
	v_dual_mov_b32 v5, 0 :: v_dual_mov_b32 v14, v0
	s_delay_alu instid0(VALU_DEP_2)
	v_dual_mov_b32 v9, v2 :: v_dual_mov_b32 v8, v1
	s_mul_i32 s16, s22, s8
	s_lshl_b64 s[14:15], s[24:25], 2
	s_mov_b32 s17, s9
	s_set_inst_prefetch_distance 0x1
	s_branch .LBB116_5
	.p2align	6
.LBB116_4:                              ;   in Loop: Header=BB116_5 Depth=1
	s_or_b32 exec_lo, exec_lo, s2
	v_add_co_u32 v8, vcc_lo, v8, 4
	v_add_co_ci_u32_e32 v9, vcc_lo, 0, v9, vcc_lo
	v_add_nc_u32_e32 v14, 32, v14
	s_add_i32 s17, s17, -1
	s_delay_alu instid0(SALU_CYCLE_1)
	s_cmp_eq_u32 s17, 0
	s_cbranch_scc1 .LBB116_7
.LBB116_5:                              ; =>This Inner Loop Header: Depth=1
	s_delay_alu instid0(VALU_DEP_1) | instskip(SKIP_2) | instid1(VALU_DEP_1)
	v_add_nc_u32_e32 v12, s16, v14
	v_cmp_gt_u32_e32 vcc_lo, s8, v14
	v_add_co_u32 v10, s3, v8, s14
	v_add_co_ci_u32_e64 v11, s3, s15, v9, s3
	s_delay_alu instid0(VALU_DEP_4) | instskip(SKIP_4) | instid1(SALU_CYCLE_1)
	v_cmp_gt_i32_e64 s2, s5, v12
	s_clause 0x1
	global_store_b32 v[8:9], v5, off
	global_store_b32 v[10:11], v5, off
	s_and_b32 s3, vcc_lo, s2
	s_and_saveexec_b32 s2, s3
	s_cbranch_execz .LBB116_4
; %bb.6:                                ;   in Loop: Header=BB116_5 Depth=1
	v_ashrrev_i32_e32 v13, 31, v12
	s_delay_alu instid0(VALU_DEP_1) | instskip(SKIP_1) | instid1(VALU_DEP_1)
	v_lshlrev_b64 v[12:13], 2, v[12:13]
	s_waitcnt lgkmcnt(0)
	v_add_co_u32 v12, vcc_lo, s12, v12
	s_delay_alu instid0(VALU_DEP_2)
	v_add_co_ci_u32_e32 v13, vcc_lo, s13, v13, vcc_lo
	global_load_b64 v[12:13], v[12:13], off
	s_waitcnt vmcnt(0)
	v_subrev_nc_u32_e32 v12, s10, v12
	v_subrev_nc_u32_e32 v13, s10, v13
	s_clause 0x1
	global_store_b32 v[8:9], v12, off
	global_store_b32 v[10:11], v13, off
	s_branch .LBB116_4
.LBB116_7:
	s_set_inst_prefetch_distance 0x2
	s_cmp_lt_i32 s6, 1
	s_cbranch_scc1 .LBB116_37
; %bb.8:
	s_waitcnt lgkmcnt(0)
	s_clause 0x4
	s_load_b128 s[12:15], s[0:1], 0x60
	s_load_b64 s[2:3], s[0:1], 0x20
	s_load_b64 s[16:17], s[0:1], 0x50
	;; [unrolled: 1-line block ×4, first 2 shown]
	s_lshl_b64 s[30:31], s[24:25], 2
	s_mul_i32 s22, s24, s22
	s_mov_b32 s23, 0
	s_add_u32 s1, s27, s30
	s_addc_u32 s27, s28, s31
	s_lshl_b64 s[24:25], s[22:23], 2
	v_lshlrev_b64 v[8:9], 3, v[3:4]
	v_mbcnt_lo_u32_b32 v4, -1, 0
	v_add_co_u32 v24, vcc_lo, s1, v6
	v_add_co_ci_u32_e32 v25, vcc_lo, s27, v7, vcc_lo
	s_delay_alu instid0(VALU_DEP_3)
	v_xor_b32_e32 v11, 16, v4
	v_xor_b32_e32 v12, 8, v4
	;; [unrolled: 1-line block ×3, first 2 shown]
	s_waitcnt lgkmcnt(0)
	s_add_u32 s24, s12, s24
	s_addc_u32 s25, s13, s25
	s_lshl_b64 s[12:13], s[22:23], 3
	v_cmp_gt_i32_e32 vcc_lo, 32, v11
	s_add_u32 s14, s14, s12
	s_addc_u32 s15, s15, s13
	s_cmp_lg_u32 s4, 0
	v_xor_b32_e32 v14, 2, v4
	s_cselect_b32 s12, -1, 0
	s_abs_i32 s13, s8
	v_xor_b32_e32 v15, 1, v4
	v_cvt_f32_u32_e32 v10, s13
	s_sub_i32 s1, 0, s13
	v_mul_lo_u32 v23, v0, s8
	v_cmp_eq_u32_e64 s0, 31, v0
	v_dual_mov_b32 v22, 0x7c :: v_dual_mov_b32 v3, 0
	v_rcp_iflag_f32_e32 v10, v10
	v_dual_mov_b32 v5, 0 :: v_dual_mov_b32 v34, 0
	s_mul_hi_i32 s5, s8, s8
	s_mul_i32 s4, s8, s8
	v_cndmask_b32_e32 v11, v4, v11, vcc_lo
	v_cmp_gt_i32_e32 vcc_lo, 32, v12
	v_dual_mov_b32 v33, 0 :: v_dual_mov_b32 v32, 0
	s_waitcnt_depctr 0xfff
	v_mul_f32_e32 v10, 0x4f7ffffe, v10
	v_cndmask_b32_e32 v12, v4, v12, vcc_lo
	v_cmp_gt_i32_e32 vcc_lo, 32, v13
	v_lshlrev_b32_e32 v26, 2, v11
	s_delay_alu instid0(VALU_DEP_4) | instskip(SKIP_2) | instid1(VALU_DEP_3)
	v_cvt_u32_f32_e32 v10, v10
	v_cndmask_b32_e32 v13, v4, v13, vcc_lo
	v_cmp_gt_i32_e32 vcc_lo, 32, v14
	v_mul_lo_u32 v16, s1, v10
	s_delay_alu instid0(VALU_DEP_3) | instskip(SKIP_2) | instid1(VALU_DEP_2)
	v_lshlrev_b32_e32 v28, 2, v13
	v_cndmask_b32_e32 v14, v4, v14, vcc_lo
	v_cmp_gt_i32_e32 vcc_lo, 32, v15
	v_lshlrev_b32_e32 v29, 2, v14
	v_dual_cndmask_b32 v4, v4, v15 :: v_dual_lshlrev_b32 v27, 2, v12
	v_add_co_u32 v6, vcc_lo, s24, v6
	v_add_co_ci_u32_e32 v7, vcc_lo, s25, v7, vcc_lo
	s_delay_alu instid0(VALU_DEP_3)
	v_lshlrev_b32_e32 v30, 2, v4
	v_mul_hi_u32 v4, v10, v16
	v_add_co_u32 v8, vcc_lo, s14, v8
	v_add_co_ci_u32_e32 v9, vcc_lo, s15, v9, vcc_lo
	s_add_i32 s14, s7, -1
	s_ashr_i32 s15, s8, 31
	s_lshl_b32 s24, s8, 5
	s_delay_alu instid0(VALU_DEP_3)
	v_add_nc_u32_e32 v31, v10, v4
	s_mov_b32 s25, 0
	s_branch .LBB116_10
.LBB116_9:                              ;   in Loop: Header=BB116_10 Depth=1
	s_waitcnt lgkmcnt(1)
	v_add_nc_u32_e32 v34, 1, v34
	s_delay_alu instid0(VALU_DEP_1) | instskip(SKIP_1) | instid1(SALU_CYCLE_1)
	v_cmp_le_i32_e32 vcc_lo, s6, v34
	s_or_b32 s25, vcc_lo, s25
	s_and_not1_b32 exec_lo, exec_lo, s25
	s_cbranch_execz .LBB116_37
.LBB116_10:                             ; =>This Loop Header: Depth=1
                                        ;     Child Loop BB116_14 Depth 2
                                        ;       Child Loop BB116_17 Depth 3
                                        ;     Child Loop BB116_31 Depth 2
	v_mov_b32_e32 v35, s6
	s_and_not1_b32 vcc_lo, exec_lo, s11
	s_cbranch_vccnz .LBB116_23
; %bb.11:                               ;   in Loop: Header=BB116_10 Depth=1
	v_mov_b32_e32 v35, s6
	s_mov_b32 s22, 0
	s_branch .LBB116_14
.LBB116_12:                             ;   in Loop: Header=BB116_14 Depth=2
	s_or_b32 exec_lo, exec_lo, s1
.LBB116_13:                             ;   in Loop: Header=BB116_14 Depth=2
	s_delay_alu instid0(SALU_CYCLE_1) | instskip(SKIP_1) | instid1(SALU_CYCLE_1)
	s_or_b32 exec_lo, exec_lo, s27
	s_add_i32 s22, s22, 1
	s_cmp_eq_u32 s22, s9
	s_cbranch_scc1 .LBB116_23
.LBB116_14:                             ;   Parent Loop BB116_10 Depth=1
                                        ; =>  This Loop Header: Depth=2
                                        ;       Child Loop BB116_17 Depth 3
	s_lshl_b64 s[28:29], s[22:23], 2
	s_lshl_b64 s[30:31], s[22:23], 3
	v_add_co_u32 v10, vcc_lo, v1, s28
	v_add_co_ci_u32_e32 v11, vcc_lo, s29, v2, vcc_lo
	v_add_co_u32 v12, vcc_lo, v24, s28
	v_add_co_ci_u32_e32 v13, vcc_lo, s29, v25, vcc_lo
	v_mov_b32_e32 v4, v3
	s_clause 0x1
	global_load_b32 v18, v[10:11], off
	global_load_b32 v36, v[12:13], off
	v_add_co_u32 v12, vcc_lo, v8, s30
	v_add_co_ci_u32_e32 v13, vcc_lo, s31, v9, vcc_lo
	v_add_co_u32 v14, vcc_lo, v6, s28
	v_add_co_ci_u32_e32 v15, vcc_lo, s29, v7, vcc_lo
	v_mov_b32_e32 v16, s6
	s_mov_b32 s27, exec_lo
	global_store_b64 v[12:13], v[3:4], off
	global_store_b32 v[14:15], v16, off
	s_waitcnt vmcnt(0)
	v_cmpx_lt_i32_e64 v18, v36
	s_cbranch_execz .LBB116_13
; %bb.15:                               ;   in Loop: Header=BB116_14 Depth=2
	v_ashrrev_i32_e32 v19, 31, v18
	s_mov_b32 s28, 0
                                        ; implicit-def: $sgpr29
                                        ; implicit-def: $sgpr31
                                        ; implicit-def: $sgpr30
	s_delay_alu instid0(VALU_DEP_1) | instskip(NEXT) | instid1(VALU_DEP_1)
	v_lshlrev_b64 v[16:17], 2, v[18:19]
	v_add_co_u32 v20, vcc_lo, s20, v16
	s_delay_alu instid0(VALU_DEP_2)
	v_add_co_ci_u32_e32 v21, vcc_lo, s21, v17, vcc_lo
	s_set_inst_prefetch_distance 0x1
	s_branch .LBB116_17
	.p2align	6
.LBB116_16:                             ;   in Loop: Header=BB116_17 Depth=3
	s_or_b32 exec_lo, exec_lo, s33
	s_delay_alu instid0(SALU_CYCLE_1) | instskip(NEXT) | instid1(SALU_CYCLE_1)
	s_and_b32 s1, exec_lo, s31
	s_or_b32 s28, s1, s28
	s_and_not1_b32 s1, s29, exec_lo
	s_and_b32 s29, s30, exec_lo
	s_delay_alu instid0(SALU_CYCLE_1)
	s_or_b32 s29, s1, s29
	s_and_not1_b32 exec_lo, exec_lo, s28
	s_cbranch_execz .LBB116_19
.LBB116_17:                             ;   Parent Loop BB116_10 Depth=1
                                        ;     Parent Loop BB116_14 Depth=2
                                        ; =>    This Inner Loop Header: Depth=3
	global_load_b32 v4, v[20:21], off
	v_dual_mov_b32 v16, v18 :: v_dual_mov_b32 v17, v19
	s_or_b32 s30, s30, exec_lo
	s_or_b32 s31, s31, exec_lo
	s_mov_b32 s33, exec_lo
                                        ; implicit-def: $vgpr18_vgpr19
	s_waitcnt vmcnt(0)
	v_subrev_nc_u32_e32 v4, s10, v4
	s_delay_alu instid0(VALU_DEP_1)
	v_cmpx_lt_i32_e64 v4, v34
	s_cbranch_execz .LBB116_16
; %bb.18:                               ;   in Loop: Header=BB116_17 Depth=3
	v_add_co_u32 v18, vcc_lo, v16, 1
	v_add_co_ci_u32_e32 v19, vcc_lo, 0, v17, vcc_lo
	v_add_co_u32 v20, s1, v20, 4
	s_delay_alu instid0(VALU_DEP_3) | instskip(SKIP_4) | instid1(SALU_CYCLE_1)
	v_cmp_ge_i32_e32 vcc_lo, v18, v36
	v_add_co_ci_u32_e64 v21, s1, 0, v21, s1
	s_and_not1_b32 s1, s31, exec_lo
	s_and_not1_b32 s30, s30, exec_lo
	s_and_b32 s31, vcc_lo, exec_lo
	s_or_b32 s31, s1, s31
	s_branch .LBB116_16
.LBB116_19:                             ;   in Loop: Header=BB116_14 Depth=2
	s_set_inst_prefetch_distance 0x2
	s_or_b32 exec_lo, exec_lo, s28
	v_lshlrev_b64 v[17:18], 3, v[16:17]
	s_xor_b32 s1, s29, -1
	s_delay_alu instid0(SALU_CYCLE_1) | instskip(NEXT) | instid1(SALU_CYCLE_1)
	s_and_saveexec_b32 s28, s1
	s_xor_b32 s1, exec_lo, s28
	s_cbranch_execz .LBB116_21
; %bb.20:                               ;   in Loop: Header=BB116_14 Depth=2
	s_delay_alu instid0(VALU_DEP_1)
	v_add_co_u32 v10, vcc_lo, s2, v17
	v_add_co_ci_u32_e32 v11, vcc_lo, s3, v18, vcc_lo
                                        ; implicit-def: $vgpr17_vgpr18
	global_load_b64 v[10:11], v[10:11], off
	s_waitcnt vmcnt(0)
	global_store_b64 v[12:13], v[10:11], off
	global_store_b32 v[14:15], v4, off
                                        ; implicit-def: $vgpr12_vgpr13
                                        ; implicit-def: $vgpr14_vgpr15
                                        ; implicit-def: $vgpr10_vgpr11
.LBB116_21:                             ;   in Loop: Header=BB116_14 Depth=2
	s_and_not1_saveexec_b32 s1, s1
	s_cbranch_execz .LBB116_12
; %bb.22:                               ;   in Loop: Header=BB116_14 Depth=2
	v_add_co_u32 v17, vcc_lo, s2, v17
	v_add_co_ci_u32_e32 v18, vcc_lo, s3, v18, vcc_lo
	v_min_i32_e32 v35, v4, v35
	global_load_b64 v[17:18], v[17:18], off
	global_store_b32 v[14:15], v4, off
	s_waitcnt vmcnt(0)
	global_store_b64 v[12:13], v[17:18], off
	global_store_b32 v[10:11], v16, off
	s_branch .LBB116_12
.LBB116_23:                             ;   in Loop: Header=BB116_10 Depth=1
	ds_bpermute_b32 v4, v26, v35
	s_waitcnt lgkmcnt(0)
	v_min_i32_e32 v4, v4, v35
	ds_bpermute_b32 v10, v27, v4
	s_waitcnt lgkmcnt(0)
	v_min_i32_e32 v4, v10, v4
	;; [unrolled: 3-line block ×5, first 2 shown]
	s_delay_alu instid0(VALU_DEP_1) | instskip(SKIP_1) | instid1(SALU_CYCLE_1)
	v_cmp_gt_i32_e32 vcc_lo, s6, v4
	s_and_b32 s22, s0, vcc_lo
	s_and_saveexec_b32 s1, s22
	s_cbranch_execz .LBB116_27
; %bb.24:                               ;   in Loop: Header=BB116_10 Depth=1
	v_sub_nc_u32_e32 v10, 0, v4
	s_mov_b32 s22, exec_lo
	s_delay_alu instid0(VALU_DEP_1) | instskip(NEXT) | instid1(VALU_DEP_1)
	v_max_i32_e32 v10, v4, v10
	v_mul_hi_u32 v11, v10, v31
	s_delay_alu instid0(VALU_DEP_1) | instskip(NEXT) | instid1(VALU_DEP_1)
	v_mul_lo_u32 v12, v11, s13
	v_sub_nc_u32_e32 v10, v10, v12
	v_add_nc_u32_e32 v12, 1, v11
	s_delay_alu instid0(VALU_DEP_2) | instskip(SKIP_1) | instid1(VALU_DEP_2)
	v_subrev_nc_u32_e32 v13, s13, v10
	v_cmp_le_u32_e32 vcc_lo, s13, v10
	v_dual_cndmask_b32 v11, v11, v12 :: v_dual_cndmask_b32 v10, v10, v13
	v_ashrrev_i32_e32 v12, 31, v4
	s_delay_alu instid0(VALU_DEP_2) | instskip(NEXT) | instid1(VALU_DEP_3)
	v_add_nc_u32_e32 v13, 1, v11
	v_cmp_le_u32_e32 vcc_lo, s13, v10
	s_delay_alu instid0(VALU_DEP_3) | instskip(NEXT) | instid1(VALU_DEP_3)
	v_xor_b32_e32 v12, s15, v12
	v_cndmask_b32_e32 v10, v11, v13, vcc_lo
	s_delay_alu instid0(VALU_DEP_1) | instskip(NEXT) | instid1(VALU_DEP_1)
	v_xor_b32_e32 v10, v10, v12
	v_sub_nc_u32_e32 v10, v10, v12
	s_delay_alu instid0(VALU_DEP_1)
	v_cmpx_ge_i32_e64 v10, v32
	s_cbranch_execz .LBB116_26
; %bb.25:                               ;   in Loop: Header=BB116_10 Depth=1
	v_add_nc_u32_e32 v11, s7, v33
	v_add_nc_u32_e32 v32, 1, v10
	;; [unrolled: 1-line block ×4, first 2 shown]
	s_delay_alu instid0(VALU_DEP_4) | instskip(NEXT) | instid1(VALU_DEP_1)
	v_ashrrev_i32_e32 v12, 31, v11
	v_lshlrev_b64 v[11:12], 2, v[11:12]
	s_delay_alu instid0(VALU_DEP_1) | instskip(NEXT) | instid1(VALU_DEP_2)
	v_add_co_u32 v11, vcc_lo, s16, v11
	v_add_co_ci_u32_e32 v12, vcc_lo, s17, v12, vcc_lo
	global_store_b32 v[11:12], v10, off
.LBB116_26:                             ;   in Loop: Header=BB116_10 Depth=1
	s_or_b32 exec_lo, exec_lo, s22
.LBB116_27:                             ;   in Loop: Header=BB116_10 Depth=1
	s_delay_alu instid0(SALU_CYCLE_1)
	s_or_b32 exec_lo, exec_lo, s1
	ds_bpermute_b32 v34, v22, v4
	ds_bpermute_b32 v33, v22, v33
	s_and_not1_b32 vcc_lo, exec_lo, s11
	s_cbranch_vccnz .LBB116_9
; %bb.28:                               ;   in Loop: Header=BB116_10 Depth=1
	s_waitcnt lgkmcnt(1)
	v_sub_nc_u32_e32 v4, 0, v34
	s_mov_b32 s1, s9
	s_delay_alu instid0(VALU_DEP_1) | instskip(NEXT) | instid1(VALU_DEP_1)
	v_max_i32_e32 v4, v34, v4
	v_mul_hi_u32 v12, v4, v31
	s_delay_alu instid0(VALU_DEP_1) | instskip(SKIP_1) | instid1(VALU_DEP_2)
	v_mul_lo_u32 v10, v12, s13
	v_add_nc_u32_e32 v16, 1, v12
	v_sub_nc_u32_e32 v4, v4, v10
	s_delay_alu instid0(VALU_DEP_1) | instskip(SKIP_1) | instid1(VALU_DEP_3)
	v_cmp_le_u32_e32 vcc_lo, s13, v4
	s_waitcnt lgkmcnt(0)
	v_dual_cndmask_b32 v12, v12, v16 :: v_dual_add_nc_u32 v13, s14, v33
	s_delay_alu instid0(VALU_DEP_1) | instskip(SKIP_3) | instid1(VALU_DEP_4)
	v_ashrrev_i32_e32 v14, 31, v13
	v_mul_lo_u32 v15, s5, v13
	v_mad_u64_u32 v[10:11], null, s4, v13, 0
	v_ashrrev_i32_e32 v16, 31, v34
	v_mul_lo_u32 v13, s4, v14
	v_subrev_nc_u32_e32 v14, s13, v4
	s_delay_alu instid0(VALU_DEP_3) | instskip(NEXT) | instid1(VALU_DEP_2)
	v_xor_b32_e32 v17, s15, v16
	v_cndmask_b32_e32 v4, v4, v14, vcc_lo
	v_add_nc_u32_e32 v14, 1, v12
	v_add3_u32 v11, v11, v13, v15
	s_delay_alu instid0(VALU_DEP_3) | instskip(NEXT) | instid1(VALU_DEP_2)
	v_cmp_le_u32_e32 vcc_lo, s13, v4
	v_lshlrev_b64 v[15:16], 3, v[10:11]
	v_dual_mov_b32 v11, v9 :: v_dual_mov_b32 v10, v8
	v_dual_cndmask_b32 v4, v12, v14 :: v_dual_mov_b32 v13, v7
	v_mov_b32_e32 v12, v6
	s_delay_alu instid0(VALU_DEP_4) | instskip(NEXT) | instid1(VALU_DEP_3)
	v_add_co_u32 v35, vcc_lo, s18, v15
	v_xor_b32_e32 v4, v4, v17
	v_mov_b32_e32 v14, v0
	v_add_co_ci_u32_e32 v36, vcc_lo, s19, v16, vcc_lo
	s_delay_alu instid0(VALU_DEP_3)
	v_sub_nc_u32_e32 v37, v4, v17
	v_mov_b32_e32 v4, v23
	s_branch .LBB116_31
.LBB116_29:                             ;   in Loop: Header=BB116_31 Depth=2
	s_delay_alu instid0(VALU_DEP_1) | instskip(NEXT) | instid1(VALU_DEP_2)
	v_lshlrev_b64 v[18:19], 3, v[18:19]
	v_lshlrev_b64 v[20:21], 3, v[20:21]
	s_delay_alu instid0(VALU_DEP_2) | instskip(NEXT) | instid1(VALU_DEP_3)
	v_add_co_u32 v15, vcc_lo, v35, v18
	v_add_co_ci_u32_e32 v19, vcc_lo, v36, v19, vcc_lo
	s_delay_alu instid0(VALU_DEP_2) | instskip(NEXT) | instid1(VALU_DEP_2)
	v_add_co_u32 v18, vcc_lo, v15, v20
	v_add_co_ci_u32_e32 v19, vcc_lo, v19, v21, vcc_lo
	s_waitcnt vmcnt(0)
	global_store_b64 v[18:19], v[16:17], off
.LBB116_30:                             ;   in Loop: Header=BB116_31 Depth=2
	s_or_b32 exec_lo, exec_lo, s22
	v_add_co_u32 v12, vcc_lo, v12, 4
	v_add_co_ci_u32_e32 v13, vcc_lo, 0, v13, vcc_lo
	v_add_co_u32 v10, vcc_lo, v10, 8
	v_add_nc_u32_e32 v4, s24, v4
	v_add_nc_u32_e32 v14, 32, v14
	v_add_co_ci_u32_e32 v11, vcc_lo, 0, v11, vcc_lo
	s_add_i32 s1, s1, -1
	s_delay_alu instid0(SALU_CYCLE_1)
	s_cmp_eq_u32 s1, 0
	s_cbranch_scc1 .LBB116_9
.LBB116_31:                             ;   Parent Loop BB116_10 Depth=1
                                        ; =>  This Inner Loop Header: Depth=2
	global_load_b32 v15, v[12:13], off
	s_mov_b32 s22, exec_lo
	s_waitcnt vmcnt(0)
	v_cmpx_gt_i32_e64 s6, v15
	s_cbranch_execz .LBB116_30
; %bb.32:                               ;   in Loop: Header=BB116_31 Depth=2
	v_sub_nc_u32_e32 v16, 0, v15
	v_ashrrev_i32_e32 v39, 31, v15
	s_delay_alu instid0(VALU_DEP_2) | instskip(NEXT) | instid1(VALU_DEP_2)
	v_max_i32_e32 v16, v15, v16
	v_xor_b32_e32 v19, s15, v39
	s_delay_alu instid0(VALU_DEP_2) | instskip(NEXT) | instid1(VALU_DEP_1)
	v_mul_hi_u32 v17, v16, v31
	v_mul_lo_u32 v18, v17, s13
	s_delay_alu instid0(VALU_DEP_1) | instskip(NEXT) | instid1(VALU_DEP_1)
	v_sub_nc_u32_e32 v38, v16, v18
	v_subrev_nc_u32_e32 v40, s13, v38
	v_cmp_le_u32_e32 vcc_lo, s13, v38
	v_add_nc_u32_e32 v16, 1, v17
	s_delay_alu instid0(VALU_DEP_1) | instskip(NEXT) | instid1(VALU_DEP_4)
	v_cndmask_b32_e32 v16, v17, v16, vcc_lo
	v_cndmask_b32_e32 v17, v38, v40, vcc_lo
	s_delay_alu instid0(VALU_DEP_2) | instskip(NEXT) | instid1(VALU_DEP_2)
	v_add_nc_u32_e32 v18, 1, v16
	v_cmp_le_u32_e32 vcc_lo, s13, v17
	s_delay_alu instid0(VALU_DEP_2) | instskip(NEXT) | instid1(VALU_DEP_1)
	v_cndmask_b32_e32 v16, v16, v18, vcc_lo
	v_xor_b32_e32 v16, v16, v19
	s_delay_alu instid0(VALU_DEP_1) | instskip(NEXT) | instid1(VALU_DEP_1)
	v_sub_nc_u32_e32 v16, v16, v19
	v_cmp_eq_u32_e32 vcc_lo, v16, v37
	s_and_b32 exec_lo, exec_lo, vcc_lo
	s_cbranch_execz .LBB116_30
; %bb.33:                               ;   in Loop: Header=BB116_31 Depth=2
	global_load_b64 v[16:17], v[10:11], off
	s_and_b32 vcc_lo, exec_lo, s12
	s_cbranch_vccz .LBB116_35
; %bb.34:                               ;   in Loop: Header=BB116_31 Depth=2
	v_mul_lo_u32 v18, v37, s8
	s_delay_alu instid0(VALU_DEP_1) | instskip(NEXT) | instid1(VALU_DEP_1)
	v_sub_nc_u32_e32 v15, v15, v18
	v_mul_lo_u32 v18, v15, s8
	v_mov_b32_e32 v15, v3
	s_delay_alu instid0(VALU_DEP_1) | instskip(NEXT) | instid1(VALU_DEP_3)
	v_dual_mov_b32 v21, v15 :: v_dual_mov_b32 v20, v14
	v_ashrrev_i32_e32 v19, 31, v18
	s_cbranch_execnz .LBB116_29
	s_branch .LBB116_36
.LBB116_35:                             ;   in Loop: Header=BB116_31 Depth=2
                                        ; implicit-def: $vgpr20_vgpr21
                                        ; implicit-def: $vgpr18_vgpr19
.LBB116_36:                             ;   in Loop: Header=BB116_31 Depth=2
	v_cmp_le_u32_e32 vcc_lo, s13, v38
	v_cndmask_b32_e32 v15, v38, v40, vcc_lo
	s_delay_alu instid0(VALU_DEP_1) | instskip(SKIP_1) | instid1(VALU_DEP_2)
	v_subrev_nc_u32_e32 v18, s13, v15
	v_cmp_le_u32_e32 vcc_lo, s13, v15
	v_cndmask_b32_e32 v15, v15, v18, vcc_lo
	v_dual_mov_b32 v19, v5 :: v_dual_mov_b32 v18, v4
	s_delay_alu instid0(VALU_DEP_2) | instskip(NEXT) | instid1(VALU_DEP_1)
	v_xor_b32_e32 v15, v15, v39
	v_sub_nc_u32_e32 v20, v15, v39
	s_delay_alu instid0(VALU_DEP_1)
	v_ashrrev_i32_e32 v21, 31, v20
	s_branch .LBB116_29
.LBB116_37:
	s_nop 0
	s_sendmsg sendmsg(MSG_DEALLOC_VGPRS)
	s_endpgm
	.section	.rodata,"a",@progbits
	.p2align	6, 0x0
	.amdhsa_kernel _ZN9rocsparseL21csr2bsr_65_inf_kernelILj32EdiiEEv20rocsparse_direction_T2_S2_S2_S2_S2_S2_21rocsparse_index_base_PKT0_PKT1_PKS2_S3_PS4_PS7_PS2_SD_SE_SC_
		.amdhsa_group_segment_fixed_size 0
		.amdhsa_private_segment_fixed_size 0
		.amdhsa_kernarg_size 112
		.amdhsa_user_sgpr_count 15
		.amdhsa_user_sgpr_dispatch_ptr 0
		.amdhsa_user_sgpr_queue_ptr 0
		.amdhsa_user_sgpr_kernarg_segment_ptr 1
		.amdhsa_user_sgpr_dispatch_id 0
		.amdhsa_user_sgpr_private_segment_size 0
		.amdhsa_wavefront_size32 1
		.amdhsa_uses_dynamic_stack 0
		.amdhsa_enable_private_segment 0
		.amdhsa_system_sgpr_workgroup_id_x 1
		.amdhsa_system_sgpr_workgroup_id_y 0
		.amdhsa_system_sgpr_workgroup_id_z 0
		.amdhsa_system_sgpr_workgroup_info 0
		.amdhsa_system_vgpr_workitem_id 0
		.amdhsa_next_free_vgpr 41
		.amdhsa_next_free_sgpr 34
		.amdhsa_reserve_vcc 1
		.amdhsa_float_round_mode_32 0
		.amdhsa_float_round_mode_16_64 0
		.amdhsa_float_denorm_mode_32 3
		.amdhsa_float_denorm_mode_16_64 3
		.amdhsa_dx10_clamp 1
		.amdhsa_ieee_mode 1
		.amdhsa_fp16_overflow 0
		.amdhsa_workgroup_processor_mode 1
		.amdhsa_memory_ordered 1
		.amdhsa_forward_progress 0
		.amdhsa_shared_vgpr_count 0
		.amdhsa_exception_fp_ieee_invalid_op 0
		.amdhsa_exception_fp_denorm_src 0
		.amdhsa_exception_fp_ieee_div_zero 0
		.amdhsa_exception_fp_ieee_overflow 0
		.amdhsa_exception_fp_ieee_underflow 0
		.amdhsa_exception_fp_ieee_inexact 0
		.amdhsa_exception_int_div_zero 0
	.end_amdhsa_kernel
	.section	.text._ZN9rocsparseL21csr2bsr_65_inf_kernelILj32EdiiEEv20rocsparse_direction_T2_S2_S2_S2_S2_S2_21rocsparse_index_base_PKT0_PKT1_PKS2_S3_PS4_PS7_PS2_SD_SE_SC_,"axG",@progbits,_ZN9rocsparseL21csr2bsr_65_inf_kernelILj32EdiiEEv20rocsparse_direction_T2_S2_S2_S2_S2_S2_21rocsparse_index_base_PKT0_PKT1_PKS2_S3_PS4_PS7_PS2_SD_SE_SC_,comdat
.Lfunc_end116:
	.size	_ZN9rocsparseL21csr2bsr_65_inf_kernelILj32EdiiEEv20rocsparse_direction_T2_S2_S2_S2_S2_S2_21rocsparse_index_base_PKT0_PKT1_PKS2_S3_PS4_PS7_PS2_SD_SE_SC_, .Lfunc_end116-_ZN9rocsparseL21csr2bsr_65_inf_kernelILj32EdiiEEv20rocsparse_direction_T2_S2_S2_S2_S2_S2_21rocsparse_index_base_PKT0_PKT1_PKS2_S3_PS4_PS7_PS2_SD_SE_SC_
                                        ; -- End function
	.section	.AMDGPU.csdata,"",@progbits
; Kernel info:
; codeLenInByte = 2272
; NumSgprs: 36
; NumVgprs: 41
; ScratchSize: 0
; MemoryBound: 0
; FloatMode: 240
; IeeeMode: 1
; LDSByteSize: 0 bytes/workgroup (compile time only)
; SGPRBlocks: 4
; VGPRBlocks: 5
; NumSGPRsForWavesPerEU: 36
; NumVGPRsForWavesPerEU: 41
; Occupancy: 16
; WaveLimiterHint : 0
; COMPUTE_PGM_RSRC2:SCRATCH_EN: 0
; COMPUTE_PGM_RSRC2:USER_SGPR: 15
; COMPUTE_PGM_RSRC2:TRAP_HANDLER: 0
; COMPUTE_PGM_RSRC2:TGID_X_EN: 1
; COMPUTE_PGM_RSRC2:TGID_Y_EN: 0
; COMPUTE_PGM_RSRC2:TGID_Z_EN: 0
; COMPUTE_PGM_RSRC2:TIDIG_COMP_CNT: 0
	.section	.text._ZN9rocsparseL35csr2bsr_block_dim_equals_one_kernelILj256EdliEEvT2_S1_S1_S1_21rocsparse_index_base_PKT0_PKT1_PKS1_S2_PS3_PS6_PS1_,"axG",@progbits,_ZN9rocsparseL35csr2bsr_block_dim_equals_one_kernelILj256EdliEEvT2_S1_S1_S1_21rocsparse_index_base_PKT0_PKT1_PKS1_S2_PS3_PS6_PS1_,comdat
	.globl	_ZN9rocsparseL35csr2bsr_block_dim_equals_one_kernelILj256EdliEEvT2_S1_S1_S1_21rocsparse_index_base_PKT0_PKT1_PKS1_S2_PS3_PS6_PS1_ ; -- Begin function _ZN9rocsparseL35csr2bsr_block_dim_equals_one_kernelILj256EdliEEvT2_S1_S1_S1_21rocsparse_index_base_PKT0_PKT1_PKS1_S2_PS3_PS6_PS1_
	.p2align	8
	.type	_ZN9rocsparseL35csr2bsr_block_dim_equals_one_kernelILj256EdliEEvT2_S1_S1_S1_21rocsparse_index_base_PKT0_PKT1_PKS1_S2_PS3_PS6_PS1_,@function
_ZN9rocsparseL35csr2bsr_block_dim_equals_one_kernelILj256EdliEEvT2_S1_S1_S1_21rocsparse_index_base_PKT0_PKT1_PKS1_S2_PS3_PS6_PS1_: ; @_ZN9rocsparseL35csr2bsr_block_dim_equals_one_kernelILj256EdliEEvT2_S1_S1_S1_21rocsparse_index_base_PKT0_PKT1_PKS1_S2_PS3_PS6_PS1_
; %bb.0:
	s_clause 0x1
	s_load_b32 s2, s[0:1], 0x0
	s_load_b128 s[4:7], s[0:1], 0x18
	v_lshl_or_b32 v0, s15, 8, v0
	s_delay_alu instid0(VALU_DEP_1) | instskip(SKIP_2) | instid1(SALU_CYCLE_1)
	v_ashrrev_i32_e32 v1, 31, v0
	s_waitcnt lgkmcnt(0)
	s_ashr_i32 s3, s2, 31
	s_lshl_b64 s[2:3], s[2:3], 3
	s_delay_alu instid0(SALU_CYCLE_1)
	s_add_u32 s2, s6, s2
	s_addc_u32 s3, s7, s3
	s_clause 0x1
	s_load_b64 s[2:3], s[2:3], 0x0
	s_load_b64 s[6:7], s[6:7], 0x0
	s_waitcnt lgkmcnt(0)
	s_sub_u32 s2, s2, s6
	s_subb_u32 s3, s3, s7
	s_mov_b32 s6, exec_lo
	v_cmpx_gt_i64_e64 s[2:3], v[0:1]
	s_cbranch_execz .LBB117_3
; %bb.1:
	s_clause 0x5
	s_load_b32 s14, s[0:1], 0x30
	s_load_b64 s[6:7], s[0:1], 0x38
	s_load_b32 s12, s[0:1], 0x50
	s_load_b32 s15, s[0:1], 0x10
	s_load_b64 s[8:9], s[0:1], 0x28
	s_load_b64 s[10:11], s[0:1], 0x48
	v_lshlrev_b64 v[2:3], 3, v[0:1]
	v_lshlrev_b64 v[4:5], 2, v[0:1]
	s_mov_b32 s13, 0
	s_waitcnt lgkmcnt(0)
	s_lshl_b32 s12, s12, 8
	s_sub_i32 s1, s14, s15
	s_lshl_b64 s[14:15], s[12:13], 3
	s_lshl_b64 s[16:17], s[12:13], 2
	s_set_inst_prefetch_distance 0x1
	.p2align	6
.LBB117_2:                              ; =>This Inner Loop Header: Depth=1
	v_add_co_u32 v6, vcc_lo, s8, v4
	v_add_co_ci_u32_e32 v7, vcc_lo, s9, v5, vcc_lo
	v_add_co_u32 v8, vcc_lo, s4, v2
	v_add_co_ci_u32_e32 v9, vcc_lo, s5, v3, vcc_lo
	global_load_b32 v12, v[6:7], off
	global_load_b64 v[6:7], v[8:9], off
	v_add_co_u32 v8, vcc_lo, s10, v4
	v_add_co_ci_u32_e32 v9, vcc_lo, s11, v5, vcc_lo
	v_add_co_u32 v10, vcc_lo, s6, v2
	v_add_co_ci_u32_e32 v11, vcc_lo, s7, v3, vcc_lo
	;; [unrolled: 2-line block ×4, first 2 shown]
	s_delay_alu instid0(VALU_DEP_3) | instskip(SKIP_1) | instid1(VALU_DEP_1)
	v_cmp_le_i64_e32 vcc_lo, s[2:3], v[0:1]
	v_add_co_u32 v4, s0, v4, s16
	v_add_co_ci_u32_e64 v5, s0, s17, v5, s0
	s_or_b32 s13, vcc_lo, s13
	s_waitcnt vmcnt(1)
	v_add_nc_u32_e32 v12, s1, v12
	s_waitcnt vmcnt(0)
	global_store_b64 v[10:11], v[6:7], off
	global_store_b32 v[8:9], v12, off
	s_and_not1_b32 exec_lo, exec_lo, s13
	s_cbranch_execnz .LBB117_2
.LBB117_3:
	s_set_inst_prefetch_distance 0x2
	s_nop 0
	s_sendmsg sendmsg(MSG_DEALLOC_VGPRS)
	s_endpgm
	.section	.rodata,"a",@progbits
	.p2align	6, 0x0
	.amdhsa_kernel _ZN9rocsparseL35csr2bsr_block_dim_equals_one_kernelILj256EdliEEvT2_S1_S1_S1_21rocsparse_index_base_PKT0_PKT1_PKS1_S2_PS3_PS6_PS1_
		.amdhsa_group_segment_fixed_size 0
		.amdhsa_private_segment_fixed_size 0
		.amdhsa_kernarg_size 336
		.amdhsa_user_sgpr_count 15
		.amdhsa_user_sgpr_dispatch_ptr 0
		.amdhsa_user_sgpr_queue_ptr 0
		.amdhsa_user_sgpr_kernarg_segment_ptr 1
		.amdhsa_user_sgpr_dispatch_id 0
		.amdhsa_user_sgpr_private_segment_size 0
		.amdhsa_wavefront_size32 1
		.amdhsa_uses_dynamic_stack 0
		.amdhsa_enable_private_segment 0
		.amdhsa_system_sgpr_workgroup_id_x 1
		.amdhsa_system_sgpr_workgroup_id_y 0
		.amdhsa_system_sgpr_workgroup_id_z 0
		.amdhsa_system_sgpr_workgroup_info 0
		.amdhsa_system_vgpr_workitem_id 0
		.amdhsa_next_free_vgpr 13
		.amdhsa_next_free_sgpr 18
		.amdhsa_reserve_vcc 1
		.amdhsa_float_round_mode_32 0
		.amdhsa_float_round_mode_16_64 0
		.amdhsa_float_denorm_mode_32 3
		.amdhsa_float_denorm_mode_16_64 3
		.amdhsa_dx10_clamp 1
		.amdhsa_ieee_mode 1
		.amdhsa_fp16_overflow 0
		.amdhsa_workgroup_processor_mode 1
		.amdhsa_memory_ordered 1
		.amdhsa_forward_progress 0
		.amdhsa_shared_vgpr_count 0
		.amdhsa_exception_fp_ieee_invalid_op 0
		.amdhsa_exception_fp_denorm_src 0
		.amdhsa_exception_fp_ieee_div_zero 0
		.amdhsa_exception_fp_ieee_overflow 0
		.amdhsa_exception_fp_ieee_underflow 0
		.amdhsa_exception_fp_ieee_inexact 0
		.amdhsa_exception_int_div_zero 0
	.end_amdhsa_kernel
	.section	.text._ZN9rocsparseL35csr2bsr_block_dim_equals_one_kernelILj256EdliEEvT2_S1_S1_S1_21rocsparse_index_base_PKT0_PKT1_PKS1_S2_PS3_PS6_PS1_,"axG",@progbits,_ZN9rocsparseL35csr2bsr_block_dim_equals_one_kernelILj256EdliEEvT2_S1_S1_S1_21rocsparse_index_base_PKT0_PKT1_PKS1_S2_PS3_PS6_PS1_,comdat
.Lfunc_end117:
	.size	_ZN9rocsparseL35csr2bsr_block_dim_equals_one_kernelILj256EdliEEvT2_S1_S1_S1_21rocsparse_index_base_PKT0_PKT1_PKS1_S2_PS3_PS6_PS1_, .Lfunc_end117-_ZN9rocsparseL35csr2bsr_block_dim_equals_one_kernelILj256EdliEEvT2_S1_S1_S1_21rocsparse_index_base_PKT0_PKT1_PKS1_S2_PS3_PS6_PS1_
                                        ; -- End function
	.section	.AMDGPU.csdata,"",@progbits
; Kernel info:
; codeLenInByte = 372
; NumSgprs: 20
; NumVgprs: 13
; ScratchSize: 0
; MemoryBound: 0
; FloatMode: 240
; IeeeMode: 1
; LDSByteSize: 0 bytes/workgroup (compile time only)
; SGPRBlocks: 2
; VGPRBlocks: 1
; NumSGPRsForWavesPerEU: 20
; NumVGPRsForWavesPerEU: 13
; Occupancy: 16
; WaveLimiterHint : 0
; COMPUTE_PGM_RSRC2:SCRATCH_EN: 0
; COMPUTE_PGM_RSRC2:USER_SGPR: 15
; COMPUTE_PGM_RSRC2:TRAP_HANDLER: 0
; COMPUTE_PGM_RSRC2:TGID_X_EN: 1
; COMPUTE_PGM_RSRC2:TGID_Y_EN: 0
; COMPUTE_PGM_RSRC2:TGID_Z_EN: 0
; COMPUTE_PGM_RSRC2:TIDIG_COMP_CNT: 0
	.section	.text._ZN9rocsparseL42csr2bsr_wavefront_per_row_multipass_kernelILj256ELj16ELj4EdliEEv20rocsparse_direction_T4_S2_S2_S2_S2_21rocsparse_index_base_PKT2_PKT3_PKS2_S3_PS4_PS7_PS2_,"axG",@progbits,_ZN9rocsparseL42csr2bsr_wavefront_per_row_multipass_kernelILj256ELj16ELj4EdliEEv20rocsparse_direction_T4_S2_S2_S2_S2_21rocsparse_index_base_PKT2_PKT3_PKS2_S3_PS4_PS7_PS2_,comdat
	.globl	_ZN9rocsparseL42csr2bsr_wavefront_per_row_multipass_kernelILj256ELj16ELj4EdliEEv20rocsparse_direction_T4_S2_S2_S2_S2_21rocsparse_index_base_PKT2_PKT3_PKS2_S3_PS4_PS7_PS2_ ; -- Begin function _ZN9rocsparseL42csr2bsr_wavefront_per_row_multipass_kernelILj256ELj16ELj4EdliEEv20rocsparse_direction_T4_S2_S2_S2_S2_21rocsparse_index_base_PKT2_PKT3_PKS2_S3_PS4_PS7_PS2_
	.p2align	8
	.type	_ZN9rocsparseL42csr2bsr_wavefront_per_row_multipass_kernelILj256ELj16ELj4EdliEEv20rocsparse_direction_T4_S2_S2_S2_S2_21rocsparse_index_base_PKT2_PKT3_PKS2_S3_PS4_PS7_PS2_,@function
_ZN9rocsparseL42csr2bsr_wavefront_per_row_multipass_kernelILj256ELj16ELj4EdliEEv20rocsparse_direction_T4_S2_S2_S2_S2_21rocsparse_index_base_PKT2_PKT3_PKS2_S3_PS4_PS7_PS2_: ; @_ZN9rocsparseL42csr2bsr_wavefront_per_row_multipass_kernelILj256ELj16ELj4EdliEEv20rocsparse_direction_T4_S2_S2_S2_S2_21rocsparse_index_base_PKT2_PKT3_PKS2_S3_PS4_PS7_PS2_
; %bb.0:
	s_clause 0x1
	s_load_b128 s[4:7], s[0:1], 0xc
	s_load_b64 s[10:11], s[0:1], 0x0
	v_lshrrev_b32_e32 v20, 4, v0
	v_bfe_u32 v6, v0, 2, 2
	s_load_b64 s[8:9], s[0:1], 0x28
	v_mov_b32_e32 v1, 0
	v_mov_b32_e32 v2, 0
	v_lshl_or_b32 v9, s15, 4, v20
	s_waitcnt lgkmcnt(0)
	s_delay_alu instid0(VALU_DEP_1) | instskip(SKIP_2) | instid1(VALU_DEP_3)
	v_mad_u64_u32 v[3:4], null, v9, s6, v[6:7]
	v_cmp_gt_i32_e32 vcc_lo, s6, v6
	v_dual_mov_b32 v8, v2 :: v_dual_mov_b32 v7, v1
	v_cmp_gt_i32_e64 s2, s11, v3
	s_delay_alu instid0(VALU_DEP_1) | instskip(NEXT) | instid1(SALU_CYCLE_1)
	s_and_b32 s3, vcc_lo, s2
	s_and_saveexec_b32 s11, s3
	s_cbranch_execz .LBB118_2
; %bb.1:
	v_ashrrev_i32_e32 v4, 31, v3
	s_delay_alu instid0(VALU_DEP_1) | instskip(NEXT) | instid1(VALU_DEP_1)
	v_lshlrev_b64 v[4:5], 3, v[3:4]
	v_add_co_u32 v4, s2, s8, v4
	s_delay_alu instid0(VALU_DEP_1) | instskip(SKIP_3) | instid1(VALU_DEP_1)
	v_add_co_ci_u32_e64 v5, s2, s9, v5, s2
	global_load_b64 v[4:5], v[4:5], off
	s_waitcnt vmcnt(0)
	v_sub_co_u32 v7, s2, v4, s7
	v_subrev_co_ci_u32_e64 v8, s2, 0, v5, s2
.LBB118_2:
	s_or_b32 exec_lo, exec_lo, s11
	s_and_saveexec_b32 s11, s3
	s_cbranch_execz .LBB118_4
; %bb.3:
	v_ashrrev_i32_e32 v4, 31, v3
	s_delay_alu instid0(VALU_DEP_1) | instskip(NEXT) | instid1(VALU_DEP_1)
	v_lshlrev_b64 v[1:2], 3, v[3:4]
	v_add_co_u32 v1, s2, s8, v1
	s_delay_alu instid0(VALU_DEP_1) | instskip(SKIP_3) | instid1(VALU_DEP_1)
	v_add_co_ci_u32_e64 v2, s2, s9, v2, s2
	global_load_b64 v[1:2], v[1:2], off offset:8
	s_waitcnt vmcnt(0)
	v_sub_co_u32 v1, s2, v1, s7
	v_subrev_co_ci_u32_e64 v2, s2, 0, v2, s2
.LBB118_4:
	s_or_b32 exec_lo, exec_lo, s11
	s_load_b32 s12, s[0:1], 0x38
	v_mov_b32_e32 v3, 0
	v_mov_b32_e32 v4, 0
	s_mov_b32 s3, exec_lo
	v_cmpx_gt_i32_e64 s4, v9
	s_cbranch_execz .LBB118_6
; %bb.5:
	s_load_b64 s[8:9], s[0:1], 0x48
	v_ashrrev_i32_e32 v10, 31, v9
	s_delay_alu instid0(VALU_DEP_1) | instskip(SKIP_1) | instid1(VALU_DEP_1)
	v_lshlrev_b64 v[3:4], 3, v[9:10]
	s_waitcnt lgkmcnt(0)
	v_add_co_u32 v3, s2, s8, v3
	s_delay_alu instid0(VALU_DEP_1) | instskip(SKIP_3) | instid1(VALU_DEP_1)
	v_add_co_ci_u32_e64 v4, s2, s9, v4, s2
	global_load_b64 v[3:4], v[3:4], off
	s_waitcnt vmcnt(0)
	v_sub_co_u32 v3, s2, v3, s12
	v_subrev_co_ci_u32_e64 v4, s2, 0, v4, s2
.LBB118_6:
	s_or_b32 exec_lo, exec_lo, s3
	s_cmp_lt_i32 s5, 1
	s_cbranch_scc1 .LBB118_21
; %bb.7:
	s_load_b64 s[14:15], s[0:1], 0x40
	v_mov_b32_e32 v5, 0
	v_and_b32_e32 v21, 3, v0
	v_mul_lo_u32 v11, v6, s6
	v_and_b32_e32 v0, 0xf0, v0
	s_delay_alu instid0(VALU_DEP_4) | instskip(NEXT) | instid1(VALU_DEP_4)
	v_dual_mov_b32 v10, v5 :: v_dual_lshlrev_b32 v13, 3, v6
	v_mul_lo_u32 v9, v21, s6
	v_lshlrev_b32_e32 v14, 3, v21
	v_mov_b32_e32 v12, v5
	v_cmp_gt_u32_e64 s2, s6, v21
	v_mov_b32_e32 v32, 1
	s_delay_alu instid0(VALU_DEP_3) | instskip(SKIP_1) | instid1(VALU_DEP_4)
	v_lshlrev_b64 v[11:12], 3, v[11:12]
	v_lshlrev_b64 v[9:10], 3, v[9:10]
	s_and_b32 s4, vcc_lo, s2
	s_cmp_eq_u32 s10, 0
	s_clause 0x1
	s_load_b64 s[10:11], s[0:1], 0x50
	s_load_b64 s[8:9], s[0:1], 0x30
	s_waitcnt lgkmcnt(0)
	v_add_co_u32 v9, vcc_lo, s14, v9
	v_add_co_ci_u32_e32 v10, vcc_lo, s15, v10, vcc_lo
	v_add_co_u32 v11, vcc_lo, s14, v11
	v_add_co_ci_u32_e32 v12, vcc_lo, s15, v12, vcc_lo
	s_delay_alu instid0(VALU_DEP_4) | instskip(NEXT) | instid1(VALU_DEP_4)
	v_add_co_u32 v9, vcc_lo, v9, v13
	v_add_co_ci_u32_e32 v10, vcc_lo, 0, v10, vcc_lo
	s_delay_alu instid0(VALU_DEP_4) | instskip(NEXT) | instid1(VALU_DEP_4)
	v_add_co_u32 v11, vcc_lo, v11, v14
	v_add_co_ci_u32_e32 v12, vcc_lo, 0, v12, vcc_lo
	s_cselect_b32 vcc_lo, -1, 0
	s_abs_i32 s13, s6
	v_mbcnt_lo_u32_b32 v14, -1, 0
	v_cvt_f32_u32_e32 v13, s13
	v_dual_cndmask_b32 v29, v10, v12 :: v_dual_cndmask_b32 v30, v9, v11
	v_mov_b32_e32 v9, 0
	v_lshl_or_b32 v0, v6, 2, v0
	s_delay_alu instid0(VALU_DEP_4)
	v_rcp_iflag_f32_e32 v13, v13
	v_xor_b32_e32 v6, 2, v14
	v_lshlrev_b32_e32 v18, 2, v14
	v_xor_b32_e32 v16, 4, v14
	v_or_b32_e32 v15, v0, v21
	s_mul_hi_u32 s14, s6, s6
	v_cmp_gt_i32_e64 s2, 32, v6
	v_or_b32_e32 v25, 12, v18
	v_or_b32_e32 v28, 60, v18
	s_delay_alu instid0(TRANS32_DEP_1) | instskip(NEXT) | instid1(VALU_DEP_4)
	v_dual_mul_f32 v13, 0x4f7ffffe, v13 :: v_dual_lshlrev_b32 v22, 3, v15
	v_cndmask_b32_e64 v6, v14, v6, s2
	s_load_b64 s[2:3], s[0:1], 0x20
	s_sub_i32 s0, 0, s13
	v_xor_b32_e32 v15, 8, v14
	s_delay_alu instid0(VALU_DEP_2)
	v_dual_mov_b32 v10, 0 :: v_dual_lshlrev_b32 v23, 2, v6
	v_cvt_u32_f32_e32 v6, v13
	v_xor_b32_e32 v13, 1, v14
	s_mov_b32 s1, 0
	s_mul_i32 s15, s6, s6
	s_ashr_i32 s16, s6, 31
	v_mul_lo_u32 v17, s0, v6
	v_cmp_gt_i32_e64 s0, 32, v13
	s_delay_alu instid0(VALU_DEP_1) | instskip(SKIP_1) | instid1(VALU_DEP_2)
	v_cndmask_b32_e64 v13, v14, v13, s0
	v_cmp_gt_i32_e64 s0, 32, v15
	v_lshlrev_b32_e32 v24, 2, v13
	s_delay_alu instid0(VALU_DEP_2) | instskip(SKIP_1) | instid1(VALU_DEP_2)
	v_cndmask_b32_e64 v15, v14, v15, s0
	v_cmp_gt_i32_e64 s0, 32, v16
	v_lshlrev_b32_e32 v26, 2, v15
	s_delay_alu instid0(VALU_DEP_2) | instskip(SKIP_1) | instid1(VALU_DEP_2)
	v_cndmask_b32_e64 v14, v14, v16, s0
	v_mul_hi_u32 v16, v6, v17
	v_lshlrev_b32_e32 v27, 2, v14
	s_delay_alu instid0(VALU_DEP_2)
	v_dual_mov_b32 v6, v5 :: v_dual_add_nc_u32 v31, v6, v16
	s_branch .LBB118_10
.LBB118_8:                              ;   in Loop: Header=BB118_10 Depth=1
	s_or_b32 exec_lo, exec_lo, s17
	v_mov_b32_e32 v10, 1
	v_mov_b32_e32 v11, 0
.LBB118_9:                              ;   in Loop: Header=BB118_10 Depth=1
	s_or_b32 exec_lo, exec_lo, s0
	ds_bpermute_b32 v9, v26, v33
	v_add_co_u32 v3, s0, v10, v3
	s_delay_alu instid0(VALU_DEP_1)
	v_add_co_ci_u32_e64 v4, s0, v11, v4, s0
	s_waitcnt lgkmcnt(0)
	s_waitcnt_vscnt null, 0x0
	buffer_gl0_inv
	buffer_gl0_inv
	v_min_i32_e32 v9, v9, v33
	ds_bpermute_b32 v12, v27, v9
	s_waitcnt lgkmcnt(0)
	v_min_i32_e32 v9, v12, v9
	ds_bpermute_b32 v12, v23, v9
	s_waitcnt lgkmcnt(0)
	;; [unrolled: 3-line block ×4, first 2 shown]
	v_cmp_le_i32_e32 vcc_lo, s5, v9
	v_ashrrev_i32_e32 v10, 31, v9
	s_or_b32 s1, vcc_lo, s1
	s_delay_alu instid0(SALU_CYCLE_1)
	s_and_not1_b32 exec_lo, exec_lo, s1
	s_cbranch_execz .LBB118_21
.LBB118_10:                             ; =>This Loop Header: Depth=1
                                        ;     Child Loop BB118_13 Depth 2
	v_add_co_u32 v7, vcc_lo, v7, v21
	v_dual_mov_b32 v33, s5 :: v_dual_mov_b32 v16, v2
	v_add_co_ci_u32_e32 v8, vcc_lo, 0, v8, vcc_lo
	v_mov_b32_e32 v15, v1
	s_mov_b32 s17, exec_lo
	ds_store_b8 v20, v5 offset:2048
	ds_store_b64 v22, v[5:6]
	s_waitcnt lgkmcnt(0)
	buffer_gl0_inv
	v_cmpx_lt_i64_e64 v[7:8], v[1:2]
	s_cbranch_execz .LBB118_18
; %bb.11:                               ;   in Loop: Header=BB118_10 Depth=1
	v_lshlrev_b64 v[11:12], 3, v[7:8]
	v_lshlrev_b64 v[13:14], 2, v[7:8]
	v_dual_mov_b32 v33, s5 :: v_dual_mov_b32 v16, v2
	v_mov_b32_e32 v15, v1
	s_mov_b32 s18, 0
	s_delay_alu instid0(VALU_DEP_4)
	v_add_co_u32 v11, vcc_lo, s2, v11
	v_add_co_ci_u32_e32 v12, vcc_lo, s3, v12, vcc_lo
	v_add_co_u32 v13, vcc_lo, s8, v13
	v_add_co_ci_u32_e32 v14, vcc_lo, s9, v14, vcc_lo
	s_branch .LBB118_13
.LBB118_12:                             ;   in Loop: Header=BB118_13 Depth=2
	s_or_b32 exec_lo, exec_lo, s0
	v_add_co_u32 v7, s0, v7, 4
	s_delay_alu instid0(VALU_DEP_1) | instskip(SKIP_2) | instid1(VALU_DEP_2)
	v_add_co_ci_u32_e64 v8, s0, 0, v8, s0
	s_xor_b32 s19, vcc_lo, -1
	v_add_co_u32 v11, vcc_lo, v11, 32
	v_cmp_ge_i64_e64 s0, v[7:8], v[1:2]
	v_add_co_ci_u32_e32 v12, vcc_lo, 0, v12, vcc_lo
	v_add_co_u32 v13, vcc_lo, v13, 16
	v_add_co_ci_u32_e32 v14, vcc_lo, 0, v14, vcc_lo
	s_delay_alu instid0(VALU_DEP_4) | instskip(NEXT) | instid1(SALU_CYCLE_1)
	s_or_b32 s0, s19, s0
	s_and_b32 s0, exec_lo, s0
	s_delay_alu instid0(SALU_CYCLE_1) | instskip(NEXT) | instid1(SALU_CYCLE_1)
	s_or_b32 s18, s0, s18
	s_and_not1_b32 exec_lo, exec_lo, s18
	s_cbranch_execz .LBB118_17
.LBB118_13:                             ;   Parent Loop BB118_10 Depth=1
                                        ; =>  This Inner Loop Header: Depth=2
	global_load_b32 v17, v[13:14], off
	s_waitcnt vmcnt(0)
	v_subrev_nc_u32_e32 v34, s7, v17
	s_delay_alu instid0(VALU_DEP_1) | instskip(NEXT) | instid1(VALU_DEP_1)
	v_sub_nc_u32_e32 v17, 0, v34
	v_max_i32_e32 v17, v34, v17
	s_delay_alu instid0(VALU_DEP_1) | instskip(NEXT) | instid1(VALU_DEP_1)
	v_mul_hi_u32 v18, v17, v31
	v_mul_lo_u32 v19, v18, s13
	s_delay_alu instid0(VALU_DEP_1) | instskip(SKIP_1) | instid1(VALU_DEP_2)
	v_sub_nc_u32_e32 v17, v17, v19
	v_add_nc_u32_e32 v19, 1, v18
	v_subrev_nc_u32_e32 v35, s13, v17
	v_cmp_le_u32_e32 vcc_lo, s13, v17
	s_delay_alu instid0(VALU_DEP_3) | instskip(NEXT) | instid1(VALU_DEP_3)
	v_cndmask_b32_e32 v18, v18, v19, vcc_lo
	v_cndmask_b32_e32 v17, v17, v35, vcc_lo
	v_ashrrev_i32_e32 v19, 31, v34
	s_delay_alu instid0(VALU_DEP_3) | instskip(NEXT) | instid1(VALU_DEP_3)
	v_add_nc_u32_e32 v35, 1, v18
	v_cmp_le_u32_e32 vcc_lo, s13, v17
	s_delay_alu instid0(VALU_DEP_3) | instskip(NEXT) | instid1(VALU_DEP_3)
	v_xor_b32_e32 v19, s16, v19
	v_cndmask_b32_e32 v17, v18, v35, vcc_lo
	s_delay_alu instid0(VALU_DEP_1) | instskip(NEXT) | instid1(VALU_DEP_1)
	v_xor_b32_e32 v17, v17, v19
	v_sub_nc_u32_e32 v17, v17, v19
	s_delay_alu instid0(VALU_DEP_1) | instskip(NEXT) | instid1(VALU_DEP_1)
	v_ashrrev_i32_e32 v18, 31, v17
	v_cmp_eq_u64_e32 vcc_lo, v[9:10], v[17:18]
	v_cmp_ne_u64_e64 s0, v[9:10], v[17:18]
	v_dual_mov_b32 v19, v16 :: v_dual_mov_b32 v18, v15
	s_delay_alu instid0(VALU_DEP_2) | instskip(NEXT) | instid1(SALU_CYCLE_1)
	s_and_saveexec_b32 s19, s0
	s_xor_b32 s0, exec_lo, s19
; %bb.14:                               ;   in Loop: Header=BB118_13 Depth=2
	v_min_i32_e32 v33, v17, v33
                                        ; implicit-def: $vgpr17
                                        ; implicit-def: $vgpr34
                                        ; implicit-def: $vgpr18_vgpr19
; %bb.15:                               ;   in Loop: Header=BB118_13 Depth=2
	s_or_saveexec_b32 s0, s0
	v_dual_mov_b32 v16, v8 :: v_dual_mov_b32 v15, v7
	s_xor_b32 exec_lo, exec_lo, s0
	s_cbranch_execz .LBB118_12
; %bb.16:                               ;   in Loop: Header=BB118_13 Depth=2
	global_load_b64 v[35:36], v[11:12], off
	v_mul_lo_u32 v15, v17, s6
	s_delay_alu instid0(VALU_DEP_1) | instskip(NEXT) | instid1(VALU_DEP_1)
	v_sub_nc_u32_e32 v15, v34, v15
	v_add_lshl_u32 v17, v15, v0, 3
	v_dual_mov_b32 v15, v18 :: v_dual_mov_b32 v16, v19
	ds_store_b8 v20, v32 offset:2048
	s_waitcnt vmcnt(0)
	ds_store_b64 v17, v[35:36]
	s_branch .LBB118_12
.LBB118_17:                             ;   in Loop: Header=BB118_10 Depth=1
	s_or_b32 exec_lo, exec_lo, s18
.LBB118_18:                             ;   in Loop: Header=BB118_10 Depth=1
	s_delay_alu instid0(SALU_CYCLE_1)
	s_or_b32 exec_lo, exec_lo, s17
	ds_bpermute_b32 v7, v23, v15
	ds_bpermute_b32 v8, v23, v16
	s_waitcnt lgkmcnt(0)
	buffer_gl0_inv
	ds_load_u8 v12, v20 offset:2048
	s_mov_b32 s0, exec_lo
	v_cmp_lt_i64_e32 vcc_lo, v[7:8], v[15:16]
	s_waitcnt lgkmcnt(0)
	v_and_b32_e32 v12, 1, v12
	v_dual_cndmask_b32 v8, v16, v8 :: v_dual_cndmask_b32 v7, v15, v7
	ds_bpermute_b32 v11, v24, v8
	ds_bpermute_b32 v10, v24, v7
	s_waitcnt lgkmcnt(0)
	v_cmp_lt_i64_e32 vcc_lo, v[10:11], v[7:8]
	v_dual_cndmask_b32 v8, v8, v11 :: v_dual_cndmask_b32 v7, v7, v10
	v_mov_b32_e32 v10, 0
	v_mov_b32_e32 v11, 0
	ds_bpermute_b32 v8, v25, v8
	ds_bpermute_b32 v7, v25, v7
	v_cmpx_eq_u32_e32 1, v12
	s_cbranch_execz .LBB118_9
; %bb.19:                               ;   in Loop: Header=BB118_10 Depth=1
	v_lshlrev_b64 v[10:11], 2, v[3:4]
	v_add_nc_u32_e32 v12, s12, v9
	s_delay_alu instid0(VALU_DEP_2) | instskip(NEXT) | instid1(VALU_DEP_3)
	v_add_co_u32 v9, vcc_lo, s10, v10
	v_add_co_ci_u32_e32 v10, vcc_lo, s11, v11, vcc_lo
	global_store_b32 v[9:10], v12, off
	s_and_saveexec_b32 s17, s4
	s_cbranch_execz .LBB118_8
; %bb.20:                               ;   in Loop: Header=BB118_10 Depth=1
	v_mul_lo_u32 v13, s14, v3
	v_mul_lo_u32 v14, s15, v4
	v_mad_u64_u32 v[9:10], null, s15, v3, 0
	ds_load_b64 v[11:12], v22
	v_add3_u32 v10, v10, v14, v13
	s_delay_alu instid0(VALU_DEP_1) | instskip(NEXT) | instid1(VALU_DEP_1)
	v_lshlrev_b64 v[9:10], 3, v[9:10]
	v_add_co_u32 v9, vcc_lo, v30, v9
	s_delay_alu instid0(VALU_DEP_2)
	v_add_co_ci_u32_e32 v10, vcc_lo, v29, v10, vcc_lo
	s_waitcnt lgkmcnt(0)
	global_store_b64 v[9:10], v[11:12], off
	s_branch .LBB118_8
.LBB118_21:
	s_endpgm
	.section	.rodata,"a",@progbits
	.p2align	6, 0x0
	.amdhsa_kernel _ZN9rocsparseL42csr2bsr_wavefront_per_row_multipass_kernelILj256ELj16ELj4EdliEEv20rocsparse_direction_T4_S2_S2_S2_S2_21rocsparse_index_base_PKT2_PKT3_PKS2_S3_PS4_PS7_PS2_
		.amdhsa_group_segment_fixed_size 2064
		.amdhsa_private_segment_fixed_size 0
		.amdhsa_kernarg_size 88
		.amdhsa_user_sgpr_count 15
		.amdhsa_user_sgpr_dispatch_ptr 0
		.amdhsa_user_sgpr_queue_ptr 0
		.amdhsa_user_sgpr_kernarg_segment_ptr 1
		.amdhsa_user_sgpr_dispatch_id 0
		.amdhsa_user_sgpr_private_segment_size 0
		.amdhsa_wavefront_size32 1
		.amdhsa_uses_dynamic_stack 0
		.amdhsa_enable_private_segment 0
		.amdhsa_system_sgpr_workgroup_id_x 1
		.amdhsa_system_sgpr_workgroup_id_y 0
		.amdhsa_system_sgpr_workgroup_id_z 0
		.amdhsa_system_sgpr_workgroup_info 0
		.amdhsa_system_vgpr_workitem_id 0
		.amdhsa_next_free_vgpr 37
		.amdhsa_next_free_sgpr 20
		.amdhsa_reserve_vcc 1
		.amdhsa_float_round_mode_32 0
		.amdhsa_float_round_mode_16_64 0
		.amdhsa_float_denorm_mode_32 3
		.amdhsa_float_denorm_mode_16_64 3
		.amdhsa_dx10_clamp 1
		.amdhsa_ieee_mode 1
		.amdhsa_fp16_overflow 0
		.amdhsa_workgroup_processor_mode 1
		.amdhsa_memory_ordered 1
		.amdhsa_forward_progress 0
		.amdhsa_shared_vgpr_count 0
		.amdhsa_exception_fp_ieee_invalid_op 0
		.amdhsa_exception_fp_denorm_src 0
		.amdhsa_exception_fp_ieee_div_zero 0
		.amdhsa_exception_fp_ieee_overflow 0
		.amdhsa_exception_fp_ieee_underflow 0
		.amdhsa_exception_fp_ieee_inexact 0
		.amdhsa_exception_int_div_zero 0
	.end_amdhsa_kernel
	.section	.text._ZN9rocsparseL42csr2bsr_wavefront_per_row_multipass_kernelILj256ELj16ELj4EdliEEv20rocsparse_direction_T4_S2_S2_S2_S2_21rocsparse_index_base_PKT2_PKT3_PKS2_S3_PS4_PS7_PS2_,"axG",@progbits,_ZN9rocsparseL42csr2bsr_wavefront_per_row_multipass_kernelILj256ELj16ELj4EdliEEv20rocsparse_direction_T4_S2_S2_S2_S2_21rocsparse_index_base_PKT2_PKT3_PKS2_S3_PS4_PS7_PS2_,comdat
.Lfunc_end118:
	.size	_ZN9rocsparseL42csr2bsr_wavefront_per_row_multipass_kernelILj256ELj16ELj4EdliEEv20rocsparse_direction_T4_S2_S2_S2_S2_21rocsparse_index_base_PKT2_PKT3_PKS2_S3_PS4_PS7_PS2_, .Lfunc_end118-_ZN9rocsparseL42csr2bsr_wavefront_per_row_multipass_kernelILj256ELj16ELj4EdliEEv20rocsparse_direction_T4_S2_S2_S2_S2_21rocsparse_index_base_PKT2_PKT3_PKS2_S3_PS4_PS7_PS2_
                                        ; -- End function
	.section	.AMDGPU.csdata,"",@progbits
; Kernel info:
; codeLenInByte = 1704
; NumSgprs: 22
; NumVgprs: 37
; ScratchSize: 0
; MemoryBound: 0
; FloatMode: 240
; IeeeMode: 1
; LDSByteSize: 2064 bytes/workgroup (compile time only)
; SGPRBlocks: 2
; VGPRBlocks: 4
; NumSGPRsForWavesPerEU: 22
; NumVGPRsForWavesPerEU: 37
; Occupancy: 16
; WaveLimiterHint : 0
; COMPUTE_PGM_RSRC2:SCRATCH_EN: 0
; COMPUTE_PGM_RSRC2:USER_SGPR: 15
; COMPUTE_PGM_RSRC2:TRAP_HANDLER: 0
; COMPUTE_PGM_RSRC2:TGID_X_EN: 1
; COMPUTE_PGM_RSRC2:TGID_Y_EN: 0
; COMPUTE_PGM_RSRC2:TGID_Z_EN: 0
; COMPUTE_PGM_RSRC2:TIDIG_COMP_CNT: 0
	.section	.text._ZN9rocsparseL42csr2bsr_wavefront_per_row_multipass_kernelILj256ELj64ELj8EdliEEv20rocsparse_direction_T4_S2_S2_S2_S2_21rocsparse_index_base_PKT2_PKT3_PKS2_S3_PS4_PS7_PS2_,"axG",@progbits,_ZN9rocsparseL42csr2bsr_wavefront_per_row_multipass_kernelILj256ELj64ELj8EdliEEv20rocsparse_direction_T4_S2_S2_S2_S2_21rocsparse_index_base_PKT2_PKT3_PKS2_S3_PS4_PS7_PS2_,comdat
	.globl	_ZN9rocsparseL42csr2bsr_wavefront_per_row_multipass_kernelILj256ELj64ELj8EdliEEv20rocsparse_direction_T4_S2_S2_S2_S2_21rocsparse_index_base_PKT2_PKT3_PKS2_S3_PS4_PS7_PS2_ ; -- Begin function _ZN9rocsparseL42csr2bsr_wavefront_per_row_multipass_kernelILj256ELj64ELj8EdliEEv20rocsparse_direction_T4_S2_S2_S2_S2_21rocsparse_index_base_PKT2_PKT3_PKS2_S3_PS4_PS7_PS2_
	.p2align	8
	.type	_ZN9rocsparseL42csr2bsr_wavefront_per_row_multipass_kernelILj256ELj64ELj8EdliEEv20rocsparse_direction_T4_S2_S2_S2_S2_21rocsparse_index_base_PKT2_PKT3_PKS2_S3_PS4_PS7_PS2_,@function
_ZN9rocsparseL42csr2bsr_wavefront_per_row_multipass_kernelILj256ELj64ELj8EdliEEv20rocsparse_direction_T4_S2_S2_S2_S2_21rocsparse_index_base_PKT2_PKT3_PKS2_S3_PS4_PS7_PS2_: ; @_ZN9rocsparseL42csr2bsr_wavefront_per_row_multipass_kernelILj256ELj64ELj8EdliEEv20rocsparse_direction_T4_S2_S2_S2_S2_21rocsparse_index_base_PKT2_PKT3_PKS2_S3_PS4_PS7_PS2_
; %bb.0:
	s_clause 0x1
	s_load_b128 s[4:7], s[0:1], 0xc
	s_load_b64 s[10:11], s[0:1], 0x0
	v_lshrrev_b32_e32 v20, 6, v0
	v_bfe_u32 v6, v0, 3, 3
	s_load_b64 s[8:9], s[0:1], 0x28
	v_mov_b32_e32 v1, 0
	v_mov_b32_e32 v2, 0
	v_lshl_or_b32 v9, s15, 2, v20
	s_waitcnt lgkmcnt(0)
	s_delay_alu instid0(VALU_DEP_1) | instskip(SKIP_2) | instid1(VALU_DEP_3)
	v_mad_u64_u32 v[3:4], null, v9, s6, v[6:7]
	v_cmp_gt_i32_e32 vcc_lo, s6, v6
	v_dual_mov_b32 v8, v2 :: v_dual_mov_b32 v7, v1
	v_cmp_gt_i32_e64 s2, s11, v3
	s_delay_alu instid0(VALU_DEP_1) | instskip(NEXT) | instid1(SALU_CYCLE_1)
	s_and_b32 s3, vcc_lo, s2
	s_and_saveexec_b32 s11, s3
	s_cbranch_execz .LBB119_2
; %bb.1:
	v_ashrrev_i32_e32 v4, 31, v3
	s_delay_alu instid0(VALU_DEP_1) | instskip(NEXT) | instid1(VALU_DEP_1)
	v_lshlrev_b64 v[4:5], 3, v[3:4]
	v_add_co_u32 v4, s2, s8, v4
	s_delay_alu instid0(VALU_DEP_1) | instskip(SKIP_3) | instid1(VALU_DEP_1)
	v_add_co_ci_u32_e64 v5, s2, s9, v5, s2
	global_load_b64 v[4:5], v[4:5], off
	s_waitcnt vmcnt(0)
	v_sub_co_u32 v7, s2, v4, s7
	v_subrev_co_ci_u32_e64 v8, s2, 0, v5, s2
.LBB119_2:
	s_or_b32 exec_lo, exec_lo, s11
	s_and_saveexec_b32 s11, s3
	s_cbranch_execz .LBB119_4
; %bb.3:
	v_ashrrev_i32_e32 v4, 31, v3
	s_delay_alu instid0(VALU_DEP_1) | instskip(NEXT) | instid1(VALU_DEP_1)
	v_lshlrev_b64 v[1:2], 3, v[3:4]
	v_add_co_u32 v1, s2, s8, v1
	s_delay_alu instid0(VALU_DEP_1) | instskip(SKIP_3) | instid1(VALU_DEP_1)
	v_add_co_ci_u32_e64 v2, s2, s9, v2, s2
	global_load_b64 v[1:2], v[1:2], off offset:8
	s_waitcnt vmcnt(0)
	v_sub_co_u32 v1, s2, v1, s7
	v_subrev_co_ci_u32_e64 v2, s2, 0, v2, s2
.LBB119_4:
	s_or_b32 exec_lo, exec_lo, s11
	s_load_b32 s12, s[0:1], 0x38
	v_mov_b32_e32 v3, 0
	v_mov_b32_e32 v4, 0
	s_mov_b32 s3, exec_lo
	v_cmpx_gt_i32_e64 s4, v9
	s_cbranch_execz .LBB119_6
; %bb.5:
	s_load_b64 s[8:9], s[0:1], 0x48
	v_ashrrev_i32_e32 v10, 31, v9
	s_delay_alu instid0(VALU_DEP_1) | instskip(SKIP_1) | instid1(VALU_DEP_1)
	v_lshlrev_b64 v[3:4], 3, v[9:10]
	s_waitcnt lgkmcnt(0)
	v_add_co_u32 v3, s2, s8, v3
	s_delay_alu instid0(VALU_DEP_1) | instskip(SKIP_3) | instid1(VALU_DEP_1)
	v_add_co_ci_u32_e64 v4, s2, s9, v4, s2
	global_load_b64 v[3:4], v[3:4], off
	s_waitcnt vmcnt(0)
	v_sub_co_u32 v3, s2, v3, s12
	v_subrev_co_ci_u32_e64 v4, s2, 0, v4, s2
.LBB119_6:
	s_or_b32 exec_lo, exec_lo, s3
	s_cmp_lt_i32 s5, 1
	s_cbranch_scc1 .LBB119_21
; %bb.7:
	s_load_b64 s[14:15], s[0:1], 0x40
	v_mov_b32_e32 v5, 0
	v_mul_lo_u32 v11, v6, s6
	v_lshlrev_b32_e32 v6, 3, v6
	v_and_b32_e32 v21, 7, v0
	v_bfrev_b32_e32 v30, 0.5
	v_mov_b32_e32 v10, v5
	v_mov_b32_e32 v12, v5
	v_and_or_b32 v0, 0xc0, v0, v6
	v_lshlrev_b32_e32 v13, 3, v21
	v_mul_lo_u32 v9, v21, s6
	v_cmp_gt_u32_e64 s2, s6, v21
	v_lshlrev_b64 v[11:12], 3, v[11:12]
	v_or_b32_e32 v14, v0, v21
	v_mov_b32_e32 v34, 1
	s_delay_alu instid0(VALU_DEP_4)
	s_and_b32 s4, vcc_lo, s2
	s_load_b64 s[2:3], s[0:1], 0x50
	v_lshlrev_b64 v[9:10], 3, v[9:10]
	s_load_b64 s[8:9], s[0:1], 0x30
	s_cmp_eq_u32 s10, 0
	s_load_b64 s[10:11], s[0:1], 0x20
	s_mov_b32 s1, 0
	s_waitcnt lgkmcnt(0)
	v_add_co_u32 v9, vcc_lo, s14, v9
	v_add_co_ci_u32_e32 v10, vcc_lo, s15, v10, vcc_lo
	v_add_co_u32 v11, vcc_lo, s14, v11
	v_add_co_ci_u32_e32 v12, vcc_lo, s15, v12, vcc_lo
	s_delay_alu instid0(VALU_DEP_4) | instskip(NEXT) | instid1(VALU_DEP_4)
	v_add_co_u32 v9, vcc_lo, v9, v6
	v_add_co_ci_u32_e32 v10, vcc_lo, 0, v10, vcc_lo
	s_delay_alu instid0(VALU_DEP_4) | instskip(SKIP_4) | instid1(VALU_DEP_2)
	v_add_co_u32 v11, vcc_lo, v11, v13
	v_mbcnt_lo_u32_b32 v13, -1, 0
	v_add_co_ci_u32_e32 v12, vcc_lo, 0, v12, vcc_lo
	s_cselect_b32 vcc_lo, -1, 0
	s_abs_i32 s13, s6
	v_xor_b32_e32 v15, 4, v13
	v_cvt_f32_u32_e32 v6, s13
	v_xor_b32_e32 v16, 2, v13
	v_dual_cndmask_b32 v31, v10, v12 :: v_dual_lshlrev_b32 v22, 3, v14
	s_delay_alu instid0(VALU_DEP_4) | instskip(NEXT) | instid1(VALU_DEP_4)
	v_cmp_gt_i32_e64 s0, 32, v15
	v_rcp_iflag_f32_e32 v6, v6
	v_xor_b32_e32 v14, 1, v13
	v_xor_b32_e32 v17, 8, v13
	v_cndmask_b32_e32 v32, v9, v11, vcc_lo
	v_cndmask_b32_e64 v15, v13, v15, s0
	v_cmp_gt_i32_e64 s0, 32, v16
	v_mov_b32_e32 v9, 0
	v_lshl_or_b32 v26, v13, 2, 28
	s_delay_alu instid0(VALU_DEP_4) | instskip(NEXT) | instid1(VALU_DEP_4)
	v_dual_mov_b32 v10, 0 :: v_dual_lshlrev_b32 v23, 2, v15
	v_cndmask_b32_e64 v16, v13, v16, s0
	v_cmp_gt_i32_e64 s0, 32, v14
	v_mul_f32_e32 v6, 0x4f7ffffe, v6
	v_xor_b32_e32 v15, 16, v13
	s_mul_hi_u32 s14, s6, s6
	v_lshlrev_b32_e32 v24, 2, v16
	v_cndmask_b32_e64 v14, v13, v14, s0
	v_cvt_u32_f32_e32 v6, v6
	s_sub_i32 s0, 0, s13
	s_mul_i32 s15, s6, s6
	s_ashr_i32 s16, s6, 31
	v_lshlrev_b32_e32 v25, 2, v14
	v_or_b32_e32 v14, 32, v13
	v_mul_lo_u32 v16, s0, v6
	s_delay_alu instid0(VALU_DEP_2) | instskip(NEXT) | instid1(VALU_DEP_2)
	v_cmp_gt_i32_e64 s0, 32, v14
	v_mul_hi_u32 v16, v6, v16
	s_delay_alu instid0(VALU_DEP_2) | instskip(SKIP_1) | instid1(VALU_DEP_2)
	v_cndmask_b32_e64 v14, v13, v14, s0
	v_cmp_gt_i32_e64 s0, 32, v15
	v_lshlrev_b32_e32 v27, 2, v14
	s_delay_alu instid0(VALU_DEP_2) | instskip(SKIP_2) | instid1(VALU_DEP_3)
	v_cndmask_b32_e64 v15, v13, v15, s0
	v_cmp_gt_i32_e64 s0, 32, v17
	v_dual_mov_b32 v6, v5 :: v_dual_add_nc_u32 v33, v6, v16
	v_lshlrev_b32_e32 v28, 2, v15
	s_delay_alu instid0(VALU_DEP_3) | instskip(NEXT) | instid1(VALU_DEP_1)
	v_cndmask_b32_e64 v17, v13, v17, s0
	v_lshlrev_b32_e32 v29, 2, v17
	s_branch .LBB119_10
.LBB119_8:                              ;   in Loop: Header=BB119_10 Depth=1
	s_or_b32 exec_lo, exec_lo, s17
	v_mov_b32_e32 v10, 1
	v_mov_b32_e32 v11, 0
.LBB119_9:                              ;   in Loop: Header=BB119_10 Depth=1
	s_or_b32 exec_lo, exec_lo, s0
	ds_bpermute_b32 v9, v27, v35
	v_add_co_u32 v3, s0, v10, v3
	s_delay_alu instid0(VALU_DEP_1)
	v_add_co_ci_u32_e64 v4, s0, v11, v4, s0
	s_waitcnt lgkmcnt(0)
	s_waitcnt_vscnt null, 0x0
	buffer_gl0_inv
	buffer_gl0_inv
	v_min_i32_e32 v9, v9, v35
	ds_bpermute_b32 v12, v28, v9
	s_waitcnt lgkmcnt(0)
	v_min_i32_e32 v9, v12, v9
	ds_bpermute_b32 v12, v29, v9
	s_waitcnt lgkmcnt(0)
	;; [unrolled: 3-line block ×6, first 2 shown]
	v_cmp_le_i32_e32 vcc_lo, s5, v9
	v_ashrrev_i32_e32 v10, 31, v9
	s_or_b32 s1, vcc_lo, s1
	s_delay_alu instid0(SALU_CYCLE_1)
	s_and_not1_b32 exec_lo, exec_lo, s1
	s_cbranch_execz .LBB119_21
.LBB119_10:                             ; =>This Loop Header: Depth=1
                                        ;     Child Loop BB119_13 Depth 2
	v_add_co_u32 v7, vcc_lo, v7, v21
	v_dual_mov_b32 v35, s5 :: v_dual_mov_b32 v16, v2
	v_add_co_ci_u32_e32 v8, vcc_lo, 0, v8, vcc_lo
	v_mov_b32_e32 v15, v1
	s_mov_b32 s17, exec_lo
	ds_store_b8 v20, v5 offset:2048
	ds_store_b64 v22, v[5:6]
	s_waitcnt lgkmcnt(0)
	buffer_gl0_inv
	v_cmpx_lt_i64_e64 v[7:8], v[1:2]
	s_cbranch_execz .LBB119_18
; %bb.11:                               ;   in Loop: Header=BB119_10 Depth=1
	v_lshlrev_b64 v[11:12], 3, v[7:8]
	v_lshlrev_b64 v[13:14], 2, v[7:8]
	v_dual_mov_b32 v35, s5 :: v_dual_mov_b32 v16, v2
	v_mov_b32_e32 v15, v1
	s_mov_b32 s18, 0
	s_delay_alu instid0(VALU_DEP_4)
	v_add_co_u32 v11, vcc_lo, s10, v11
	v_add_co_ci_u32_e32 v12, vcc_lo, s11, v12, vcc_lo
	v_add_co_u32 v13, vcc_lo, s8, v13
	v_add_co_ci_u32_e32 v14, vcc_lo, s9, v14, vcc_lo
	s_branch .LBB119_13
.LBB119_12:                             ;   in Loop: Header=BB119_13 Depth=2
	s_or_b32 exec_lo, exec_lo, s0
	v_add_co_u32 v7, s0, v7, 8
	s_delay_alu instid0(VALU_DEP_1) | instskip(SKIP_2) | instid1(VALU_DEP_2)
	v_add_co_ci_u32_e64 v8, s0, 0, v8, s0
	s_xor_b32 s19, vcc_lo, -1
	v_add_co_u32 v11, vcc_lo, v11, 64
	v_cmp_ge_i64_e64 s0, v[7:8], v[1:2]
	v_add_co_ci_u32_e32 v12, vcc_lo, 0, v12, vcc_lo
	v_add_co_u32 v13, vcc_lo, v13, 32
	v_add_co_ci_u32_e32 v14, vcc_lo, 0, v14, vcc_lo
	s_delay_alu instid0(VALU_DEP_4) | instskip(NEXT) | instid1(SALU_CYCLE_1)
	s_or_b32 s0, s19, s0
	s_and_b32 s0, exec_lo, s0
	s_delay_alu instid0(SALU_CYCLE_1) | instskip(NEXT) | instid1(SALU_CYCLE_1)
	s_or_b32 s18, s0, s18
	s_and_not1_b32 exec_lo, exec_lo, s18
	s_cbranch_execz .LBB119_17
.LBB119_13:                             ;   Parent Loop BB119_10 Depth=1
                                        ; =>  This Inner Loop Header: Depth=2
	global_load_b32 v17, v[13:14], off
	s_waitcnt vmcnt(0)
	v_subrev_nc_u32_e32 v36, s7, v17
	s_delay_alu instid0(VALU_DEP_1) | instskip(NEXT) | instid1(VALU_DEP_1)
	v_sub_nc_u32_e32 v17, 0, v36
	v_max_i32_e32 v17, v36, v17
	s_delay_alu instid0(VALU_DEP_1) | instskip(NEXT) | instid1(VALU_DEP_1)
	v_mul_hi_u32 v18, v17, v33
	v_mul_lo_u32 v19, v18, s13
	s_delay_alu instid0(VALU_DEP_1) | instskip(SKIP_1) | instid1(VALU_DEP_2)
	v_sub_nc_u32_e32 v17, v17, v19
	v_add_nc_u32_e32 v19, 1, v18
	v_subrev_nc_u32_e32 v37, s13, v17
	v_cmp_le_u32_e32 vcc_lo, s13, v17
	s_delay_alu instid0(VALU_DEP_2) | instskip(SKIP_1) | instid1(VALU_DEP_2)
	v_dual_cndmask_b32 v18, v18, v19 :: v_dual_cndmask_b32 v17, v17, v37
	v_ashrrev_i32_e32 v19, 31, v36
	v_add_nc_u32_e32 v37, 1, v18
	s_delay_alu instid0(VALU_DEP_3) | instskip(NEXT) | instid1(VALU_DEP_3)
	v_cmp_le_u32_e32 vcc_lo, s13, v17
	v_xor_b32_e32 v19, s16, v19
	s_delay_alu instid0(VALU_DEP_3) | instskip(NEXT) | instid1(VALU_DEP_1)
	v_cndmask_b32_e32 v17, v18, v37, vcc_lo
	v_xor_b32_e32 v17, v17, v19
	s_delay_alu instid0(VALU_DEP_1) | instskip(NEXT) | instid1(VALU_DEP_1)
	v_sub_nc_u32_e32 v17, v17, v19
	v_ashrrev_i32_e32 v18, 31, v17
	s_delay_alu instid0(VALU_DEP_1) | instskip(SKIP_2) | instid1(VALU_DEP_2)
	v_cmp_eq_u64_e32 vcc_lo, v[9:10], v[17:18]
	v_cmp_ne_u64_e64 s0, v[9:10], v[17:18]
	v_dual_mov_b32 v19, v16 :: v_dual_mov_b32 v18, v15
	s_and_saveexec_b32 s19, s0
	s_delay_alu instid0(SALU_CYCLE_1)
	s_xor_b32 s0, exec_lo, s19
; %bb.14:                               ;   in Loop: Header=BB119_13 Depth=2
	v_min_i32_e32 v35, v17, v35
                                        ; implicit-def: $vgpr17
                                        ; implicit-def: $vgpr36
                                        ; implicit-def: $vgpr18_vgpr19
; %bb.15:                               ;   in Loop: Header=BB119_13 Depth=2
	s_or_saveexec_b32 s0, s0
	v_dual_mov_b32 v16, v8 :: v_dual_mov_b32 v15, v7
	s_xor_b32 exec_lo, exec_lo, s0
	s_cbranch_execz .LBB119_12
; %bb.16:                               ;   in Loop: Header=BB119_13 Depth=2
	global_load_b64 v[37:38], v[11:12], off
	v_mul_lo_u32 v15, v17, s6
	s_delay_alu instid0(VALU_DEP_1) | instskip(NEXT) | instid1(VALU_DEP_1)
	v_sub_nc_u32_e32 v15, v36, v15
	v_add_lshl_u32 v17, v15, v0, 3
	v_dual_mov_b32 v15, v18 :: v_dual_mov_b32 v16, v19
	ds_store_b8 v20, v34 offset:2048
	s_waitcnt vmcnt(0)
	ds_store_b64 v17, v[37:38]
	s_branch .LBB119_12
.LBB119_17:                             ;   in Loop: Header=BB119_10 Depth=1
	s_or_b32 exec_lo, exec_lo, s18
.LBB119_18:                             ;   in Loop: Header=BB119_10 Depth=1
	s_delay_alu instid0(SALU_CYCLE_1)
	s_or_b32 exec_lo, exec_lo, s17
	ds_bpermute_b32 v7, v23, v15
	ds_bpermute_b32 v8, v23, v16
	s_waitcnt lgkmcnt(0)
	buffer_gl0_inv
	ds_load_u8 v12, v20 offset:2048
	s_mov_b32 s0, exec_lo
	v_cmp_lt_i64_e32 vcc_lo, v[7:8], v[15:16]
	s_waitcnt lgkmcnt(0)
	v_and_b32_e32 v12, 1, v12
	v_dual_cndmask_b32 v8, v16, v8 :: v_dual_cndmask_b32 v7, v15, v7
	ds_bpermute_b32 v11, v24, v8
	ds_bpermute_b32 v10, v24, v7
	s_waitcnt lgkmcnt(0)
	v_cmp_lt_i64_e32 vcc_lo, v[10:11], v[7:8]
	v_dual_cndmask_b32 v8, v8, v11 :: v_dual_cndmask_b32 v7, v7, v10
	ds_bpermute_b32 v11, v25, v8
	ds_bpermute_b32 v10, v25, v7
	s_waitcnt lgkmcnt(0)
	v_cmp_lt_i64_e32 vcc_lo, v[10:11], v[7:8]
	v_dual_cndmask_b32 v8, v8, v11 :: v_dual_cndmask_b32 v7, v7, v10
	v_mov_b32_e32 v10, 0
	v_mov_b32_e32 v11, 0
	ds_bpermute_b32 v8, v26, v8
	ds_bpermute_b32 v7, v26, v7
	v_cmpx_eq_u32_e32 1, v12
	s_cbranch_execz .LBB119_9
; %bb.19:                               ;   in Loop: Header=BB119_10 Depth=1
	v_lshlrev_b64 v[10:11], 2, v[3:4]
	v_add_nc_u32_e32 v12, s12, v9
	s_delay_alu instid0(VALU_DEP_2) | instskip(NEXT) | instid1(VALU_DEP_3)
	v_add_co_u32 v9, vcc_lo, s2, v10
	v_add_co_ci_u32_e32 v10, vcc_lo, s3, v11, vcc_lo
	global_store_b32 v[9:10], v12, off
	s_and_saveexec_b32 s17, s4
	s_cbranch_execz .LBB119_8
; %bb.20:                               ;   in Loop: Header=BB119_10 Depth=1
	v_mul_lo_u32 v13, s14, v3
	v_mul_lo_u32 v14, s15, v4
	v_mad_u64_u32 v[9:10], null, s15, v3, 0
	ds_load_b64 v[11:12], v22
	v_add3_u32 v10, v10, v14, v13
	s_delay_alu instid0(VALU_DEP_1) | instskip(NEXT) | instid1(VALU_DEP_1)
	v_lshlrev_b64 v[9:10], 3, v[9:10]
	v_add_co_u32 v9, vcc_lo, v32, v9
	s_delay_alu instid0(VALU_DEP_2)
	v_add_co_ci_u32_e32 v10, vcc_lo, v31, v10, vcc_lo
	s_waitcnt lgkmcnt(0)
	global_store_b64 v[9:10], v[11:12], off
	s_branch .LBB119_8
.LBB119_21:
	s_endpgm
	.section	.rodata,"a",@progbits
	.p2align	6, 0x0
	.amdhsa_kernel _ZN9rocsparseL42csr2bsr_wavefront_per_row_multipass_kernelILj256ELj64ELj8EdliEEv20rocsparse_direction_T4_S2_S2_S2_S2_21rocsparse_index_base_PKT2_PKT3_PKS2_S3_PS4_PS7_PS2_
		.amdhsa_group_segment_fixed_size 2056
		.amdhsa_private_segment_fixed_size 0
		.amdhsa_kernarg_size 88
		.amdhsa_user_sgpr_count 15
		.amdhsa_user_sgpr_dispatch_ptr 0
		.amdhsa_user_sgpr_queue_ptr 0
		.amdhsa_user_sgpr_kernarg_segment_ptr 1
		.amdhsa_user_sgpr_dispatch_id 0
		.amdhsa_user_sgpr_private_segment_size 0
		.amdhsa_wavefront_size32 1
		.amdhsa_uses_dynamic_stack 0
		.amdhsa_enable_private_segment 0
		.amdhsa_system_sgpr_workgroup_id_x 1
		.amdhsa_system_sgpr_workgroup_id_y 0
		.amdhsa_system_sgpr_workgroup_id_z 0
		.amdhsa_system_sgpr_workgroup_info 0
		.amdhsa_system_vgpr_workitem_id 0
		.amdhsa_next_free_vgpr 39
		.amdhsa_next_free_sgpr 20
		.amdhsa_reserve_vcc 1
		.amdhsa_float_round_mode_32 0
		.amdhsa_float_round_mode_16_64 0
		.amdhsa_float_denorm_mode_32 3
		.amdhsa_float_denorm_mode_16_64 3
		.amdhsa_dx10_clamp 1
		.amdhsa_ieee_mode 1
		.amdhsa_fp16_overflow 0
		.amdhsa_workgroup_processor_mode 1
		.amdhsa_memory_ordered 1
		.amdhsa_forward_progress 0
		.amdhsa_shared_vgpr_count 0
		.amdhsa_exception_fp_ieee_invalid_op 0
		.amdhsa_exception_fp_denorm_src 0
		.amdhsa_exception_fp_ieee_div_zero 0
		.amdhsa_exception_fp_ieee_overflow 0
		.amdhsa_exception_fp_ieee_underflow 0
		.amdhsa_exception_fp_ieee_inexact 0
		.amdhsa_exception_int_div_zero 0
	.end_amdhsa_kernel
	.section	.text._ZN9rocsparseL42csr2bsr_wavefront_per_row_multipass_kernelILj256ELj64ELj8EdliEEv20rocsparse_direction_T4_S2_S2_S2_S2_21rocsparse_index_base_PKT2_PKT3_PKS2_S3_PS4_PS7_PS2_,"axG",@progbits,_ZN9rocsparseL42csr2bsr_wavefront_per_row_multipass_kernelILj256ELj64ELj8EdliEEv20rocsparse_direction_T4_S2_S2_S2_S2_21rocsparse_index_base_PKT2_PKT3_PKS2_S3_PS4_PS7_PS2_,comdat
.Lfunc_end119:
	.size	_ZN9rocsparseL42csr2bsr_wavefront_per_row_multipass_kernelILj256ELj64ELj8EdliEEv20rocsparse_direction_T4_S2_S2_S2_S2_21rocsparse_index_base_PKT2_PKT3_PKS2_S3_PS4_PS7_PS2_, .Lfunc_end119-_ZN9rocsparseL42csr2bsr_wavefront_per_row_multipass_kernelILj256ELj64ELj8EdliEEv20rocsparse_direction_T4_S2_S2_S2_S2_21rocsparse_index_base_PKT2_PKT3_PKS2_S3_PS4_PS7_PS2_
                                        ; -- End function
	.section	.AMDGPU.csdata,"",@progbits
; Kernel info:
; codeLenInByte = 1800
; NumSgprs: 22
; NumVgprs: 39
; ScratchSize: 0
; MemoryBound: 0
; FloatMode: 240
; IeeeMode: 1
; LDSByteSize: 2056 bytes/workgroup (compile time only)
; SGPRBlocks: 2
; VGPRBlocks: 4
; NumSGPRsForWavesPerEU: 22
; NumVGPRsForWavesPerEU: 39
; Occupancy: 16
; WaveLimiterHint : 0
; COMPUTE_PGM_RSRC2:SCRATCH_EN: 0
; COMPUTE_PGM_RSRC2:USER_SGPR: 15
; COMPUTE_PGM_RSRC2:TRAP_HANDLER: 0
; COMPUTE_PGM_RSRC2:TGID_X_EN: 1
; COMPUTE_PGM_RSRC2:TGID_Y_EN: 0
; COMPUTE_PGM_RSRC2:TGID_Z_EN: 0
; COMPUTE_PGM_RSRC2:TIDIG_COMP_CNT: 0
	.section	.text._ZN9rocsparseL42csr2bsr_wavefront_per_row_multipass_kernelILj256ELj32ELj8EdliEEv20rocsparse_direction_T4_S2_S2_S2_S2_21rocsparse_index_base_PKT2_PKT3_PKS2_S3_PS4_PS7_PS2_,"axG",@progbits,_ZN9rocsparseL42csr2bsr_wavefront_per_row_multipass_kernelILj256ELj32ELj8EdliEEv20rocsparse_direction_T4_S2_S2_S2_S2_21rocsparse_index_base_PKT2_PKT3_PKS2_S3_PS4_PS7_PS2_,comdat
	.globl	_ZN9rocsparseL42csr2bsr_wavefront_per_row_multipass_kernelILj256ELj32ELj8EdliEEv20rocsparse_direction_T4_S2_S2_S2_S2_21rocsparse_index_base_PKT2_PKT3_PKS2_S3_PS4_PS7_PS2_ ; -- Begin function _ZN9rocsparseL42csr2bsr_wavefront_per_row_multipass_kernelILj256ELj32ELj8EdliEEv20rocsparse_direction_T4_S2_S2_S2_S2_21rocsparse_index_base_PKT2_PKT3_PKS2_S3_PS4_PS7_PS2_
	.p2align	8
	.type	_ZN9rocsparseL42csr2bsr_wavefront_per_row_multipass_kernelILj256ELj32ELj8EdliEEv20rocsparse_direction_T4_S2_S2_S2_S2_21rocsparse_index_base_PKT2_PKT3_PKS2_S3_PS4_PS7_PS2_,@function
_ZN9rocsparseL42csr2bsr_wavefront_per_row_multipass_kernelILj256ELj32ELj8EdliEEv20rocsparse_direction_T4_S2_S2_S2_S2_21rocsparse_index_base_PKT2_PKT3_PKS2_S3_PS4_PS7_PS2_: ; @_ZN9rocsparseL42csr2bsr_wavefront_per_row_multipass_kernelILj256ELj32ELj8EdliEEv20rocsparse_direction_T4_S2_S2_S2_S2_21rocsparse_index_base_PKT2_PKT3_PKS2_S3_PS4_PS7_PS2_
; %bb.0:
	s_clause 0x1
	s_load_b128 s[4:7], s[0:1], 0xc
	s_load_b64 s[16:17], s[0:1], 0x0
	v_lshrrev_b32_e32 v26, 5, v0
	v_bfe_u32 v5, v0, 2, 3
	s_load_b64 s[8:9], s[0:1], 0x28
	v_mov_b32_e32 v1, 0
	v_mov_b32_e32 v2, 0
	v_lshl_or_b32 v9, s15, 3, v26
	s_delay_alu instid0(VALU_DEP_2) | instskip(SKIP_1) | instid1(VALU_DEP_2)
	v_dual_mov_b32 v8, v2 :: v_dual_mov_b32 v7, v1
	s_waitcnt lgkmcnt(0)
	v_mad_u64_u32 v[3:4], null, v9, s6, v[5:6]
	v_cmp_gt_i32_e32 vcc_lo, s6, v5
	s_delay_alu instid0(VALU_DEP_2) | instskip(NEXT) | instid1(VALU_DEP_1)
	v_cmp_gt_i32_e64 s2, s17, v3
	s_and_b32 s3, vcc_lo, s2
	s_delay_alu instid0(SALU_CYCLE_1)
	s_and_saveexec_b32 s10, s3
	s_cbranch_execz .LBB120_2
; %bb.1:
	v_ashrrev_i32_e32 v4, 31, v3
	s_delay_alu instid0(VALU_DEP_1) | instskip(NEXT) | instid1(VALU_DEP_1)
	v_lshlrev_b64 v[6:7], 3, v[3:4]
	v_add_co_u32 v6, s2, s8, v6
	s_delay_alu instid0(VALU_DEP_1) | instskip(SKIP_3) | instid1(VALU_DEP_1)
	v_add_co_ci_u32_e64 v7, s2, s9, v7, s2
	global_load_b64 v[7:8], v[6:7], off
	s_waitcnt vmcnt(0)
	v_sub_co_u32 v7, s2, v7, s7
	v_subrev_co_ci_u32_e64 v8, s2, 0, v8, s2
.LBB120_2:
	s_or_b32 exec_lo, exec_lo, s10
	s_and_saveexec_b32 s10, s3
	s_cbranch_execz .LBB120_4
; %bb.3:
	v_ashrrev_i32_e32 v4, 31, v3
	s_delay_alu instid0(VALU_DEP_1) | instskip(NEXT) | instid1(VALU_DEP_1)
	v_lshlrev_b64 v[1:2], 3, v[3:4]
	v_add_co_u32 v1, s2, s8, v1
	s_delay_alu instid0(VALU_DEP_1) | instskip(SKIP_3) | instid1(VALU_DEP_1)
	v_add_co_ci_u32_e64 v2, s2, s9, v2, s2
	global_load_b64 v[1:2], v[1:2], off offset:8
	s_waitcnt vmcnt(0)
	v_sub_co_u32 v1, s2, v1, s7
	v_subrev_co_ci_u32_e64 v2, s2, 0, v2, s2
.LBB120_4:
	s_or_b32 exec_lo, exec_lo, s10
	s_load_b32 s14, s[0:1], 0x38
	v_mov_b32_e32 v3, 0
	v_mov_b32_e32 v4, 0
	s_mov_b32 s3, exec_lo
	v_cmpx_gt_i32_e64 s4, v9
	s_cbranch_execz .LBB120_6
; %bb.5:
	s_load_b64 s[8:9], s[0:1], 0x48
	v_ashrrev_i32_e32 v10, 31, v9
	s_delay_alu instid0(VALU_DEP_1) | instskip(SKIP_1) | instid1(VALU_DEP_1)
	v_lshlrev_b64 v[3:4], 3, v[9:10]
	s_waitcnt lgkmcnt(0)
	v_add_co_u32 v3, s2, s8, v3
	s_delay_alu instid0(VALU_DEP_1) | instskip(SKIP_3) | instid1(VALU_DEP_1)
	v_add_co_ci_u32_e64 v4, s2, s9, v4, s2
	global_load_b64 v[3:4], v[3:4], off
	s_waitcnt vmcnt(0)
	v_sub_co_u32 v3, s2, v3, s14
	v_subrev_co_ci_u32_e64 v4, s2, 0, v4, s2
.LBB120_6:
	s_or_b32 exec_lo, exec_lo, s3
	s_cmp_lt_i32 s5, 1
	s_cbranch_scc1 .LBB120_30
; %bb.7:
	v_mbcnt_lo_u32_b32 v11, -1, 0
	s_clause 0x3
	s_load_b64 s[8:9], s[0:1], 0x50
	s_load_b64 s[18:19], s[0:1], 0x40
	;; [unrolled: 1-line block ×4, first 2 shown]
	s_cmp_lg_u32 s16, 0
	v_lshlrev_b32_e32 v9, 3, v5
	v_xor_b32_e32 v6, 2, v11
	v_xor_b32_e32 v10, 1, v11
	s_cselect_b32 s4, -1, 0
	s_abs_i32 s15, s6
	s_mov_b32 s12, 0
	v_cmp_gt_i32_e64 s0, 32, v6
	v_cvt_f32_u32_e32 v13, s15
	s_mov_b32 s13, s12
	v_mul_lo_u32 v5, v5, s6
	v_xor_b32_e32 v14, 8, v11
	v_cndmask_b32_e64 v12, v11, v6, s0
	v_mov_b32_e32 v6, 0
	v_cmp_gt_i32_e64 s0, 32, v10
	v_lshl_or_b32 v27, v26, 6, v9
	s_sub_i32 s1, 0, s15
	v_lshlrev_b32_e32 v28, 2, v12
	v_rcp_iflag_f32_e32 v12, v13
	v_xor_b32_e32 v13, 16, v11
	v_cndmask_b32_e64 v10, v11, v10, s0
	s_waitcnt lgkmcnt(0)
	v_add_co_u32 v31, s0, s18, v9
	s_delay_alu instid0(VALU_DEP_1) | instskip(SKIP_3) | instid1(TRANS32_DEP_1)
	v_add_co_ci_u32_e64 v32, null, s19, 0, s0
	v_cmp_gt_i32_e64 s0, 32, v13
	v_dual_mov_b32 v38, 0x7c :: v_dual_lshlrev_b32 v29, 2, v10
	v_lshlrev_b64 v[9:10], 3, v[5:6]
	v_mul_f32_e32 v5, 0x4f7ffffe, v12
	s_delay_alu instid0(VALU_DEP_4)
	v_cndmask_b32_e64 v12, v11, v13, s0
	v_cmp_gt_i32_e64 s0, 32, v14
	v_and_b32_e32 v0, 3, v0
	v_lshl_or_b32 v30, v11, 2, 12
	s_mul_hi_u32 s16, s6, s6
	v_lshlrev_b32_e32 v35, 2, v12
	v_cndmask_b32_e64 v13, v11, v14, s0
	v_add_co_u32 v33, s0, s18, v9
	v_xor_b32_e32 v14, 4, v11
	v_add_co_ci_u32_e64 v34, s0, s19, v10, s0
	s_delay_alu instid0(VALU_DEP_4) | instskip(SKIP_1) | instid1(VALU_DEP_4)
	v_lshlrev_b32_e32 v36, 2, v13
	v_cvt_u32_f32_e32 v15, v5
	v_cmp_gt_i32_e64 s0, 32, v14
	s_mul_i32 s17, s6, s6
	s_ashr_i32 s19, s6, 31
	s_delay_alu instid0(VALU_DEP_2) | instskip(NEXT) | instid1(VALU_DEP_2)
	v_mul_lo_u32 v9, s1, v15
	v_cndmask_b32_e64 v10, v11, v14, s0
	s_delay_alu instid0(VALU_DEP_1) | instskip(NEXT) | instid1(VALU_DEP_3)
	v_dual_mov_b32 v14, v6 :: v_dual_lshlrev_b32 v37, 2, v10
	v_mul_hi_u32 v9, v15, v9
	s_delay_alu instid0(VALU_DEP_1)
	v_dual_mov_b32 v15, 0 :: v_dual_add_nc_u32 v40, v15, v9
	v_mul_lo_u32 v5, v0, s6
	v_or_b32_e32 v12, 4, v0
	v_or_b32_e32 v11, v27, v0
	v_cmp_gt_u32_e64 s0, s6, v0
	v_dual_mov_b32 v9, s12 :: v_dual_mov_b32 v16, 0
	s_delay_alu instid0(VALU_DEP_4) | instskip(NEXT) | instid1(VALU_DEP_4)
	v_cmp_gt_u32_e64 s1, s6, v12
	v_dual_mov_b32 v10, s13 :: v_dual_lshlrev_b32 v39, 3, v11
	v_lshl_add_u32 v13, s6, 2, v5
	v_lshlrev_b64 v[11:12], 3, v[5:6]
	v_mov_b32_e32 v5, 1
	s_and_b32 s13, s0, vcc_lo
	s_and_b32 s18, vcc_lo, s1
	v_lshlrev_b64 v[13:14], 3, v[13:14]
	s_branch .LBB120_11
.LBB120_8:                              ;   in Loop: Header=BB120_11 Depth=1
	v_dual_mov_b32 v17, s1 :: v_dual_mov_b32 v16, s0
.LBB120_9:                              ;   in Loop: Header=BB120_11 Depth=1
	s_or_b32 exec_lo, exec_lo, s21
.LBB120_10:                             ;   in Loop: Header=BB120_11 Depth=1
	s_delay_alu instid0(SALU_CYCLE_1) | instskip(SKIP_2) | instid1(VALU_DEP_1)
	s_or_b32 exec_lo, exec_lo, s20
	ds_bpermute_b32 v15, v35, v41
	v_add_co_u32 v3, s0, v16, v3
	v_add_co_ci_u32_e64 v4, s0, v17, v4, s0
	s_waitcnt lgkmcnt(0)
	s_waitcnt_vscnt null, 0x0
	buffer_gl0_inv
	buffer_gl0_inv
	v_min_i32_e32 v15, v15, v41
	ds_bpermute_b32 v18, v36, v15
	s_waitcnt lgkmcnt(0)
	v_min_i32_e32 v15, v18, v15
	ds_bpermute_b32 v18, v37, v15
	s_waitcnt lgkmcnt(0)
	;; [unrolled: 3-line block ×5, first 2 shown]
	v_cmp_le_i32_e32 vcc_lo, s5, v15
	v_ashrrev_i32_e32 v16, 31, v15
	s_or_b32 s12, vcc_lo, s12
	s_delay_alu instid0(SALU_CYCLE_1)
	s_and_not1_b32 exec_lo, exec_lo, s12
	s_cbranch_execz .LBB120_30
.LBB120_11:                             ; =>This Loop Header: Depth=1
                                        ;     Child Loop BB120_14 Depth 2
	v_add_co_u32 v7, vcc_lo, v7, v0
	v_dual_mov_b32 v41, s5 :: v_dual_mov_b32 v22, v2
	v_add_co_ci_u32_e32 v8, vcc_lo, 0, v8, vcc_lo
	v_mov_b32_e32 v21, v1
	s_mov_b32 s1, exec_lo
	ds_store_b8 v26, v6 offset:4096
	ds_store_2addr_b64 v39, v[9:10], v[9:10] offset1:4
	s_waitcnt lgkmcnt(0)
	buffer_gl0_inv
	v_cmpx_lt_i64_e64 v[7:8], v[1:2]
	s_cbranch_execz .LBB120_19
; %bb.12:                               ;   in Loop: Header=BB120_11 Depth=1
	v_lshlrev_b64 v[17:18], 3, v[7:8]
	v_lshlrev_b64 v[19:20], 2, v[7:8]
	v_dual_mov_b32 v41, s5 :: v_dual_mov_b32 v22, v2
	v_mov_b32_e32 v21, v1
	s_mov_b32 s20, 0
	s_delay_alu instid0(VALU_DEP_4)
	v_add_co_u32 v17, vcc_lo, s2, v17
	v_add_co_ci_u32_e32 v18, vcc_lo, s3, v18, vcc_lo
	v_add_co_u32 v19, vcc_lo, s10, v19
	v_add_co_ci_u32_e32 v20, vcc_lo, s11, v20, vcc_lo
	s_branch .LBB120_14
.LBB120_13:                             ;   in Loop: Header=BB120_14 Depth=2
	s_or_b32 exec_lo, exec_lo, s0
	v_add_co_u32 v7, s0, v7, 4
	s_delay_alu instid0(VALU_DEP_1) | instskip(SKIP_2) | instid1(VALU_DEP_2)
	v_add_co_ci_u32_e64 v8, s0, 0, v8, s0
	s_xor_b32 s21, vcc_lo, -1
	v_add_co_u32 v17, vcc_lo, v17, 32
	v_cmp_ge_i64_e64 s0, v[7:8], v[1:2]
	v_add_co_ci_u32_e32 v18, vcc_lo, 0, v18, vcc_lo
	v_add_co_u32 v19, vcc_lo, v19, 16
	v_add_co_ci_u32_e32 v20, vcc_lo, 0, v20, vcc_lo
	s_delay_alu instid0(VALU_DEP_4) | instskip(NEXT) | instid1(SALU_CYCLE_1)
	s_or_b32 s0, s21, s0
	s_and_b32 s0, exec_lo, s0
	s_delay_alu instid0(SALU_CYCLE_1) | instskip(NEXT) | instid1(SALU_CYCLE_1)
	s_or_b32 s20, s0, s20
	s_and_not1_b32 exec_lo, exec_lo, s20
	s_cbranch_execz .LBB120_18
.LBB120_14:                             ;   Parent Loop BB120_11 Depth=1
                                        ; =>  This Inner Loop Header: Depth=2
	global_load_b32 v23, v[19:20], off
	s_waitcnt vmcnt(0)
	v_subrev_nc_u32_e32 v42, s7, v23
	s_delay_alu instid0(VALU_DEP_1) | instskip(NEXT) | instid1(VALU_DEP_1)
	v_sub_nc_u32_e32 v23, 0, v42
	v_max_i32_e32 v23, v42, v23
	s_delay_alu instid0(VALU_DEP_1) | instskip(NEXT) | instid1(VALU_DEP_1)
	v_mul_hi_u32 v24, v23, v40
	v_mul_lo_u32 v25, v24, s15
	s_delay_alu instid0(VALU_DEP_1) | instskip(SKIP_1) | instid1(VALU_DEP_2)
	v_sub_nc_u32_e32 v23, v23, v25
	v_add_nc_u32_e32 v25, 1, v24
	v_subrev_nc_u32_e32 v43, s15, v23
	v_cmp_le_u32_e32 vcc_lo, s15, v23
	s_delay_alu instid0(VALU_DEP_2) | instskip(SKIP_1) | instid1(VALU_DEP_2)
	v_dual_cndmask_b32 v24, v24, v25 :: v_dual_cndmask_b32 v23, v23, v43
	v_ashrrev_i32_e32 v25, 31, v42
	v_add_nc_u32_e32 v43, 1, v24
	s_delay_alu instid0(VALU_DEP_3) | instskip(NEXT) | instid1(VALU_DEP_3)
	v_cmp_le_u32_e32 vcc_lo, s15, v23
	v_xor_b32_e32 v25, s19, v25
	s_delay_alu instid0(VALU_DEP_3) | instskip(NEXT) | instid1(VALU_DEP_1)
	v_cndmask_b32_e32 v23, v24, v43, vcc_lo
	v_xor_b32_e32 v23, v23, v25
	s_delay_alu instid0(VALU_DEP_1) | instskip(NEXT) | instid1(VALU_DEP_1)
	v_sub_nc_u32_e32 v23, v23, v25
	v_ashrrev_i32_e32 v24, 31, v23
	s_delay_alu instid0(VALU_DEP_1) | instskip(SKIP_2) | instid1(VALU_DEP_2)
	v_cmp_eq_u64_e32 vcc_lo, v[15:16], v[23:24]
	v_cmp_ne_u64_e64 s0, v[15:16], v[23:24]
	v_dual_mov_b32 v25, v22 :: v_dual_mov_b32 v24, v21
	s_and_saveexec_b32 s21, s0
	s_delay_alu instid0(SALU_CYCLE_1)
	s_xor_b32 s0, exec_lo, s21
; %bb.15:                               ;   in Loop: Header=BB120_14 Depth=2
	v_min_i32_e32 v41, v23, v41
                                        ; implicit-def: $vgpr23
                                        ; implicit-def: $vgpr42
                                        ; implicit-def: $vgpr24_vgpr25
; %bb.16:                               ;   in Loop: Header=BB120_14 Depth=2
	s_or_saveexec_b32 s0, s0
	v_dual_mov_b32 v22, v8 :: v_dual_mov_b32 v21, v7
	s_xor_b32 exec_lo, exec_lo, s0
	s_cbranch_execz .LBB120_13
; %bb.17:                               ;   in Loop: Header=BB120_14 Depth=2
	global_load_b64 v[43:44], v[17:18], off
	v_mul_lo_u32 v21, v23, s6
	s_delay_alu instid0(VALU_DEP_1) | instskip(NEXT) | instid1(VALU_DEP_1)
	v_sub_nc_u32_e32 v21, v42, v21
	v_add_lshl_u32 v23, v27, v21, 3
	v_dual_mov_b32 v21, v24 :: v_dual_mov_b32 v22, v25
	ds_store_b8 v26, v5 offset:4096
	s_waitcnt vmcnt(0)
	ds_store_b64 v23, v[43:44]
	s_branch .LBB120_13
.LBB120_18:                             ;   in Loop: Header=BB120_11 Depth=1
	s_or_b32 exec_lo, exec_lo, s20
.LBB120_19:                             ;   in Loop: Header=BB120_11 Depth=1
	s_delay_alu instid0(SALU_CYCLE_1)
	s_or_b32 exec_lo, exec_lo, s1
	ds_bpermute_b32 v7, v28, v21
	ds_bpermute_b32 v8, v28, v22
	s_waitcnt lgkmcnt(0)
	buffer_gl0_inv
	ds_load_u8 v18, v26 offset:4096
	s_mov_b32 s20, exec_lo
	v_cmp_lt_i64_e32 vcc_lo, v[7:8], v[21:22]
	s_waitcnt lgkmcnt(0)
	v_and_b32_e32 v18, 1, v18
	v_dual_cndmask_b32 v8, v22, v8 :: v_dual_cndmask_b32 v7, v21, v7
	ds_bpermute_b32 v17, v29, v8
	ds_bpermute_b32 v16, v29, v7
	s_waitcnt lgkmcnt(0)
	v_cmp_lt_i64_e32 vcc_lo, v[16:17], v[7:8]
	v_dual_cndmask_b32 v8, v8, v17 :: v_dual_cndmask_b32 v7, v7, v16
	v_mov_b32_e32 v16, 0
	v_mov_b32_e32 v17, 0
	ds_bpermute_b32 v8, v30, v8
	ds_bpermute_b32 v7, v30, v7
	v_cmpx_eq_u32_e32 1, v18
	s_cbranch_execz .LBB120_10
; %bb.20:                               ;   in Loop: Header=BB120_11 Depth=1
	v_mul_lo_u32 v18, s16, v3
	v_mul_lo_u32 v19, s17, v4
	v_mad_u64_u32 v[16:17], null, s17, v3, 0
	v_add_nc_u32_e32 v23, s14, v15
	s_delay_alu instid0(VALU_DEP_2) | instskip(SKIP_1) | instid1(VALU_DEP_2)
	v_add3_u32 v17, v17, v19, v18
	v_lshlrev_b64 v[18:19], 2, v[3:4]
	v_lshlrev_b64 v[15:16], 3, v[16:17]
	s_delay_alu instid0(VALU_DEP_2) | instskip(NEXT) | instid1(VALU_DEP_3)
	v_add_co_u32 v21, vcc_lo, s8, v18
	v_add_co_ci_u32_e32 v22, vcc_lo, s9, v19, vcc_lo
	s_delay_alu instid0(VALU_DEP_3) | instskip(NEXT) | instid1(VALU_DEP_4)
	v_add_co_u32 v19, vcc_lo, v31, v15
	v_add_co_ci_u32_e32 v20, vcc_lo, v32, v16, vcc_lo
	v_add_co_u32 v15, vcc_lo, v33, v15
	v_add_co_ci_u32_e32 v18, vcc_lo, v34, v16, vcc_lo
	global_store_b32 v[21:22], v23, off
	s_and_saveexec_b32 s0, s13
	s_cbranch_execz .LBB120_24
; %bb.21:                               ;   in Loop: Header=BB120_11 Depth=1
	s_and_b32 vcc_lo, exec_lo, s4
	s_cbranch_vccz .LBB120_27
; %bb.22:                               ;   in Loop: Header=BB120_11 Depth=1
	ds_load_b64 v[16:17], v39
	v_add_co_u32 v21, vcc_lo, v19, v11
	v_add_co_ci_u32_e32 v22, vcc_lo, v20, v12, vcc_lo
	s_waitcnt lgkmcnt(0)
	global_store_b64 v[21:22], v[16:17], off
	s_cbranch_execnz .LBB120_24
.LBB120_23:                             ;   in Loop: Header=BB120_11 Depth=1
	ds_load_b64 v[16:17], v39
	v_lshlrev_b32_e32 v21, 3, v0
	s_delay_alu instid0(VALU_DEP_1)
	v_add_co_u32 v21, vcc_lo, v15, v21
	v_add_co_ci_u32_e32 v22, vcc_lo, 0, v18, vcc_lo
	s_waitcnt lgkmcnt(0)
	global_store_b64 v[21:22], v[16:17], off
.LBB120_24:                             ;   in Loop: Header=BB120_11 Depth=1
	s_or_b32 exec_lo, exec_lo, s0
	v_mov_b32_e32 v16, 1
	v_mov_b32_e32 v17, 0
	s_and_saveexec_b32 s21, s18
	s_cbranch_execz .LBB120_9
; %bb.25:                               ;   in Loop: Header=BB120_11 Depth=1
	s_and_not1_b32 vcc_lo, exec_lo, s4
	s_cbranch_vccnz .LBB120_28
; %bb.26:                               ;   in Loop: Header=BB120_11 Depth=1
	ds_load_b64 v[16:17], v39 offset:32
	v_add_co_u32 v19, vcc_lo, v19, v13
	v_add_co_ci_u32_e32 v20, vcc_lo, v20, v14, vcc_lo
	s_mov_b64 s[0:1], 1
	s_waitcnt lgkmcnt(0)
	global_store_b64 v[19:20], v[16:17], off
	s_cbranch_execnz .LBB120_8
	s_branch .LBB120_29
.LBB120_27:                             ;   in Loop: Header=BB120_11 Depth=1
	s_branch .LBB120_23
.LBB120_28:                             ;   in Loop: Header=BB120_11 Depth=1
                                        ; implicit-def: $sgpr0_sgpr1
.LBB120_29:                             ;   in Loop: Header=BB120_11 Depth=1
	ds_load_b64 v[16:17], v39 offset:32
	v_lshlrev_b32_e32 v19, 3, v0
	s_mov_b64 s[0:1], 1
	s_delay_alu instid0(VALU_DEP_1)
	v_add_co_u32 v19, vcc_lo, v15, v19
	v_add_co_ci_u32_e32 v20, vcc_lo, 0, v18, vcc_lo
	s_waitcnt lgkmcnt(0)
	global_store_b64 v[19:20], v[16:17], off offset:32
	s_branch .LBB120_8
.LBB120_30:
	s_endpgm
	.section	.rodata,"a",@progbits
	.p2align	6, 0x0
	.amdhsa_kernel _ZN9rocsparseL42csr2bsr_wavefront_per_row_multipass_kernelILj256ELj32ELj8EdliEEv20rocsparse_direction_T4_S2_S2_S2_S2_21rocsparse_index_base_PKT2_PKT3_PKS2_S3_PS4_PS7_PS2_
		.amdhsa_group_segment_fixed_size 4104
		.amdhsa_private_segment_fixed_size 0
		.amdhsa_kernarg_size 88
		.amdhsa_user_sgpr_count 15
		.amdhsa_user_sgpr_dispatch_ptr 0
		.amdhsa_user_sgpr_queue_ptr 0
		.amdhsa_user_sgpr_kernarg_segment_ptr 1
		.amdhsa_user_sgpr_dispatch_id 0
		.amdhsa_user_sgpr_private_segment_size 0
		.amdhsa_wavefront_size32 1
		.amdhsa_uses_dynamic_stack 0
		.amdhsa_enable_private_segment 0
		.amdhsa_system_sgpr_workgroup_id_x 1
		.amdhsa_system_sgpr_workgroup_id_y 0
		.amdhsa_system_sgpr_workgroup_id_z 0
		.amdhsa_system_sgpr_workgroup_info 0
		.amdhsa_system_vgpr_workitem_id 0
		.amdhsa_next_free_vgpr 45
		.amdhsa_next_free_sgpr 22
		.amdhsa_reserve_vcc 1
		.amdhsa_float_round_mode_32 0
		.amdhsa_float_round_mode_16_64 0
		.amdhsa_float_denorm_mode_32 3
		.amdhsa_float_denorm_mode_16_64 3
		.amdhsa_dx10_clamp 1
		.amdhsa_ieee_mode 1
		.amdhsa_fp16_overflow 0
		.amdhsa_workgroup_processor_mode 1
		.amdhsa_memory_ordered 1
		.amdhsa_forward_progress 0
		.amdhsa_shared_vgpr_count 0
		.amdhsa_exception_fp_ieee_invalid_op 0
		.amdhsa_exception_fp_denorm_src 0
		.amdhsa_exception_fp_ieee_div_zero 0
		.amdhsa_exception_fp_ieee_overflow 0
		.amdhsa_exception_fp_ieee_underflow 0
		.amdhsa_exception_fp_ieee_inexact 0
		.amdhsa_exception_int_div_zero 0
	.end_amdhsa_kernel
	.section	.text._ZN9rocsparseL42csr2bsr_wavefront_per_row_multipass_kernelILj256ELj32ELj8EdliEEv20rocsparse_direction_T4_S2_S2_S2_S2_21rocsparse_index_base_PKT2_PKT3_PKS2_S3_PS4_PS7_PS2_,"axG",@progbits,_ZN9rocsparseL42csr2bsr_wavefront_per_row_multipass_kernelILj256ELj32ELj8EdliEEv20rocsparse_direction_T4_S2_S2_S2_S2_21rocsparse_index_base_PKT2_PKT3_PKS2_S3_PS4_PS7_PS2_,comdat
.Lfunc_end120:
	.size	_ZN9rocsparseL42csr2bsr_wavefront_per_row_multipass_kernelILj256ELj32ELj8EdliEEv20rocsparse_direction_T4_S2_S2_S2_S2_21rocsparse_index_base_PKT2_PKT3_PKS2_S3_PS4_PS7_PS2_, .Lfunc_end120-_ZN9rocsparseL42csr2bsr_wavefront_per_row_multipass_kernelILj256ELj32ELj8EdliEEv20rocsparse_direction_T4_S2_S2_S2_S2_21rocsparse_index_base_PKT2_PKT3_PKS2_S3_PS4_PS7_PS2_
                                        ; -- End function
	.section	.AMDGPU.csdata,"",@progbits
; Kernel info:
; codeLenInByte = 1932
; NumSgprs: 24
; NumVgprs: 45
; ScratchSize: 0
; MemoryBound: 0
; FloatMode: 240
; IeeeMode: 1
; LDSByteSize: 4104 bytes/workgroup (compile time only)
; SGPRBlocks: 2
; VGPRBlocks: 5
; NumSGPRsForWavesPerEU: 24
; NumVGPRsForWavesPerEU: 45
; Occupancy: 16
; WaveLimiterHint : 0
; COMPUTE_PGM_RSRC2:SCRATCH_EN: 0
; COMPUTE_PGM_RSRC2:USER_SGPR: 15
; COMPUTE_PGM_RSRC2:TRAP_HANDLER: 0
; COMPUTE_PGM_RSRC2:TGID_X_EN: 1
; COMPUTE_PGM_RSRC2:TGID_Y_EN: 0
; COMPUTE_PGM_RSRC2:TGID_Z_EN: 0
; COMPUTE_PGM_RSRC2:TIDIG_COMP_CNT: 0
	.section	.text._ZN9rocsparseL42csr2bsr_wavefront_per_row_multipass_kernelILj256ELj64ELj16EdliEEv20rocsparse_direction_T4_S2_S2_S2_S2_21rocsparse_index_base_PKT2_PKT3_PKS2_S3_PS4_PS7_PS2_,"axG",@progbits,_ZN9rocsparseL42csr2bsr_wavefront_per_row_multipass_kernelILj256ELj64ELj16EdliEEv20rocsparse_direction_T4_S2_S2_S2_S2_21rocsparse_index_base_PKT2_PKT3_PKS2_S3_PS4_PS7_PS2_,comdat
	.globl	_ZN9rocsparseL42csr2bsr_wavefront_per_row_multipass_kernelILj256ELj64ELj16EdliEEv20rocsparse_direction_T4_S2_S2_S2_S2_21rocsparse_index_base_PKT2_PKT3_PKS2_S3_PS4_PS7_PS2_ ; -- Begin function _ZN9rocsparseL42csr2bsr_wavefront_per_row_multipass_kernelILj256ELj64ELj16EdliEEv20rocsparse_direction_T4_S2_S2_S2_S2_21rocsparse_index_base_PKT2_PKT3_PKS2_S3_PS4_PS7_PS2_
	.p2align	8
	.type	_ZN9rocsparseL42csr2bsr_wavefront_per_row_multipass_kernelILj256ELj64ELj16EdliEEv20rocsparse_direction_T4_S2_S2_S2_S2_21rocsparse_index_base_PKT2_PKT3_PKS2_S3_PS4_PS7_PS2_,@function
_ZN9rocsparseL42csr2bsr_wavefront_per_row_multipass_kernelILj256ELj64ELj16EdliEEv20rocsparse_direction_T4_S2_S2_S2_S2_21rocsparse_index_base_PKT2_PKT3_PKS2_S3_PS4_PS7_PS2_: ; @_ZN9rocsparseL42csr2bsr_wavefront_per_row_multipass_kernelILj256ELj64ELj16EdliEEv20rocsparse_direction_T4_S2_S2_S2_S2_21rocsparse_index_base_PKT2_PKT3_PKS2_S3_PS4_PS7_PS2_
; %bb.0:
	s_clause 0x1
	s_load_b128 s[4:7], s[0:1], 0xc
	s_load_b64 s[16:17], s[0:1], 0x0
	v_lshrrev_b32_e32 v30, 6, v0
	v_bfe_u32 v9, v0, 2, 4
	s_load_b64 s[8:9], s[0:1], 0x28
	v_mov_b32_e32 v1, 0
	v_mov_b32_e32 v2, 0
	v_lshl_or_b32 v5, s15, 2, v30
	s_delay_alu instid0(VALU_DEP_2) | instskip(SKIP_1) | instid1(VALU_DEP_2)
	v_dual_mov_b32 v8, v2 :: v_dual_mov_b32 v7, v1
	s_waitcnt lgkmcnt(0)
	v_mad_u64_u32 v[3:4], null, v5, s6, v[9:10]
	v_cmp_gt_i32_e32 vcc_lo, s6, v9
	s_delay_alu instid0(VALU_DEP_2) | instskip(NEXT) | instid1(VALU_DEP_1)
	v_cmp_gt_i32_e64 s2, s17, v3
	s_and_b32 s3, vcc_lo, s2
	s_delay_alu instid0(SALU_CYCLE_1)
	s_and_saveexec_b32 s10, s3
	s_cbranch_execz .LBB121_2
; %bb.1:
	v_ashrrev_i32_e32 v4, 31, v3
	s_delay_alu instid0(VALU_DEP_1) | instskip(NEXT) | instid1(VALU_DEP_1)
	v_lshlrev_b64 v[6:7], 3, v[3:4]
	v_add_co_u32 v6, s2, s8, v6
	s_delay_alu instid0(VALU_DEP_1) | instskip(SKIP_3) | instid1(VALU_DEP_1)
	v_add_co_ci_u32_e64 v7, s2, s9, v7, s2
	global_load_b64 v[7:8], v[6:7], off
	s_waitcnt vmcnt(0)
	v_sub_co_u32 v7, s2, v7, s7
	v_subrev_co_ci_u32_e64 v8, s2, 0, v8, s2
.LBB121_2:
	s_or_b32 exec_lo, exec_lo, s10
	s_and_saveexec_b32 s10, s3
	s_cbranch_execz .LBB121_4
; %bb.3:
	v_ashrrev_i32_e32 v4, 31, v3
	s_delay_alu instid0(VALU_DEP_1) | instskip(NEXT) | instid1(VALU_DEP_1)
	v_lshlrev_b64 v[1:2], 3, v[3:4]
	v_add_co_u32 v1, s2, s8, v1
	s_delay_alu instid0(VALU_DEP_1) | instskip(SKIP_3) | instid1(VALU_DEP_1)
	v_add_co_ci_u32_e64 v2, s2, s9, v2, s2
	global_load_b64 v[1:2], v[1:2], off offset:8
	s_waitcnt vmcnt(0)
	v_sub_co_u32 v1, s2, v1, s7
	v_subrev_co_ci_u32_e64 v2, s2, 0, v2, s2
.LBB121_4:
	s_or_b32 exec_lo, exec_lo, s10
	s_load_b32 s17, s[0:1], 0x38
	v_mov_b32_e32 v3, 0
	v_mov_b32_e32 v4, 0
	s_mov_b32 s3, exec_lo
	v_cmpx_gt_i32_e64 s4, v5
	s_cbranch_execz .LBB121_6
; %bb.5:
	s_load_b64 s[8:9], s[0:1], 0x48
	v_ashrrev_i32_e32 v6, 31, v5
	s_delay_alu instid0(VALU_DEP_1) | instskip(SKIP_1) | instid1(VALU_DEP_1)
	v_lshlrev_b64 v[3:4], 3, v[5:6]
	s_waitcnt lgkmcnt(0)
	v_add_co_u32 v3, s2, s8, v3
	s_delay_alu instid0(VALU_DEP_1) | instskip(SKIP_3) | instid1(VALU_DEP_1)
	v_add_co_ci_u32_e64 v4, s2, s9, v4, s2
	global_load_b64 v[3:4], v[3:4], off
	s_waitcnt vmcnt(0)
	v_sub_co_u32 v3, s2, v3, s17
	v_subrev_co_ci_u32_e64 v4, s2, 0, v4, s2
.LBB121_6:
	s_or_b32 exec_lo, exec_lo, s3
	s_cmp_lt_i32 s5, 1
	s_cbranch_scc1 .LBB121_40
; %bb.7:
	v_mbcnt_lo_u32_b32 v11, -1, 0
	s_load_b64 s[8:9], s[0:1], 0x20
	v_lshlrev_b32_e32 v5, 8, v30
	s_clause 0x2
	s_load_b64 s[10:11], s[0:1], 0x50
	s_load_b64 s[2:3], s[0:1], 0x40
	;; [unrolled: 1-line block ×3, first 2 shown]
	s_mov_b32 s14, 0
	v_xor_b32_e32 v6, 2, v11
	v_xor_b32_e32 v10, 1, v11
	v_lshl_or_b32 v31, v9, 4, v5
	v_lshlrev_b32_e32 v12, 3, v9
	s_cmp_lg_u32 s16, 0
	v_cmp_gt_i32_e64 s0, 32, v6
	s_cselect_b32 s4, -1, 0
	s_abs_i32 s19, s6
	v_xor_b32_e32 v13, 4, v11
	v_lshl_or_b32 v34, v11, 2, 12
	v_cndmask_b32_e64 v5, v11, v6, s0
	v_cmp_gt_i32_e64 s0, 32, v10
	v_mov_b32_e32 v6, 0
	s_lshl_b32 s15, s6, 2
	v_bfrev_b32_e32 v43, 0.5
	v_dual_mov_b32 v19, 0 :: v_dual_lshlrev_b32 v32, 2, v5
	v_mul_lo_u32 v5, v9, s6
	v_cndmask_b32_e64 v10, v11, v10, s0
	s_waitcnt lgkmcnt(0)
	v_add_co_u32 v35, s0, s2, v12
	s_delay_alu instid0(VALU_DEP_1) | instskip(NEXT) | instid1(VALU_DEP_3)
	v_add_co_ci_u32_e64 v36, null, s3, 0, s0
	v_dual_mov_b32 v14, v6 :: v_dual_lshlrev_b32 v33, 2, v10
	v_lshlrev_b64 v[9:10], 3, v[5:6]
	v_or_b32_e32 v5, 32, v11
	v_xor_b32_e32 v12, 8, v11
	s_mul_hi_u32 s16, s6, s6
	s_mul_i32 s18, s6, s6
	v_mov_b32_e32 v16, v6
	v_add_co_u32 v37, s0, s2, v9
	s_delay_alu instid0(VALU_DEP_1)
	v_add_co_ci_u32_e64 v38, s0, s3, v10, s0
	v_xor_b32_e32 v9, 16, v11
	v_cmp_gt_i32_e64 s0, 32, v5
	v_cvt_f32_u32_e32 v10, s19
	v_mov_b32_e32 v18, v6
	v_mov_b32_e32 v20, 0
	s_delay_alu instid0(VALU_DEP_4) | instskip(SKIP_3) | instid1(VALU_DEP_3)
	v_cndmask_b32_e64 v5, v11, v5, s0
	v_cmp_gt_i32_e64 s0, 32, v9
	v_rcp_iflag_f32_e32 v10, v10
	v_and_b32_e32 v0, 3, v0
	v_lshlrev_b32_e32 v39, 2, v5
	s_delay_alu instid0(VALU_DEP_3) | instskip(SKIP_1) | instid1(VALU_DEP_2)
	v_cndmask_b32_e64 v9, v11, v9, s0
	v_cmp_gt_i32_e64 s0, 32, v12
	v_lshlrev_b32_e32 v40, 2, v9
	s_delay_alu instid0(VALU_DEP_2) | instskip(SKIP_1) | instid1(TRANS32_DEP_1)
	v_cndmask_b32_e64 v12, v11, v12, s0
	v_cmp_gt_i32_e64 s0, 32, v13
	v_mul_f32_e32 v9, 0x4f7ffffe, v10
	v_or_b32_e32 v10, v31, v0
	s_delay_alu instid0(VALU_DEP_4) | instskip(NEXT) | instid1(VALU_DEP_4)
	v_lshlrev_b32_e32 v41, 2, v12
	v_cndmask_b32_e64 v5, v11, v13, s0
	s_delay_alu instid0(VALU_DEP_4)
	v_cvt_u32_f32_e32 v9, v9
	s_sub_i32 s0, 0, s19
	v_lshlrev_b32_e32 v44, 3, v10
	v_or_b32_e32 v10, 4, v0
	v_lshlrev_b32_e32 v42, 2, v5
	v_mul_lo_u32 v5, v0, s6
	v_mul_lo_u32 v11, s0, v9
	v_or_b32_e32 v12, 12, v0
	v_cmp_gt_u32_e64 s1, s6, v10
	v_or_b32_e32 v10, 8, v0
	v_cmp_gt_u32_e64 s0, s6, v0
	s_delay_alu instid0(VALU_DEP_4)
	v_cmp_gt_u32_e64 s3, s6, v12
	v_add_nc_u32_e32 v13, s15, v5
	v_mul_hi_u32 v11, v9, v11
	v_cmp_gt_u32_e64 s2, s6, v10
	s_and_b32 s20, s0, vcc_lo
	s_and_b32 s21, vcc_lo, s1
	v_add_nc_u32_e32 v15, s15, v13
	v_lshlrev_b64 v[13:14], 3, v[13:14]
	s_and_b32 s2, vcc_lo, s2
	s_and_b32 s3, vcc_lo, s3
	v_add_nc_u32_e32 v45, v9, v11
	v_add_nc_u32_e32 v17, s15, v15
	s_mov_b32 s15, s14
	s_delay_alu instid0(SALU_CYCLE_1)
	v_dual_mov_b32 v9, s14 :: v_dual_mov_b32 v10, s15
	v_lshlrev_b64 v[11:12], 3, v[5:6]
	v_lshlrev_b64 v[15:16], 3, v[15:16]
	;; [unrolled: 1-line block ×3, first 2 shown]
	v_mov_b32_e32 v5, 1
	s_ashr_i32 s15, s6, 31
	s_branch .LBB121_11
.LBB121_8:                              ;   in Loop: Header=BB121_11 Depth=1
	v_dual_mov_b32 v21, s1 :: v_dual_mov_b32 v20, s0
.LBB121_9:                              ;   in Loop: Header=BB121_11 Depth=1
	s_or_b32 exec_lo, exec_lo, s23
.LBB121_10:                             ;   in Loop: Header=BB121_11 Depth=1
	s_delay_alu instid0(SALU_CYCLE_1) | instskip(SKIP_2) | instid1(VALU_DEP_1)
	s_or_b32 exec_lo, exec_lo, s22
	ds_bpermute_b32 v19, v39, v46
	v_add_co_u32 v3, s0, v20, v3
	v_add_co_ci_u32_e64 v4, s0, v21, v4, s0
	s_waitcnt lgkmcnt(0)
	s_waitcnt_vscnt null, 0x0
	buffer_gl0_inv
	buffer_gl0_inv
	v_min_i32_e32 v19, v19, v46
	ds_bpermute_b32 v22, v40, v19
	s_waitcnt lgkmcnt(0)
	v_min_i32_e32 v19, v22, v19
	ds_bpermute_b32 v22, v41, v19
	s_waitcnt lgkmcnt(0)
	;; [unrolled: 3-line block ×6, first 2 shown]
	v_cmp_le_i32_e32 vcc_lo, s5, v19
	v_ashrrev_i32_e32 v20, 31, v19
	s_or_b32 s14, vcc_lo, s14
	s_delay_alu instid0(SALU_CYCLE_1)
	s_and_not1_b32 exec_lo, exec_lo, s14
	s_cbranch_execz .LBB121_40
.LBB121_11:                             ; =>This Loop Header: Depth=1
                                        ;     Child Loop BB121_14 Depth 2
	v_add_co_u32 v7, vcc_lo, v7, v0
	v_mov_b32_e32 v26, v2
	v_add_co_ci_u32_e32 v8, vcc_lo, 0, v8, vcc_lo
	v_dual_mov_b32 v46, s5 :: v_dual_mov_b32 v25, v1
	s_mov_b32 s1, exec_lo
	ds_store_b8 v30, v6 offset:8192
	ds_store_2addr_b64 v44, v[9:10], v[9:10] offset1:4
	ds_store_2addr_b64 v44, v[9:10], v[9:10] offset0:8 offset1:12
	s_waitcnt lgkmcnt(0)
	buffer_gl0_inv
	v_cmpx_lt_i64_e64 v[7:8], v[1:2]
	s_cbranch_execz .LBB121_19
; %bb.12:                               ;   in Loop: Header=BB121_11 Depth=1
	v_lshlrev_b64 v[21:22], 3, v[7:8]
	v_lshlrev_b64 v[23:24], 2, v[7:8]
	v_mov_b32_e32 v26, v2
	v_dual_mov_b32 v46, s5 :: v_dual_mov_b32 v25, v1
	s_mov_b32 s22, 0
	s_delay_alu instid0(VALU_DEP_4)
	v_add_co_u32 v21, vcc_lo, s8, v21
	v_add_co_ci_u32_e32 v22, vcc_lo, s9, v22, vcc_lo
	v_add_co_u32 v23, vcc_lo, s12, v23
	v_add_co_ci_u32_e32 v24, vcc_lo, s13, v24, vcc_lo
	s_branch .LBB121_14
.LBB121_13:                             ;   in Loop: Header=BB121_14 Depth=2
	s_or_b32 exec_lo, exec_lo, s0
	v_add_co_u32 v7, s0, v7, 4
	s_delay_alu instid0(VALU_DEP_1) | instskip(SKIP_2) | instid1(VALU_DEP_2)
	v_add_co_ci_u32_e64 v8, s0, 0, v8, s0
	s_xor_b32 s23, vcc_lo, -1
	v_add_co_u32 v21, vcc_lo, v21, 32
	v_cmp_ge_i64_e64 s0, v[7:8], v[1:2]
	v_add_co_ci_u32_e32 v22, vcc_lo, 0, v22, vcc_lo
	v_add_co_u32 v23, vcc_lo, v23, 16
	v_add_co_ci_u32_e32 v24, vcc_lo, 0, v24, vcc_lo
	s_delay_alu instid0(VALU_DEP_4) | instskip(NEXT) | instid1(SALU_CYCLE_1)
	s_or_b32 s0, s23, s0
	s_and_b32 s0, exec_lo, s0
	s_delay_alu instid0(SALU_CYCLE_1) | instskip(NEXT) | instid1(SALU_CYCLE_1)
	s_or_b32 s22, s0, s22
	s_and_not1_b32 exec_lo, exec_lo, s22
	s_cbranch_execz .LBB121_18
.LBB121_14:                             ;   Parent Loop BB121_11 Depth=1
                                        ; =>  This Inner Loop Header: Depth=2
	global_load_b32 v27, v[23:24], off
	s_waitcnt vmcnt(0)
	v_subrev_nc_u32_e32 v47, s7, v27
	s_delay_alu instid0(VALU_DEP_1) | instskip(NEXT) | instid1(VALU_DEP_1)
	v_sub_nc_u32_e32 v27, 0, v47
	v_max_i32_e32 v27, v47, v27
	s_delay_alu instid0(VALU_DEP_1) | instskip(NEXT) | instid1(VALU_DEP_1)
	v_mul_hi_u32 v28, v27, v45
	v_mul_lo_u32 v29, v28, s19
	s_delay_alu instid0(VALU_DEP_1) | instskip(SKIP_1) | instid1(VALU_DEP_2)
	v_sub_nc_u32_e32 v27, v27, v29
	v_add_nc_u32_e32 v29, 1, v28
	v_subrev_nc_u32_e32 v48, s19, v27
	v_cmp_le_u32_e32 vcc_lo, s19, v27
	s_delay_alu instid0(VALU_DEP_2) | instskip(SKIP_1) | instid1(VALU_DEP_2)
	v_dual_cndmask_b32 v28, v28, v29 :: v_dual_cndmask_b32 v27, v27, v48
	v_ashrrev_i32_e32 v29, 31, v47
	v_add_nc_u32_e32 v48, 1, v28
	s_delay_alu instid0(VALU_DEP_3) | instskip(NEXT) | instid1(VALU_DEP_3)
	v_cmp_le_u32_e32 vcc_lo, s19, v27
	v_xor_b32_e32 v29, s15, v29
	s_delay_alu instid0(VALU_DEP_3) | instskip(NEXT) | instid1(VALU_DEP_1)
	v_cndmask_b32_e32 v27, v28, v48, vcc_lo
	v_xor_b32_e32 v27, v27, v29
	s_delay_alu instid0(VALU_DEP_1) | instskip(NEXT) | instid1(VALU_DEP_1)
	v_sub_nc_u32_e32 v27, v27, v29
	v_ashrrev_i32_e32 v28, 31, v27
	s_delay_alu instid0(VALU_DEP_1) | instskip(SKIP_2) | instid1(VALU_DEP_2)
	v_cmp_eq_u64_e32 vcc_lo, v[19:20], v[27:28]
	v_cmp_ne_u64_e64 s0, v[19:20], v[27:28]
	v_dual_mov_b32 v29, v26 :: v_dual_mov_b32 v28, v25
	s_and_saveexec_b32 s23, s0
	s_delay_alu instid0(SALU_CYCLE_1)
	s_xor_b32 s0, exec_lo, s23
; %bb.15:                               ;   in Loop: Header=BB121_14 Depth=2
	v_min_i32_e32 v46, v27, v46
                                        ; implicit-def: $vgpr27
                                        ; implicit-def: $vgpr47
                                        ; implicit-def: $vgpr28_vgpr29
; %bb.16:                               ;   in Loop: Header=BB121_14 Depth=2
	s_or_saveexec_b32 s0, s0
	v_dual_mov_b32 v26, v8 :: v_dual_mov_b32 v25, v7
	s_xor_b32 exec_lo, exec_lo, s0
	s_cbranch_execz .LBB121_13
; %bb.17:                               ;   in Loop: Header=BB121_14 Depth=2
	global_load_b64 v[48:49], v[21:22], off
	v_mul_lo_u32 v25, v27, s6
	s_delay_alu instid0(VALU_DEP_1) | instskip(NEXT) | instid1(VALU_DEP_1)
	v_sub_nc_u32_e32 v25, v47, v25
	v_add_lshl_u32 v27, v31, v25, 3
	v_dual_mov_b32 v25, v28 :: v_dual_mov_b32 v26, v29
	ds_store_b8 v30, v5 offset:8192
	s_waitcnt vmcnt(0)
	ds_store_b64 v27, v[48:49]
	s_branch .LBB121_13
.LBB121_18:                             ;   in Loop: Header=BB121_11 Depth=1
	s_or_b32 exec_lo, exec_lo, s22
.LBB121_19:                             ;   in Loop: Header=BB121_11 Depth=1
	s_delay_alu instid0(SALU_CYCLE_1)
	s_or_b32 exec_lo, exec_lo, s1
	ds_bpermute_b32 v7, v32, v25
	ds_bpermute_b32 v8, v32, v26
	s_waitcnt lgkmcnt(0)
	buffer_gl0_inv
	ds_load_u8 v22, v30 offset:8192
	s_mov_b32 s22, exec_lo
	v_cmp_lt_i64_e32 vcc_lo, v[7:8], v[25:26]
	s_waitcnt lgkmcnt(0)
	v_and_b32_e32 v22, 1, v22
	v_dual_cndmask_b32 v8, v26, v8 :: v_dual_cndmask_b32 v7, v25, v7
	ds_bpermute_b32 v21, v33, v8
	ds_bpermute_b32 v20, v33, v7
	s_waitcnt lgkmcnt(0)
	v_cmp_lt_i64_e32 vcc_lo, v[20:21], v[7:8]
	v_dual_cndmask_b32 v8, v8, v21 :: v_dual_cndmask_b32 v7, v7, v20
	v_mov_b32_e32 v20, 0
	v_mov_b32_e32 v21, 0
	ds_bpermute_b32 v8, v34, v8
	ds_bpermute_b32 v7, v34, v7
	v_cmpx_eq_u32_e32 1, v22
	s_cbranch_execz .LBB121_10
; %bb.20:                               ;   in Loop: Header=BB121_11 Depth=1
	v_mul_lo_u32 v22, s16, v3
	v_mul_lo_u32 v23, s18, v4
	v_mad_u64_u32 v[20:21], null, s18, v3, 0
	v_add_nc_u32_e32 v27, s17, v19
	s_delay_alu instid0(VALU_DEP_2) | instskip(SKIP_1) | instid1(VALU_DEP_2)
	v_add3_u32 v21, v21, v23, v22
	v_lshlrev_b64 v[22:23], 2, v[3:4]
	v_lshlrev_b64 v[19:20], 3, v[20:21]
	s_delay_alu instid0(VALU_DEP_2) | instskip(NEXT) | instid1(VALU_DEP_3)
	v_add_co_u32 v25, vcc_lo, s10, v22
	v_add_co_ci_u32_e32 v26, vcc_lo, s11, v23, vcc_lo
	s_delay_alu instid0(VALU_DEP_3) | instskip(NEXT) | instid1(VALU_DEP_4)
	v_add_co_u32 v23, vcc_lo, v35, v19
	v_add_co_ci_u32_e32 v24, vcc_lo, v36, v20, vcc_lo
	v_add_co_u32 v19, vcc_lo, v37, v19
	v_add_co_ci_u32_e32 v22, vcc_lo, v38, v20, vcc_lo
	global_store_b32 v[25:26], v27, off
	s_and_saveexec_b32 s0, s20
	s_cbranch_execz .LBB121_24
; %bb.21:                               ;   in Loop: Header=BB121_11 Depth=1
	s_and_b32 vcc_lo, exec_lo, s4
	s_cbranch_vccz .LBB121_35
; %bb.22:                               ;   in Loop: Header=BB121_11 Depth=1
	ds_load_b64 v[20:21], v44
	v_add_co_u32 v25, vcc_lo, v23, v11
	v_add_co_ci_u32_e32 v26, vcc_lo, v24, v12, vcc_lo
	s_waitcnt lgkmcnt(0)
	global_store_b64 v[25:26], v[20:21], off
	s_cbranch_execnz .LBB121_24
.LBB121_23:                             ;   in Loop: Header=BB121_11 Depth=1
	ds_load_b64 v[20:21], v44
	v_lshlrev_b32_e32 v25, 3, v0
	s_delay_alu instid0(VALU_DEP_1)
	v_add_co_u32 v25, vcc_lo, v19, v25
	v_add_co_ci_u32_e32 v26, vcc_lo, 0, v22, vcc_lo
	s_waitcnt lgkmcnt(0)
	global_store_b64 v[25:26], v[20:21], off
.LBB121_24:                             ;   in Loop: Header=BB121_11 Depth=1
	s_or_b32 exec_lo, exec_lo, s0
	s_and_saveexec_b32 s0, s21
	s_cbranch_execz .LBB121_28
; %bb.25:                               ;   in Loop: Header=BB121_11 Depth=1
	s_and_not1_b32 vcc_lo, exec_lo, s4
	s_cbranch_vccnz .LBB121_36
; %bb.26:                               ;   in Loop: Header=BB121_11 Depth=1
	ds_load_b64 v[20:21], v44 offset:32
	v_add_co_u32 v25, vcc_lo, v23, v13
	v_add_co_ci_u32_e32 v26, vcc_lo, v24, v14, vcc_lo
	s_waitcnt lgkmcnt(0)
	global_store_b64 v[25:26], v[20:21], off
	s_cbranch_execnz .LBB121_28
.LBB121_27:                             ;   in Loop: Header=BB121_11 Depth=1
	ds_load_b64 v[20:21], v44 offset:32
	v_lshlrev_b32_e32 v25, 3, v0
	s_delay_alu instid0(VALU_DEP_1)
	v_add_co_u32 v25, vcc_lo, v19, v25
	v_add_co_ci_u32_e32 v26, vcc_lo, 0, v22, vcc_lo
	s_waitcnt lgkmcnt(0)
	global_store_b64 v[25:26], v[20:21], off offset:32
.LBB121_28:                             ;   in Loop: Header=BB121_11 Depth=1
	s_or_b32 exec_lo, exec_lo, s0
	s_and_saveexec_b32 s0, s2
	s_cbranch_execz .LBB121_32
; %bb.29:                               ;   in Loop: Header=BB121_11 Depth=1
	s_and_not1_b32 vcc_lo, exec_lo, s4
	s_cbranch_vccnz .LBB121_37
; %bb.30:                               ;   in Loop: Header=BB121_11 Depth=1
	ds_load_b64 v[20:21], v44 offset:64
	v_add_co_u32 v25, vcc_lo, v23, v15
	v_add_co_ci_u32_e32 v26, vcc_lo, v24, v16, vcc_lo
	s_waitcnt lgkmcnt(0)
	global_store_b64 v[25:26], v[20:21], off
	s_cbranch_execnz .LBB121_32
.LBB121_31:                             ;   in Loop: Header=BB121_11 Depth=1
	ds_load_b64 v[20:21], v44 offset:64
	v_lshlrev_b32_e32 v25, 3, v0
	s_delay_alu instid0(VALU_DEP_1)
	v_add_co_u32 v25, vcc_lo, v19, v25
	v_add_co_ci_u32_e32 v26, vcc_lo, 0, v22, vcc_lo
	s_waitcnt lgkmcnt(0)
	global_store_b64 v[25:26], v[20:21], off offset:64
.LBB121_32:                             ;   in Loop: Header=BB121_11 Depth=1
	s_or_b32 exec_lo, exec_lo, s0
	v_mov_b32_e32 v20, 1
	v_mov_b32_e32 v21, 0
	s_and_saveexec_b32 s23, s3
	s_cbranch_execz .LBB121_9
; %bb.33:                               ;   in Loop: Header=BB121_11 Depth=1
	s_and_not1_b32 vcc_lo, exec_lo, s4
	s_cbranch_vccnz .LBB121_38
; %bb.34:                               ;   in Loop: Header=BB121_11 Depth=1
	ds_load_b64 v[20:21], v44 offset:96
	v_add_co_u32 v23, vcc_lo, v23, v17
	v_add_co_ci_u32_e32 v24, vcc_lo, v24, v18, vcc_lo
	s_mov_b64 s[0:1], 1
	s_waitcnt lgkmcnt(0)
	global_store_b64 v[23:24], v[20:21], off
	s_cbranch_execnz .LBB121_8
	s_branch .LBB121_39
.LBB121_35:                             ;   in Loop: Header=BB121_11 Depth=1
	s_branch .LBB121_23
.LBB121_36:                             ;   in Loop: Header=BB121_11 Depth=1
	s_branch .LBB121_27
.LBB121_37:                             ;   in Loop: Header=BB121_11 Depth=1
	s_branch .LBB121_31
.LBB121_38:                             ;   in Loop: Header=BB121_11 Depth=1
                                        ; implicit-def: $sgpr0_sgpr1
.LBB121_39:                             ;   in Loop: Header=BB121_11 Depth=1
	ds_load_b64 v[20:21], v44 offset:96
	v_lshlrev_b32_e32 v23, 3, v0
	s_mov_b64 s[0:1], 1
	s_delay_alu instid0(VALU_DEP_1)
	v_add_co_u32 v23, vcc_lo, v19, v23
	v_add_co_ci_u32_e32 v24, vcc_lo, 0, v22, vcc_lo
	s_waitcnt lgkmcnt(0)
	global_store_b64 v[23:24], v[20:21], off offset:96
	s_branch .LBB121_8
.LBB121_40:
	s_endpgm
	.section	.rodata,"a",@progbits
	.p2align	6, 0x0
	.amdhsa_kernel _ZN9rocsparseL42csr2bsr_wavefront_per_row_multipass_kernelILj256ELj64ELj16EdliEEv20rocsparse_direction_T4_S2_S2_S2_S2_21rocsparse_index_base_PKT2_PKT3_PKS2_S3_PS4_PS7_PS2_
		.amdhsa_group_segment_fixed_size 8200
		.amdhsa_private_segment_fixed_size 0
		.amdhsa_kernarg_size 88
		.amdhsa_user_sgpr_count 15
		.amdhsa_user_sgpr_dispatch_ptr 0
		.amdhsa_user_sgpr_queue_ptr 0
		.amdhsa_user_sgpr_kernarg_segment_ptr 1
		.amdhsa_user_sgpr_dispatch_id 0
		.amdhsa_user_sgpr_private_segment_size 0
		.amdhsa_wavefront_size32 1
		.amdhsa_uses_dynamic_stack 0
		.amdhsa_enable_private_segment 0
		.amdhsa_system_sgpr_workgroup_id_x 1
		.amdhsa_system_sgpr_workgroup_id_y 0
		.amdhsa_system_sgpr_workgroup_id_z 0
		.amdhsa_system_sgpr_workgroup_info 0
		.amdhsa_system_vgpr_workitem_id 0
		.amdhsa_next_free_vgpr 50
		.amdhsa_next_free_sgpr 24
		.amdhsa_reserve_vcc 1
		.amdhsa_float_round_mode_32 0
		.amdhsa_float_round_mode_16_64 0
		.amdhsa_float_denorm_mode_32 3
		.amdhsa_float_denorm_mode_16_64 3
		.amdhsa_dx10_clamp 1
		.amdhsa_ieee_mode 1
		.amdhsa_fp16_overflow 0
		.amdhsa_workgroup_processor_mode 1
		.amdhsa_memory_ordered 1
		.amdhsa_forward_progress 0
		.amdhsa_shared_vgpr_count 0
		.amdhsa_exception_fp_ieee_invalid_op 0
		.amdhsa_exception_fp_denorm_src 0
		.amdhsa_exception_fp_ieee_div_zero 0
		.amdhsa_exception_fp_ieee_overflow 0
		.amdhsa_exception_fp_ieee_underflow 0
		.amdhsa_exception_fp_ieee_inexact 0
		.amdhsa_exception_int_div_zero 0
	.end_amdhsa_kernel
	.section	.text._ZN9rocsparseL42csr2bsr_wavefront_per_row_multipass_kernelILj256ELj64ELj16EdliEEv20rocsparse_direction_T4_S2_S2_S2_S2_21rocsparse_index_base_PKT2_PKT3_PKS2_S3_PS4_PS7_PS2_,"axG",@progbits,_ZN9rocsparseL42csr2bsr_wavefront_per_row_multipass_kernelILj256ELj64ELj16EdliEEv20rocsparse_direction_T4_S2_S2_S2_S2_21rocsparse_index_base_PKT2_PKT3_PKS2_S3_PS4_PS7_PS2_,comdat
.Lfunc_end121:
	.size	_ZN9rocsparseL42csr2bsr_wavefront_per_row_multipass_kernelILj256ELj64ELj16EdliEEv20rocsparse_direction_T4_S2_S2_S2_S2_21rocsparse_index_base_PKT2_PKT3_PKS2_S3_PS4_PS7_PS2_, .Lfunc_end121-_ZN9rocsparseL42csr2bsr_wavefront_per_row_multipass_kernelILj256ELj64ELj16EdliEEv20rocsparse_direction_T4_S2_S2_S2_S2_21rocsparse_index_base_PKT2_PKT3_PKS2_S3_PS4_PS7_PS2_
                                        ; -- End function
	.section	.AMDGPU.csdata,"",@progbits
; Kernel info:
; codeLenInByte = 2252
; NumSgprs: 26
; NumVgprs: 50
; ScratchSize: 0
; MemoryBound: 0
; FloatMode: 240
; IeeeMode: 1
; LDSByteSize: 8200 bytes/workgroup (compile time only)
; SGPRBlocks: 3
; VGPRBlocks: 6
; NumSGPRsForWavesPerEU: 26
; NumVGPRsForWavesPerEU: 50
; Occupancy: 16
; WaveLimiterHint : 0
; COMPUTE_PGM_RSRC2:SCRATCH_EN: 0
; COMPUTE_PGM_RSRC2:USER_SGPR: 15
; COMPUTE_PGM_RSRC2:TRAP_HANDLER: 0
; COMPUTE_PGM_RSRC2:TGID_X_EN: 1
; COMPUTE_PGM_RSRC2:TGID_Y_EN: 0
; COMPUTE_PGM_RSRC2:TGID_Z_EN: 0
; COMPUTE_PGM_RSRC2:TIDIG_COMP_CNT: 0
	.section	.text._ZN9rocsparseL42csr2bsr_wavefront_per_row_multipass_kernelILj256ELj32ELj16EdliEEv20rocsparse_direction_T4_S2_S2_S2_S2_21rocsparse_index_base_PKT2_PKT3_PKS2_S3_PS4_PS7_PS2_,"axG",@progbits,_ZN9rocsparseL42csr2bsr_wavefront_per_row_multipass_kernelILj256ELj32ELj16EdliEEv20rocsparse_direction_T4_S2_S2_S2_S2_21rocsparse_index_base_PKT2_PKT3_PKS2_S3_PS4_PS7_PS2_,comdat
	.globl	_ZN9rocsparseL42csr2bsr_wavefront_per_row_multipass_kernelILj256ELj32ELj16EdliEEv20rocsparse_direction_T4_S2_S2_S2_S2_21rocsparse_index_base_PKT2_PKT3_PKS2_S3_PS4_PS7_PS2_ ; -- Begin function _ZN9rocsparseL42csr2bsr_wavefront_per_row_multipass_kernelILj256ELj32ELj16EdliEEv20rocsparse_direction_T4_S2_S2_S2_S2_21rocsparse_index_base_PKT2_PKT3_PKS2_S3_PS4_PS7_PS2_
	.p2align	8
	.type	_ZN9rocsparseL42csr2bsr_wavefront_per_row_multipass_kernelILj256ELj32ELj16EdliEEv20rocsparse_direction_T4_S2_S2_S2_S2_21rocsparse_index_base_PKT2_PKT3_PKS2_S3_PS4_PS7_PS2_,@function
_ZN9rocsparseL42csr2bsr_wavefront_per_row_multipass_kernelILj256ELj32ELj16EdliEEv20rocsparse_direction_T4_S2_S2_S2_S2_21rocsparse_index_base_PKT2_PKT3_PKS2_S3_PS4_PS7_PS2_: ; @_ZN9rocsparseL42csr2bsr_wavefront_per_row_multipass_kernelILj256ELj32ELj16EdliEEv20rocsparse_direction_T4_S2_S2_S2_S2_21rocsparse_index_base_PKT2_PKT3_PKS2_S3_PS4_PS7_PS2_
; %bb.0:
	s_clause 0x1
	s_load_b128 s[8:11], s[0:1], 0xc
	s_load_b64 s[4:5], s[0:1], 0x0
	v_lshrrev_b32_e32 v38, 5, v0
	v_bfe_u32 v9, v0, 1, 4
	s_load_b64 s[6:7], s[0:1], 0x28
	v_mov_b32_e32 v1, 0
	v_mov_b32_e32 v2, 0
	v_lshl_or_b32 v5, s15, 3, v38
	s_delay_alu instid0(VALU_DEP_2) | instskip(SKIP_1) | instid1(VALU_DEP_2)
	v_dual_mov_b32 v8, v2 :: v_dual_mov_b32 v7, v1
	s_waitcnt lgkmcnt(0)
	v_mad_u64_u32 v[3:4], null, v5, s10, v[9:10]
	v_cmp_gt_i32_e32 vcc_lo, s10, v9
	s_delay_alu instid0(VALU_DEP_2) | instskip(NEXT) | instid1(VALU_DEP_1)
	v_cmp_gt_i32_e64 s2, s5, v3
	s_and_b32 s3, vcc_lo, s2
	s_delay_alu instid0(SALU_CYCLE_1)
	s_and_saveexec_b32 s5, s3
	s_cbranch_execz .LBB122_2
; %bb.1:
	v_ashrrev_i32_e32 v4, 31, v3
	s_delay_alu instid0(VALU_DEP_1) | instskip(NEXT) | instid1(VALU_DEP_1)
	v_lshlrev_b64 v[6:7], 3, v[3:4]
	v_add_co_u32 v6, s2, s6, v6
	s_delay_alu instid0(VALU_DEP_1) | instskip(SKIP_3) | instid1(VALU_DEP_1)
	v_add_co_ci_u32_e64 v7, s2, s7, v7, s2
	global_load_b64 v[7:8], v[6:7], off
	s_waitcnt vmcnt(0)
	v_sub_co_u32 v7, s2, v7, s11
	v_subrev_co_ci_u32_e64 v8, s2, 0, v8, s2
.LBB122_2:
	s_or_b32 exec_lo, exec_lo, s5
	s_and_saveexec_b32 s5, s3
	s_cbranch_execz .LBB122_4
; %bb.3:
	v_ashrrev_i32_e32 v4, 31, v3
	s_delay_alu instid0(VALU_DEP_1) | instskip(NEXT) | instid1(VALU_DEP_1)
	v_lshlrev_b64 v[1:2], 3, v[3:4]
	v_add_co_u32 v1, s2, s6, v1
	s_delay_alu instid0(VALU_DEP_1) | instskip(SKIP_3) | instid1(VALU_DEP_1)
	v_add_co_ci_u32_e64 v2, s2, s7, v2, s2
	global_load_b64 v[1:2], v[1:2], off offset:8
	s_waitcnt vmcnt(0)
	v_sub_co_u32 v1, s2, v1, s11
	v_subrev_co_ci_u32_e64 v2, s2, 0, v2, s2
.LBB122_4:
	s_or_b32 exec_lo, exec_lo, s5
	s_load_b32 s20, s[0:1], 0x38
	v_mov_b32_e32 v3, 0
	v_mov_b32_e32 v4, 0
	s_mov_b32 s3, exec_lo
	v_cmpx_gt_i32_e64 s8, v5
	s_cbranch_execz .LBB122_6
; %bb.5:
	s_load_b64 s[6:7], s[0:1], 0x48
	v_ashrrev_i32_e32 v6, 31, v5
	s_delay_alu instid0(VALU_DEP_1) | instskip(SKIP_1) | instid1(VALU_DEP_1)
	v_lshlrev_b64 v[3:4], 3, v[5:6]
	s_waitcnt lgkmcnt(0)
	v_add_co_u32 v3, s2, s6, v3
	s_delay_alu instid0(VALU_DEP_1) | instskip(SKIP_3) | instid1(VALU_DEP_1)
	v_add_co_ci_u32_e64 v4, s2, s7, v4, s2
	global_load_b64 v[3:4], v[3:4], off
	s_waitcnt vmcnt(0)
	v_sub_co_u32 v3, s2, v3, s20
	v_subrev_co_ci_u32_e64 v4, s2, 0, v4, s2
.LBB122_6:
	s_or_b32 exec_lo, exec_lo, s3
	s_cmp_lt_i32 s9, 1
	s_cbranch_scc1 .LBB122_60
; %bb.7:
	v_mbcnt_lo_u32_b32 v11, -1, 0
	s_clause 0x3
	s_load_b64 s[12:13], s[0:1], 0x20
	s_load_b64 s[14:15], s[0:1], 0x50
	s_load_b64 s[2:3], s[0:1], 0x40
	s_load_b64 s[16:17], s[0:1], 0x30
	v_lshlrev_b32_e32 v10, 8, v38
	v_mov_b32_e32 v6, 0
	v_xor_b32_e32 v5, 1, v11
	s_mov_b32 s18, 0
	v_dual_mov_b32 v27, 0 :: v_dual_and_b32 v0, 1, v0
	v_lshl_or_b32 v39, v9, 4, v10
	s_delay_alu instid0(VALU_DEP_3)
	v_cmp_gt_i32_e64 s0, 32, v5
	s_cmp_lg_u32 s4, 0
	v_lshl_or_b32 v41, v11, 2, 4
	s_cselect_b32 s8, -1, 0
	s_abs_i32 s23, s10
	v_cndmask_b32_e64 v12, v11, v5, s0
	v_mul_lo_u32 v5, v9, s10
	s_lshl_b32 s19, s10, 1
	s_sub_i32 s6, 0, s23
	v_mov_b32_e32 v28, 0
	v_lshlrev_b32_e32 v40, 2, v12
	v_lshlrev_b32_e32 v12, 3, v9
	s_mul_hi_u32 s21, s10, s10
	s_mul_i32 s22, s10, s10
	v_lshlrev_b64 v[9:10], 3, v[5:6]
	v_xor_b32_e32 v5, 16, v11
	s_waitcnt lgkmcnt(0)
	v_add_co_u32 v42, s0, s2, v12
	s_delay_alu instid0(VALU_DEP_1) | instskip(NEXT) | instid1(VALU_DEP_4)
	v_add_co_ci_u32_e64 v43, null, s3, 0, s0
	v_add_co_u32 v44, s0, s2, v9
	s_delay_alu instid0(VALU_DEP_1)
	v_add_co_ci_u32_e64 v45, s0, s3, v10, s0
	v_xor_b32_e32 v9, 8, v11
	v_cmp_gt_i32_e64 s0, 32, v5
	v_xor_b32_e32 v10, 4, v11
	v_xor_b32_e32 v12, 2, v11
	v_mov_b32_e32 v50, 0x7c
	s_delay_alu instid0(VALU_DEP_4) | instskip(SKIP_1) | instid1(VALU_DEP_2)
	v_cndmask_b32_e64 v5, v11, v5, s0
	v_cmp_gt_i32_e64 s0, 32, v9
	v_lshlrev_b32_e32 v46, 2, v5
	s_delay_alu instid0(VALU_DEP_2) | instskip(SKIP_2) | instid1(VALU_DEP_3)
	v_cndmask_b32_e64 v9, v11, v9, s0
	v_cmp_gt_i32_e64 s0, 32, v10
	v_mul_lo_u32 v5, v0, s10
	v_lshlrev_b32_e32 v47, 2, v9
	s_delay_alu instid0(VALU_DEP_3) | instskip(SKIP_3) | instid1(VALU_DEP_4)
	v_cndmask_b32_e64 v10, v11, v10, s0
	v_or_b32_e32 v9, v39, v0
	v_cmp_gt_i32_e64 s0, 32, v12
	v_dual_mov_b32 v16, v6 :: v_dual_add_nc_u32 v13, s19, v5
	v_lshlrev_b32_e32 v48, 2, v10
	v_cvt_f32_u32_e32 v10, s23
	v_dual_mov_b32 v14, v6 :: v_dual_lshlrev_b32 v51, 3, v9
	v_or_b32_e32 v9, 2, v0
	v_cndmask_b32_e64 v11, v11, v12, s0
	s_delay_alu instid0(VALU_DEP_4) | instskip(SKIP_1) | instid1(VALU_DEP_3)
	v_rcp_iflag_f32_e32 v10, v10
	v_dual_mov_b32 v18, v6 :: v_dual_add_nc_u32 v15, s19, v13
	v_cmp_gt_u32_e64 s1, s10, v9
	v_or_b32_e32 v9, 4, v0
	v_lshlrev_b32_e32 v49, 2, v11
	v_or_b32_e32 v11, 6, v0
	v_dual_mov_b32 v20, v6 :: v_dual_add_nc_u32 v17, s19, v15
	s_delay_alu instid0(VALU_DEP_4) | instskip(NEXT) | instid1(TRANS32_DEP_1)
	v_cmp_gt_u32_e64 s2, s10, v9
	v_mul_f32_e32 v10, 0x4f7ffffe, v10
	v_or_b32_e32 v9, 8, v0
	v_cmp_gt_u32_e64 s3, s10, v11
	v_or_b32_e32 v11, 10, v0
	v_dual_mov_b32 v22, v6 :: v_dual_add_nc_u32 v19, s19, v17
	s_delay_alu instid0(VALU_DEP_4) | instskip(SKIP_1) | instid1(VALU_DEP_4)
	v_cmp_gt_u32_e64 s4, s10, v9
	v_cvt_u32_f32_e32 v9, v10
	v_cmp_gt_u32_e64 s5, s10, v11
	s_delay_alu instid0(VALU_DEP_4) | instskip(SKIP_3) | instid1(VALU_DEP_4)
	v_add_nc_u32_e32 v21, s19, v19
	v_or_b32_e32 v10, 12, v0
	v_or_b32_e32 v12, 14, v0
	v_mul_lo_u32 v11, s6, v9
	v_dual_mov_b32 v24, v6 :: v_dual_add_nc_u32 v23, s19, v21
	s_delay_alu instid0(VALU_DEP_4)
	v_cmp_gt_u32_e64 s6, s10, v10
	v_mov_b32_e32 v26, v6
	v_cmp_gt_u32_e64 s0, s10, v0
	v_cmp_gt_u32_e64 s7, s10, v12
	v_add_nc_u32_e32 v25, s19, v23
	v_mul_hi_u32 v10, v9, v11
	s_mov_b32 s19, s18
	v_lshlrev_b64 v[11:12], 3, v[5:6]
	v_lshlrev_b64 v[13:14], 3, v[13:14]
	;; [unrolled: 1-line block ×6, first 2 shown]
	v_dual_mov_b32 v9, s18 :: v_dual_add_nc_u32 v52, v9, v10
	v_lshlrev_b64 v[23:24], 3, v[23:24]
	v_lshlrev_b64 v[25:26], 3, v[25:26]
	v_dual_mov_b32 v10, s19 :: v_dual_mov_b32 v5, 1
	s_and_b32 s24, s0, vcc_lo
	s_and_b32 s25, vcc_lo, s1
	s_and_b32 s2, vcc_lo, s2
	;; [unrolled: 1-line block ×7, first 2 shown]
	s_ashr_i32 s19, s10, 31
	s_branch .LBB122_11
.LBB122_8:                              ;   in Loop: Header=BB122_11 Depth=1
	v_dual_mov_b32 v29, s1 :: v_dual_mov_b32 v28, s0
.LBB122_9:                              ;   in Loop: Header=BB122_11 Depth=1
	s_or_b32 exec_lo, exec_lo, s27
.LBB122_10:                             ;   in Loop: Header=BB122_11 Depth=1
	s_delay_alu instid0(SALU_CYCLE_1) | instskip(SKIP_2) | instid1(VALU_DEP_1)
	s_or_b32 exec_lo, exec_lo, s26
	ds_bpermute_b32 v27, v46, v53
	v_add_co_u32 v3, s0, v28, v3
	v_add_co_ci_u32_e64 v4, s0, v29, v4, s0
	s_waitcnt lgkmcnt(0)
	s_waitcnt_vscnt null, 0x0
	buffer_gl0_inv
	buffer_gl0_inv
	v_min_i32_e32 v27, v27, v53
	ds_bpermute_b32 v30, v47, v27
	s_waitcnt lgkmcnt(0)
	v_min_i32_e32 v27, v30, v27
	ds_bpermute_b32 v30, v48, v27
	s_waitcnt lgkmcnt(0)
	;; [unrolled: 3-line block ×5, first 2 shown]
	v_cmp_le_i32_e32 vcc_lo, s9, v27
	v_ashrrev_i32_e32 v28, 31, v27
	s_or_b32 s18, vcc_lo, s18
	s_delay_alu instid0(SALU_CYCLE_1)
	s_and_not1_b32 exec_lo, exec_lo, s18
	s_cbranch_execz .LBB122_60
.LBB122_11:                             ; =>This Loop Header: Depth=1
                                        ;     Child Loop BB122_14 Depth 2
	v_add_co_u32 v7, vcc_lo, v7, v0
	v_dual_mov_b32 v53, s9 :: v_dual_mov_b32 v34, v2
	v_add_co_ci_u32_e32 v8, vcc_lo, 0, v8, vcc_lo
	v_mov_b32_e32 v33, v1
	s_mov_b32 s1, exec_lo
	ds_store_b8 v38, v6 offset:16384
	ds_store_2addr_b64 v51, v[9:10], v[9:10] offset1:2
	ds_store_2addr_b64 v51, v[9:10], v[9:10] offset0:4 offset1:6
	ds_store_2addr_b64 v51, v[9:10], v[9:10] offset0:8 offset1:10
	;; [unrolled: 1-line block ×3, first 2 shown]
	s_waitcnt lgkmcnt(0)
	buffer_gl0_inv
	v_cmpx_lt_i64_e64 v[7:8], v[1:2]
	s_cbranch_execz .LBB122_19
; %bb.12:                               ;   in Loop: Header=BB122_11 Depth=1
	v_lshlrev_b64 v[29:30], 3, v[7:8]
	v_lshlrev_b64 v[31:32], 2, v[7:8]
	v_dual_mov_b32 v53, s9 :: v_dual_mov_b32 v34, v2
	v_mov_b32_e32 v33, v1
	s_mov_b32 s26, 0
	s_delay_alu instid0(VALU_DEP_4)
	v_add_co_u32 v29, vcc_lo, s12, v29
	v_add_co_ci_u32_e32 v30, vcc_lo, s13, v30, vcc_lo
	v_add_co_u32 v31, vcc_lo, s16, v31
	v_add_co_ci_u32_e32 v32, vcc_lo, s17, v32, vcc_lo
	s_branch .LBB122_14
.LBB122_13:                             ;   in Loop: Header=BB122_14 Depth=2
	s_or_b32 exec_lo, exec_lo, s0
	v_add_co_u32 v7, s0, v7, 2
	s_delay_alu instid0(VALU_DEP_1) | instskip(SKIP_2) | instid1(VALU_DEP_2)
	v_add_co_ci_u32_e64 v8, s0, 0, v8, s0
	s_xor_b32 s27, vcc_lo, -1
	v_add_co_u32 v29, vcc_lo, v29, 16
	v_cmp_ge_i64_e64 s0, v[7:8], v[1:2]
	v_add_co_ci_u32_e32 v30, vcc_lo, 0, v30, vcc_lo
	v_add_co_u32 v31, vcc_lo, v31, 8
	v_add_co_ci_u32_e32 v32, vcc_lo, 0, v32, vcc_lo
	s_delay_alu instid0(VALU_DEP_4) | instskip(NEXT) | instid1(SALU_CYCLE_1)
	s_or_b32 s0, s27, s0
	s_and_b32 s0, exec_lo, s0
	s_delay_alu instid0(SALU_CYCLE_1) | instskip(NEXT) | instid1(SALU_CYCLE_1)
	s_or_b32 s26, s0, s26
	s_and_not1_b32 exec_lo, exec_lo, s26
	s_cbranch_execz .LBB122_18
.LBB122_14:                             ;   Parent Loop BB122_11 Depth=1
                                        ; =>  This Inner Loop Header: Depth=2
	global_load_b32 v35, v[31:32], off
	s_waitcnt vmcnt(0)
	v_subrev_nc_u32_e32 v54, s11, v35
	s_delay_alu instid0(VALU_DEP_1) | instskip(NEXT) | instid1(VALU_DEP_1)
	v_sub_nc_u32_e32 v35, 0, v54
	v_max_i32_e32 v35, v54, v35
	s_delay_alu instid0(VALU_DEP_1) | instskip(NEXT) | instid1(VALU_DEP_1)
	v_mul_hi_u32 v36, v35, v52
	v_mul_lo_u32 v37, v36, s23
	s_delay_alu instid0(VALU_DEP_1) | instskip(SKIP_1) | instid1(VALU_DEP_2)
	v_sub_nc_u32_e32 v35, v35, v37
	v_add_nc_u32_e32 v37, 1, v36
	v_subrev_nc_u32_e32 v55, s23, v35
	v_cmp_le_u32_e32 vcc_lo, s23, v35
	s_delay_alu instid0(VALU_DEP_2) | instskip(SKIP_1) | instid1(VALU_DEP_2)
	v_dual_cndmask_b32 v36, v36, v37 :: v_dual_cndmask_b32 v35, v35, v55
	v_ashrrev_i32_e32 v37, 31, v54
	v_add_nc_u32_e32 v55, 1, v36
	s_delay_alu instid0(VALU_DEP_3) | instskip(NEXT) | instid1(VALU_DEP_3)
	v_cmp_le_u32_e32 vcc_lo, s23, v35
	v_xor_b32_e32 v37, s19, v37
	s_delay_alu instid0(VALU_DEP_3) | instskip(NEXT) | instid1(VALU_DEP_1)
	v_cndmask_b32_e32 v35, v36, v55, vcc_lo
	v_xor_b32_e32 v35, v35, v37
	s_delay_alu instid0(VALU_DEP_1) | instskip(NEXT) | instid1(VALU_DEP_1)
	v_sub_nc_u32_e32 v35, v35, v37
	v_ashrrev_i32_e32 v36, 31, v35
	s_delay_alu instid0(VALU_DEP_1) | instskip(SKIP_2) | instid1(VALU_DEP_2)
	v_cmp_eq_u64_e32 vcc_lo, v[27:28], v[35:36]
	v_cmp_ne_u64_e64 s0, v[27:28], v[35:36]
	v_dual_mov_b32 v37, v34 :: v_dual_mov_b32 v36, v33
	s_and_saveexec_b32 s27, s0
	s_delay_alu instid0(SALU_CYCLE_1)
	s_xor_b32 s0, exec_lo, s27
; %bb.15:                               ;   in Loop: Header=BB122_14 Depth=2
	v_min_i32_e32 v53, v35, v53
                                        ; implicit-def: $vgpr35
                                        ; implicit-def: $vgpr54
                                        ; implicit-def: $vgpr36_vgpr37
; %bb.16:                               ;   in Loop: Header=BB122_14 Depth=2
	s_or_saveexec_b32 s0, s0
	v_dual_mov_b32 v34, v8 :: v_dual_mov_b32 v33, v7
	s_xor_b32 exec_lo, exec_lo, s0
	s_cbranch_execz .LBB122_13
; %bb.17:                               ;   in Loop: Header=BB122_14 Depth=2
	global_load_b64 v[55:56], v[29:30], off
	v_mul_lo_u32 v33, v35, s10
	s_delay_alu instid0(VALU_DEP_1) | instskip(NEXT) | instid1(VALU_DEP_1)
	v_sub_nc_u32_e32 v33, v54, v33
	v_add_lshl_u32 v35, v39, v33, 3
	v_dual_mov_b32 v33, v36 :: v_dual_mov_b32 v34, v37
	ds_store_b8 v38, v5 offset:16384
	s_waitcnt vmcnt(0)
	ds_store_b64 v35, v[55:56]
	s_branch .LBB122_13
.LBB122_18:                             ;   in Loop: Header=BB122_11 Depth=1
	s_or_b32 exec_lo, exec_lo, s26
.LBB122_19:                             ;   in Loop: Header=BB122_11 Depth=1
	s_delay_alu instid0(SALU_CYCLE_1)
	s_or_b32 exec_lo, exec_lo, s1
	ds_bpermute_b32 v7, v40, v33
	ds_bpermute_b32 v8, v40, v34
	s_waitcnt lgkmcnt(0)
	buffer_gl0_inv
	ds_load_u8 v28, v38 offset:16384
	s_mov_b32 s26, exec_lo
	v_cmp_lt_i64_e32 vcc_lo, v[7:8], v[33:34]
	s_waitcnt lgkmcnt(0)
	v_and_b32_e32 v30, 1, v28
	v_mov_b32_e32 v28, 0
	v_dual_mov_b32 v29, 0 :: v_dual_cndmask_b32 v8, v34, v8
	v_cndmask_b32_e32 v7, v33, v7, vcc_lo
	ds_bpermute_b32 v8, v41, v8
	ds_bpermute_b32 v7, v41, v7
	v_cmpx_eq_u32_e32 1, v30
	s_cbranch_execz .LBB122_10
; %bb.20:                               ;   in Loop: Header=BB122_11 Depth=1
	v_mul_lo_u32 v30, s21, v3
	v_mul_lo_u32 v31, s22, v4
	v_mad_u64_u32 v[28:29], null, s22, v3, 0
	v_add_nc_u32_e32 v35, s20, v27
	s_delay_alu instid0(VALU_DEP_2) | instskip(SKIP_1) | instid1(VALU_DEP_2)
	v_add3_u32 v29, v29, v31, v30
	v_lshlrev_b64 v[30:31], 2, v[3:4]
	v_lshlrev_b64 v[27:28], 3, v[28:29]
	s_delay_alu instid0(VALU_DEP_2) | instskip(NEXT) | instid1(VALU_DEP_3)
	v_add_co_u32 v33, vcc_lo, s14, v30
	v_add_co_ci_u32_e32 v34, vcc_lo, s15, v31, vcc_lo
	s_delay_alu instid0(VALU_DEP_3) | instskip(NEXT) | instid1(VALU_DEP_4)
	v_add_co_u32 v31, vcc_lo, v42, v27
	v_add_co_ci_u32_e32 v32, vcc_lo, v43, v28, vcc_lo
	v_add_co_u32 v27, vcc_lo, v44, v27
	v_add_co_ci_u32_e32 v30, vcc_lo, v45, v28, vcc_lo
	global_store_b32 v[33:34], v35, off
	s_and_saveexec_b32 s0, s24
	s_cbranch_execz .LBB122_24
; %bb.21:                               ;   in Loop: Header=BB122_11 Depth=1
	s_and_b32 vcc_lo, exec_lo, s8
	s_cbranch_vccz .LBB122_51
; %bb.22:                               ;   in Loop: Header=BB122_11 Depth=1
	ds_load_b64 v[28:29], v51
	v_add_co_u32 v33, vcc_lo, v31, v11
	v_add_co_ci_u32_e32 v34, vcc_lo, v32, v12, vcc_lo
	s_waitcnt lgkmcnt(0)
	global_store_b64 v[33:34], v[28:29], off
	s_cbranch_execnz .LBB122_24
.LBB122_23:                             ;   in Loop: Header=BB122_11 Depth=1
	ds_load_b64 v[28:29], v51
	v_lshlrev_b32_e32 v33, 3, v0
	s_delay_alu instid0(VALU_DEP_1)
	v_add_co_u32 v33, vcc_lo, v27, v33
	v_add_co_ci_u32_e32 v34, vcc_lo, 0, v30, vcc_lo
	s_waitcnt lgkmcnt(0)
	global_store_b64 v[33:34], v[28:29], off
.LBB122_24:                             ;   in Loop: Header=BB122_11 Depth=1
	s_or_b32 exec_lo, exec_lo, s0
	s_and_saveexec_b32 s0, s25
	s_cbranch_execz .LBB122_28
; %bb.25:                               ;   in Loop: Header=BB122_11 Depth=1
	s_and_not1_b32 vcc_lo, exec_lo, s8
	s_cbranch_vccnz .LBB122_52
; %bb.26:                               ;   in Loop: Header=BB122_11 Depth=1
	ds_load_b64 v[28:29], v51 offset:16
	v_add_co_u32 v33, vcc_lo, v31, v13
	v_add_co_ci_u32_e32 v34, vcc_lo, v32, v14, vcc_lo
	s_waitcnt lgkmcnt(0)
	global_store_b64 v[33:34], v[28:29], off
	s_cbranch_execnz .LBB122_28
.LBB122_27:                             ;   in Loop: Header=BB122_11 Depth=1
	ds_load_b64 v[28:29], v51 offset:16
	v_lshlrev_b32_e32 v33, 3, v0
	s_delay_alu instid0(VALU_DEP_1)
	v_add_co_u32 v33, vcc_lo, v27, v33
	v_add_co_ci_u32_e32 v34, vcc_lo, 0, v30, vcc_lo
	s_waitcnt lgkmcnt(0)
	global_store_b64 v[33:34], v[28:29], off offset:16
.LBB122_28:                             ;   in Loop: Header=BB122_11 Depth=1
	s_or_b32 exec_lo, exec_lo, s0
	s_and_saveexec_b32 s0, s2
	s_cbranch_execz .LBB122_32
; %bb.29:                               ;   in Loop: Header=BB122_11 Depth=1
	s_and_not1_b32 vcc_lo, exec_lo, s8
	s_cbranch_vccnz .LBB122_53
; %bb.30:                               ;   in Loop: Header=BB122_11 Depth=1
	ds_load_b64 v[28:29], v51 offset:32
	v_add_co_u32 v33, vcc_lo, v31, v15
	v_add_co_ci_u32_e32 v34, vcc_lo, v32, v16, vcc_lo
	s_waitcnt lgkmcnt(0)
	global_store_b64 v[33:34], v[28:29], off
	s_cbranch_execnz .LBB122_32
.LBB122_31:                             ;   in Loop: Header=BB122_11 Depth=1
	ds_load_b64 v[28:29], v51 offset:32
	v_lshlrev_b32_e32 v33, 3, v0
	s_delay_alu instid0(VALU_DEP_1)
	v_add_co_u32 v33, vcc_lo, v27, v33
	v_add_co_ci_u32_e32 v34, vcc_lo, 0, v30, vcc_lo
	s_waitcnt lgkmcnt(0)
	global_store_b64 v[33:34], v[28:29], off offset:32
.LBB122_32:                             ;   in Loop: Header=BB122_11 Depth=1
	s_or_b32 exec_lo, exec_lo, s0
	s_and_saveexec_b32 s0, s3
	s_cbranch_execz .LBB122_36
; %bb.33:                               ;   in Loop: Header=BB122_11 Depth=1
	s_and_not1_b32 vcc_lo, exec_lo, s8
	s_cbranch_vccnz .LBB122_54
; %bb.34:                               ;   in Loop: Header=BB122_11 Depth=1
	ds_load_b64 v[28:29], v51 offset:48
	v_add_co_u32 v33, vcc_lo, v31, v17
	v_add_co_ci_u32_e32 v34, vcc_lo, v32, v18, vcc_lo
	s_waitcnt lgkmcnt(0)
	global_store_b64 v[33:34], v[28:29], off
	s_cbranch_execnz .LBB122_36
.LBB122_35:                             ;   in Loop: Header=BB122_11 Depth=1
	ds_load_b64 v[28:29], v51 offset:48
	v_lshlrev_b32_e32 v33, 3, v0
	s_delay_alu instid0(VALU_DEP_1)
	v_add_co_u32 v33, vcc_lo, v27, v33
	v_add_co_ci_u32_e32 v34, vcc_lo, 0, v30, vcc_lo
	s_waitcnt lgkmcnt(0)
	global_store_b64 v[33:34], v[28:29], off offset:48
.LBB122_36:                             ;   in Loop: Header=BB122_11 Depth=1
	s_or_b32 exec_lo, exec_lo, s0
	s_and_saveexec_b32 s0, s4
	s_cbranch_execz .LBB122_40
; %bb.37:                               ;   in Loop: Header=BB122_11 Depth=1
	s_and_not1_b32 vcc_lo, exec_lo, s8
	s_cbranch_vccnz .LBB122_55
; %bb.38:                               ;   in Loop: Header=BB122_11 Depth=1
	ds_load_b64 v[28:29], v51 offset:64
	v_add_co_u32 v33, vcc_lo, v31, v19
	v_add_co_ci_u32_e32 v34, vcc_lo, v32, v20, vcc_lo
	s_waitcnt lgkmcnt(0)
	global_store_b64 v[33:34], v[28:29], off
	s_cbranch_execnz .LBB122_40
.LBB122_39:                             ;   in Loop: Header=BB122_11 Depth=1
	ds_load_b64 v[28:29], v51 offset:64
	v_lshlrev_b32_e32 v33, 3, v0
	s_delay_alu instid0(VALU_DEP_1)
	v_add_co_u32 v33, vcc_lo, v27, v33
	v_add_co_ci_u32_e32 v34, vcc_lo, 0, v30, vcc_lo
	s_waitcnt lgkmcnt(0)
	global_store_b64 v[33:34], v[28:29], off offset:64
.LBB122_40:                             ;   in Loop: Header=BB122_11 Depth=1
	s_or_b32 exec_lo, exec_lo, s0
	s_and_saveexec_b32 s0, s5
	s_cbranch_execz .LBB122_44
; %bb.41:                               ;   in Loop: Header=BB122_11 Depth=1
	s_and_not1_b32 vcc_lo, exec_lo, s8
	s_cbranch_vccnz .LBB122_56
; %bb.42:                               ;   in Loop: Header=BB122_11 Depth=1
	ds_load_b64 v[28:29], v51 offset:80
	v_add_co_u32 v33, vcc_lo, v31, v21
	v_add_co_ci_u32_e32 v34, vcc_lo, v32, v22, vcc_lo
	s_waitcnt lgkmcnt(0)
	global_store_b64 v[33:34], v[28:29], off
	s_cbranch_execnz .LBB122_44
.LBB122_43:                             ;   in Loop: Header=BB122_11 Depth=1
	ds_load_b64 v[28:29], v51 offset:80
	v_lshlrev_b32_e32 v33, 3, v0
	s_delay_alu instid0(VALU_DEP_1)
	v_add_co_u32 v33, vcc_lo, v27, v33
	v_add_co_ci_u32_e32 v34, vcc_lo, 0, v30, vcc_lo
	s_waitcnt lgkmcnt(0)
	global_store_b64 v[33:34], v[28:29], off offset:80
.LBB122_44:                             ;   in Loop: Header=BB122_11 Depth=1
	s_or_b32 exec_lo, exec_lo, s0
	s_and_saveexec_b32 s0, s6
	s_cbranch_execz .LBB122_48
; %bb.45:                               ;   in Loop: Header=BB122_11 Depth=1
	s_and_not1_b32 vcc_lo, exec_lo, s8
	s_cbranch_vccnz .LBB122_57
; %bb.46:                               ;   in Loop: Header=BB122_11 Depth=1
	ds_load_b64 v[28:29], v51 offset:96
	v_add_co_u32 v33, vcc_lo, v31, v23
	v_add_co_ci_u32_e32 v34, vcc_lo, v32, v24, vcc_lo
	s_waitcnt lgkmcnt(0)
	global_store_b64 v[33:34], v[28:29], off
	s_cbranch_execnz .LBB122_48
.LBB122_47:                             ;   in Loop: Header=BB122_11 Depth=1
	ds_load_b64 v[28:29], v51 offset:96
	v_lshlrev_b32_e32 v33, 3, v0
	s_delay_alu instid0(VALU_DEP_1)
	v_add_co_u32 v33, vcc_lo, v27, v33
	v_add_co_ci_u32_e32 v34, vcc_lo, 0, v30, vcc_lo
	s_waitcnt lgkmcnt(0)
	global_store_b64 v[33:34], v[28:29], off offset:96
.LBB122_48:                             ;   in Loop: Header=BB122_11 Depth=1
	s_or_b32 exec_lo, exec_lo, s0
	v_mov_b32_e32 v28, 1
	v_mov_b32_e32 v29, 0
	s_and_saveexec_b32 s27, s7
	s_cbranch_execz .LBB122_9
; %bb.49:                               ;   in Loop: Header=BB122_11 Depth=1
	s_and_not1_b32 vcc_lo, exec_lo, s8
	s_cbranch_vccnz .LBB122_58
; %bb.50:                               ;   in Loop: Header=BB122_11 Depth=1
	ds_load_b64 v[28:29], v51 offset:112
	v_add_co_u32 v31, vcc_lo, v31, v25
	v_add_co_ci_u32_e32 v32, vcc_lo, v32, v26, vcc_lo
	s_mov_b64 s[0:1], 1
	s_waitcnt lgkmcnt(0)
	global_store_b64 v[31:32], v[28:29], off
	s_cbranch_execnz .LBB122_8
	s_branch .LBB122_59
.LBB122_51:                             ;   in Loop: Header=BB122_11 Depth=1
	s_branch .LBB122_23
.LBB122_52:                             ;   in Loop: Header=BB122_11 Depth=1
	s_branch .LBB122_27
.LBB122_53:                             ;   in Loop: Header=BB122_11 Depth=1
	s_branch .LBB122_31
.LBB122_54:                             ;   in Loop: Header=BB122_11 Depth=1
	s_branch .LBB122_35
.LBB122_55:                             ;   in Loop: Header=BB122_11 Depth=1
	s_branch .LBB122_39
.LBB122_56:                             ;   in Loop: Header=BB122_11 Depth=1
	s_branch .LBB122_43
.LBB122_57:                             ;   in Loop: Header=BB122_11 Depth=1
	s_branch .LBB122_47
.LBB122_58:                             ;   in Loop: Header=BB122_11 Depth=1
                                        ; implicit-def: $sgpr0_sgpr1
.LBB122_59:                             ;   in Loop: Header=BB122_11 Depth=1
	ds_load_b64 v[28:29], v51 offset:112
	v_lshlrev_b32_e32 v31, 3, v0
	s_mov_b64 s[0:1], 1
	s_delay_alu instid0(VALU_DEP_1)
	v_add_co_u32 v31, vcc_lo, v27, v31
	v_add_co_ci_u32_e32 v32, vcc_lo, 0, v30, vcc_lo
	s_waitcnt lgkmcnt(0)
	global_store_b64 v[31:32], v[28:29], off offset:112
	s_branch .LBB122_8
.LBB122_60:
	s_endpgm
	.section	.rodata,"a",@progbits
	.p2align	6, 0x0
	.amdhsa_kernel _ZN9rocsparseL42csr2bsr_wavefront_per_row_multipass_kernelILj256ELj32ELj16EdliEEv20rocsparse_direction_T4_S2_S2_S2_S2_21rocsparse_index_base_PKT2_PKT3_PKS2_S3_PS4_PS7_PS2_
		.amdhsa_group_segment_fixed_size 16392
		.amdhsa_private_segment_fixed_size 0
		.amdhsa_kernarg_size 88
		.amdhsa_user_sgpr_count 15
		.amdhsa_user_sgpr_dispatch_ptr 0
		.amdhsa_user_sgpr_queue_ptr 0
		.amdhsa_user_sgpr_kernarg_segment_ptr 1
		.amdhsa_user_sgpr_dispatch_id 0
		.amdhsa_user_sgpr_private_segment_size 0
		.amdhsa_wavefront_size32 1
		.amdhsa_uses_dynamic_stack 0
		.amdhsa_enable_private_segment 0
		.amdhsa_system_sgpr_workgroup_id_x 1
		.amdhsa_system_sgpr_workgroup_id_y 0
		.amdhsa_system_sgpr_workgroup_id_z 0
		.amdhsa_system_sgpr_workgroup_info 0
		.amdhsa_system_vgpr_workitem_id 0
		.amdhsa_next_free_vgpr 57
		.amdhsa_next_free_sgpr 28
		.amdhsa_reserve_vcc 1
		.amdhsa_float_round_mode_32 0
		.amdhsa_float_round_mode_16_64 0
		.amdhsa_float_denorm_mode_32 3
		.amdhsa_float_denorm_mode_16_64 3
		.amdhsa_dx10_clamp 1
		.amdhsa_ieee_mode 1
		.amdhsa_fp16_overflow 0
		.amdhsa_workgroup_processor_mode 1
		.amdhsa_memory_ordered 1
		.amdhsa_forward_progress 0
		.amdhsa_shared_vgpr_count 0
		.amdhsa_exception_fp_ieee_invalid_op 0
		.amdhsa_exception_fp_denorm_src 0
		.amdhsa_exception_fp_ieee_div_zero 0
		.amdhsa_exception_fp_ieee_overflow 0
		.amdhsa_exception_fp_ieee_underflow 0
		.amdhsa_exception_fp_ieee_inexact 0
		.amdhsa_exception_int_div_zero 0
	.end_amdhsa_kernel
	.section	.text._ZN9rocsparseL42csr2bsr_wavefront_per_row_multipass_kernelILj256ELj32ELj16EdliEEv20rocsparse_direction_T4_S2_S2_S2_S2_21rocsparse_index_base_PKT2_PKT3_PKS2_S3_PS4_PS7_PS2_,"axG",@progbits,_ZN9rocsparseL42csr2bsr_wavefront_per_row_multipass_kernelILj256ELj32ELj16EdliEEv20rocsparse_direction_T4_S2_S2_S2_S2_21rocsparse_index_base_PKT2_PKT3_PKS2_S3_PS4_PS7_PS2_,comdat
.Lfunc_end122:
	.size	_ZN9rocsparseL42csr2bsr_wavefront_per_row_multipass_kernelILj256ELj32ELj16EdliEEv20rocsparse_direction_T4_S2_S2_S2_S2_21rocsparse_index_base_PKT2_PKT3_PKS2_S3_PS4_PS7_PS2_, .Lfunc_end122-_ZN9rocsparseL42csr2bsr_wavefront_per_row_multipass_kernelILj256ELj32ELj16EdliEEv20rocsparse_direction_T4_S2_S2_S2_S2_21rocsparse_index_base_PKT2_PKT3_PKS2_S3_PS4_PS7_PS2_
                                        ; -- End function
	.section	.AMDGPU.csdata,"",@progbits
; Kernel info:
; codeLenInByte = 2736
; NumSgprs: 30
; NumVgprs: 57
; ScratchSize: 0
; MemoryBound: 0
; FloatMode: 240
; IeeeMode: 1
; LDSByteSize: 16392 bytes/workgroup (compile time only)
; SGPRBlocks: 3
; VGPRBlocks: 7
; NumSGPRsForWavesPerEU: 30
; NumVGPRsForWavesPerEU: 57
; Occupancy: 14
; WaveLimiterHint : 0
; COMPUTE_PGM_RSRC2:SCRATCH_EN: 0
; COMPUTE_PGM_RSRC2:USER_SGPR: 15
; COMPUTE_PGM_RSRC2:TRAP_HANDLER: 0
; COMPUTE_PGM_RSRC2:TGID_X_EN: 1
; COMPUTE_PGM_RSRC2:TGID_Y_EN: 0
; COMPUTE_PGM_RSRC2:TGID_Z_EN: 0
; COMPUTE_PGM_RSRC2:TIDIG_COMP_CNT: 0
	.section	.text._ZN9rocsparseL38csr2bsr_block_per_row_multipass_kernelILj256ELj32EdliEEv20rocsparse_direction_T3_S2_S2_S2_S2_21rocsparse_index_base_PKT1_PKT2_PKS2_S3_PS4_PS7_PS2_,"axG",@progbits,_ZN9rocsparseL38csr2bsr_block_per_row_multipass_kernelILj256ELj32EdliEEv20rocsparse_direction_T3_S2_S2_S2_S2_21rocsparse_index_base_PKT1_PKT2_PKS2_S3_PS4_PS7_PS2_,comdat
	.globl	_ZN9rocsparseL38csr2bsr_block_per_row_multipass_kernelILj256ELj32EdliEEv20rocsparse_direction_T3_S2_S2_S2_S2_21rocsparse_index_base_PKT1_PKT2_PKS2_S3_PS4_PS7_PS2_ ; -- Begin function _ZN9rocsparseL38csr2bsr_block_per_row_multipass_kernelILj256ELj32EdliEEv20rocsparse_direction_T3_S2_S2_S2_S2_21rocsparse_index_base_PKT1_PKT2_PKS2_S3_PS4_PS7_PS2_
	.p2align	8
	.type	_ZN9rocsparseL38csr2bsr_block_per_row_multipass_kernelILj256ELj32EdliEEv20rocsparse_direction_T3_S2_S2_S2_S2_21rocsparse_index_base_PKT1_PKT2_PKS2_S3_PS4_PS7_PS2_,@function
_ZN9rocsparseL38csr2bsr_block_per_row_multipass_kernelILj256ELj32EdliEEv20rocsparse_direction_T3_S2_S2_S2_S2_21rocsparse_index_base_PKT1_PKT2_PKS2_S3_PS4_PS7_PS2_: ; @_ZN9rocsparseL38csr2bsr_block_per_row_multipass_kernelILj256ELj32EdliEEv20rocsparse_direction_T3_S2_S2_S2_S2_21rocsparse_index_base_PKT1_PKT2_PKS2_S3_PS4_PS7_PS2_
; %bb.0:
	s_clause 0x1
	s_load_b128 s[16:19], s[0:1], 0x10
	s_load_b64 s[8:9], s[0:1], 0x0
	v_lshrrev_b32_e32 v3, 3, v0
	s_load_b64 s[6:7], s[0:1], 0x28
	s_mov_b32 s4, s15
	v_mov_b32_e32 v1, 0
	v_mov_b32_e32 v2, 0
	s_delay_alu instid0(VALU_DEP_1) | instskip(SKIP_3) | instid1(VALU_DEP_2)
	v_dual_mov_b32 v10, v2 :: v_dual_mov_b32 v9, v1
	s_waitcnt lgkmcnt(0)
	v_mad_u64_u32 v[4:5], null, s4, s17, v[3:4]
	v_cmp_gt_i32_e32 vcc_lo, s17, v3
	v_cmp_gt_i32_e64 s2, s9, v4
	s_delay_alu instid0(VALU_DEP_1) | instskip(NEXT) | instid1(SALU_CYCLE_1)
	s_and_b32 s3, vcc_lo, s2
	s_and_saveexec_b32 s5, s3
	s_cbranch_execnz .LBB123_3
; %bb.1:
	s_or_b32 exec_lo, exec_lo, s5
	s_and_saveexec_b32 s5, s3
	s_cbranch_execnz .LBB123_4
.LBB123_2:
	s_or_b32 exec_lo, exec_lo, s5
	s_cmp_lt_i32 s16, 1
	s_cbranch_scc0 .LBB123_5
	s_branch .LBB123_41
.LBB123_3:
	v_ashrrev_i32_e32 v5, 31, v4
	s_delay_alu instid0(VALU_DEP_1) | instskip(NEXT) | instid1(VALU_DEP_1)
	v_lshlrev_b64 v[5:6], 3, v[4:5]
	v_add_co_u32 v5, s2, s6, v5
	s_delay_alu instid0(VALU_DEP_1) | instskip(SKIP_3) | instid1(VALU_DEP_1)
	v_add_co_ci_u32_e64 v6, s2, s7, v6, s2
	global_load_b64 v[5:6], v[5:6], off
	s_waitcnt vmcnt(0)
	v_sub_co_u32 v9, s2, v5, s18
	v_subrev_co_ci_u32_e64 v10, s2, 0, v6, s2
	s_or_b32 exec_lo, exec_lo, s5
	s_and_saveexec_b32 s5, s3
	s_cbranch_execz .LBB123_2
.LBB123_4:
	v_ashrrev_i32_e32 v5, 31, v4
	s_delay_alu instid0(VALU_DEP_1) | instskip(NEXT) | instid1(VALU_DEP_1)
	v_lshlrev_b64 v[1:2], 3, v[4:5]
	v_add_co_u32 v1, s2, s6, v1
	s_delay_alu instid0(VALU_DEP_1) | instskip(SKIP_3) | instid1(VALU_DEP_1)
	v_add_co_ci_u32_e64 v2, s2, s7, v2, s2
	global_load_b64 v[1:2], v[1:2], off offset:8
	s_waitcnt vmcnt(0)
	v_sub_co_u32 v1, s2, v1, s18
	v_subrev_co_ci_u32_e64 v2, s2, 0, v2, s2
	s_or_b32 exec_lo, exec_lo, s5
	s_cmp_lt_i32 s16, 1
	s_cbranch_scc1 .LBB123_41
.LBB123_5:
	s_clause 0x4
	s_load_b128 s[20:23], s[0:1], 0x40
	s_load_b64 s[14:15], s[0:1], 0x50
	s_load_b64 s[24:25], s[0:1], 0x20
	;; [unrolled: 1-line block ×3, first 2 shown]
	s_load_b32 s19, s[0:1], 0x38
	s_ashr_i32 s5, s4, 31
	v_mbcnt_lo_u32_b32 v7, -1, 0
	s_lshl_b64 s[0:1], s[4:5], 3
	s_mov_b32 s10, 0
	v_dual_mov_b32 v17, 0 :: v_dual_and_b32 v28, 7, v0
	s_delay_alu instid0(VALU_DEP_2) | instskip(SKIP_2) | instid1(VALU_DEP_3)
	v_xor_b32_e32 v8, 4, v7
	s_mov_b32 s11, s10
	v_dual_mov_b32 v5, s10 :: v_dual_lshlrev_b32 v30, 2, v0
	v_dual_mov_b32 v6, s11 :: v_dual_lshlrev_b32 v21, 3, v28
	v_xor_b32_e32 v13, 2, v7
	v_cmp_gt_i32_e64 s10, 32, v8
	v_xor_b32_e32 v15, 1, v7
	s_waitcnt lgkmcnt(0)
	s_add_u32 s0, s22, s0
	s_addc_u32 s1, s23, s1
	v_dual_mov_b32 v4, 0 :: v_dual_lshlrev_b32 v29, 5, v3
	s_load_b64 s[12:13], s[0:1], 0x0
	v_cndmask_b32_e64 v8, v7, v8, s10
	v_cmp_gt_i32_e64 s10, 32, v13
	v_dual_mov_b32 v18, 0 :: v_dual_lshlrev_b32 v11, 3, v3
	v_mul_lo_u32 v3, v3, s17
	v_cmp_gt_u32_e64 s0, 0x80, v0
	s_delay_alu instid0(VALU_DEP_4)
	v_cndmask_b32_e64 v13, v7, v13, s10
	v_cmp_gt_i32_e64 s10, 32, v15
	v_cmp_gt_u32_e64 s1, 64, v0
	v_cmp_gt_u32_e64 s2, 32, v0
	;; [unrolled: 1-line block ×6, first 2 shown]
	v_cmp_eq_u32_e64 s7, 0, v0
	v_lshl_or_b32 v0, v7, 2, 28
	v_or_b32_e32 v22, v29, v28
	v_cndmask_b32_e64 v7, v7, v15, s10
	v_lshlrev_b64 v[19:20], 3, v[3:4]
	s_waitcnt lgkmcnt(0)
	s_sub_u32 s22, s12, s19
	s_subb_u32 s23, s13, 0
	s_cmp_eq_u32 s8, 0
	v_mul_lo_u32 v3, v28, s17
	s_cselect_b32 s8, -1, 0
	s_abs_i32 s30, s17
	v_dual_mov_b32 v12, v4 :: v_dual_lshlrev_b32 v31, 3, v22
	v_cvt_f32_u32_e32 v25, s30
	s_sub_i32 s13, 0, s30
	s_lshl_b32 s31, s17, 3
	v_dual_mov_b32 v16, v4 :: v_dual_lshlrev_b32 v33, 2, v13
	s_delay_alu instid0(VALU_DEP_2)
	v_rcp_iflag_f32_e32 v25, v25
	v_mov_b32_e32 v14, v4
	v_dual_mov_b32 v39, 1 :: v_dual_lshlrev_b32 v32, 2, v8
	v_lshlrev_b32_e32 v34, 2, v7
	v_lshlrev_b64 v[7:8], 3, v[3:4]
	v_or_b32_e32 v23, 8, v28
	v_or_b32_e32 v24, 16, v28
	;; [unrolled: 1-line block ×3, first 2 shown]
	v_cmp_gt_u32_e64 s9, s17, v28
	s_delay_alu instid0(TRANS32_DEP_1)
	v_mul_f32_e32 v15, 0x4f7ffffe, v25
	v_cmp_gt_u32_e64 s10, s17, v23
	v_cmp_gt_u32_e64 s11, s17, v24
	;; [unrolled: 1-line block ×3, first 2 shown]
	s_mul_hi_u32 s28, s17, s17
	v_cvt_u32_f32_e32 v22, v15
	s_mul_i32 s29, s17, s17
	s_delay_alu instid0(VALU_DEP_2) | instskip(NEXT) | instid1(VALU_DEP_1)
	s_and_b32 s12, vcc_lo, s12
	v_mul_lo_u32 v15, s13, v22
	v_add_co_u32 v35, s13, s20, v11
	v_add_nc_u32_e32 v11, s31, v3
	v_add_co_ci_u32_e64 v36, null, s21, 0, s13
	v_add_co_u32 v3, s13, s20, v19
	s_delay_alu instid0(VALU_DEP_3) | instskip(SKIP_2) | instid1(VALU_DEP_4)
	v_add_nc_u32_e32 v13, s31, v11
	v_add_co_ci_u32_e64 v19, s13, s21, v20, s13
	v_mul_hi_u32 v20, v22, v15
	v_add_co_u32 v3, s13, v3, v21
	s_delay_alu instid0(VALU_DEP_4) | instskip(SKIP_3) | instid1(VALU_DEP_4)
	v_add_nc_u32_e32 v15, s31, v13
	v_lshlrev_b64 v[11:12], 3, v[11:12]
	v_lshlrev_b64 v[13:14], 3, v[13:14]
	v_add_co_ci_u32_e64 v37, s13, 0, v19, s13
	v_lshlrev_b64 v[15:16], 3, v[15:16]
	v_add_nc_u32_e32 v38, v22, v20
	s_and_b32 s13, vcc_lo, s9
	s_and_b32 s20, vcc_lo, s10
	;; [unrolled: 1-line block ×3, first 2 shown]
	s_ashr_i32 s31, s17, 31
	s_branch .LBB123_7
.LBB123_6:                              ;   in Loop: Header=BB123_7 Depth=1
	s_or_b32 exec_lo, exec_lo, s9
	s_waitcnt lgkmcnt(0)
	s_barrier
	buffer_gl0_inv
	ds_load_b32 v17, v4
	s_add_u32 s22, s10, s22
	s_addc_u32 s23, s11, s23
	s_waitcnt lgkmcnt(0)
	s_barrier
	buffer_gl0_inv
	v_cmp_gt_i32_e32 vcc_lo, s16, v17
	v_ashrrev_i32_e32 v18, 31, v17
	s_cbranch_vccz .LBB123_41
.LBB123_7:                              ; =>This Loop Header: Depth=1
                                        ;     Child Loop BB123_10 Depth 2
	v_add_co_u32 v9, vcc_lo, v9, v28
	v_mov_b32_e32 v24, v2
	v_add_co_ci_u32_e32 v10, vcc_lo, 0, v10, vcc_lo
	v_dual_mov_b32 v40, s16 :: v_dual_mov_b32 v23, v1
	s_mov_b32 s10, exec_lo
	ds_store_b8 v4, v4 offset:8192
	ds_store_2addr_b64 v31, v[5:6], v[5:6] offset1:8
	ds_store_2addr_b64 v31, v[5:6], v[5:6] offset0:16 offset1:24
	s_waitcnt lgkmcnt(0)
	s_barrier
	buffer_gl0_inv
	v_cmpx_lt_i64_e64 v[9:10], v[1:2]
	s_cbranch_execz .LBB123_15
; %bb.8:                                ;   in Loop: Header=BB123_7 Depth=1
	v_lshlrev_b64 v[19:20], 3, v[9:10]
	v_lshlrev_b64 v[21:22], 2, v[9:10]
	v_mov_b32_e32 v24, v2
	v_dual_mov_b32 v40, s16 :: v_dual_mov_b32 v23, v1
	s_mov_b32 s11, 0
	s_delay_alu instid0(VALU_DEP_4)
	v_add_co_u32 v19, vcc_lo, s24, v19
	v_add_co_ci_u32_e32 v20, vcc_lo, s25, v20, vcc_lo
	v_add_co_u32 v21, vcc_lo, s26, v21
	v_add_co_ci_u32_e32 v22, vcc_lo, s27, v22, vcc_lo
	s_branch .LBB123_10
.LBB123_9:                              ;   in Loop: Header=BB123_10 Depth=2
	s_or_b32 exec_lo, exec_lo, s9
	v_add_co_u32 v9, s9, v9, 8
	s_delay_alu instid0(VALU_DEP_1) | instskip(SKIP_2) | instid1(VALU_DEP_2)
	v_add_co_ci_u32_e64 v10, s9, 0, v10, s9
	s_xor_b32 s33, vcc_lo, -1
	v_add_co_u32 v19, vcc_lo, v19, 64
	v_cmp_ge_i64_e64 s9, v[9:10], v[1:2]
	v_add_co_ci_u32_e32 v20, vcc_lo, 0, v20, vcc_lo
	v_add_co_u32 v21, vcc_lo, v21, 32
	v_add_co_ci_u32_e32 v22, vcc_lo, 0, v22, vcc_lo
	s_delay_alu instid0(VALU_DEP_4) | instskip(NEXT) | instid1(SALU_CYCLE_1)
	s_or_b32 s9, s33, s9
	s_and_b32 s9, exec_lo, s9
	s_delay_alu instid0(SALU_CYCLE_1) | instskip(NEXT) | instid1(SALU_CYCLE_1)
	s_or_b32 s11, s9, s11
	s_and_not1_b32 exec_lo, exec_lo, s11
	s_cbranch_execz .LBB123_14
.LBB123_10:                             ;   Parent Loop BB123_7 Depth=1
                                        ; =>  This Inner Loop Header: Depth=2
	global_load_b32 v25, v[21:22], off
	s_waitcnt vmcnt(0)
	v_subrev_nc_u32_e32 v41, s18, v25
	s_delay_alu instid0(VALU_DEP_1) | instskip(NEXT) | instid1(VALU_DEP_1)
	v_sub_nc_u32_e32 v25, 0, v41
	v_max_i32_e32 v25, v41, v25
	s_delay_alu instid0(VALU_DEP_1) | instskip(NEXT) | instid1(VALU_DEP_1)
	v_mul_hi_u32 v26, v25, v38
	v_mul_lo_u32 v27, v26, s30
	s_delay_alu instid0(VALU_DEP_1) | instskip(SKIP_1) | instid1(VALU_DEP_2)
	v_sub_nc_u32_e32 v25, v25, v27
	v_add_nc_u32_e32 v27, 1, v26
	v_subrev_nc_u32_e32 v42, s30, v25
	v_cmp_le_u32_e32 vcc_lo, s30, v25
	s_delay_alu instid0(VALU_DEP_2) | instskip(SKIP_1) | instid1(VALU_DEP_2)
	v_dual_cndmask_b32 v26, v26, v27 :: v_dual_cndmask_b32 v25, v25, v42
	v_ashrrev_i32_e32 v27, 31, v41
	v_add_nc_u32_e32 v42, 1, v26
	s_delay_alu instid0(VALU_DEP_3) | instskip(NEXT) | instid1(VALU_DEP_3)
	v_cmp_le_u32_e32 vcc_lo, s30, v25
	v_xor_b32_e32 v27, s31, v27
	s_delay_alu instid0(VALU_DEP_3) | instskip(NEXT) | instid1(VALU_DEP_1)
	v_cndmask_b32_e32 v25, v26, v42, vcc_lo
	v_xor_b32_e32 v25, v25, v27
	s_delay_alu instid0(VALU_DEP_1) | instskip(NEXT) | instid1(VALU_DEP_1)
	v_sub_nc_u32_e32 v25, v25, v27
	v_ashrrev_i32_e32 v26, 31, v25
	s_delay_alu instid0(VALU_DEP_1) | instskip(SKIP_2) | instid1(VALU_DEP_2)
	v_cmp_eq_u64_e32 vcc_lo, v[17:18], v[25:26]
	v_cmp_ne_u64_e64 s9, v[17:18], v[25:26]
	v_dual_mov_b32 v27, v24 :: v_dual_mov_b32 v26, v23
	s_and_saveexec_b32 s33, s9
	s_delay_alu instid0(SALU_CYCLE_1)
	s_xor_b32 s9, exec_lo, s33
; %bb.11:                               ;   in Loop: Header=BB123_10 Depth=2
	v_min_i32_e32 v40, v25, v40
                                        ; implicit-def: $vgpr25
                                        ; implicit-def: $vgpr41
                                        ; implicit-def: $vgpr26_vgpr27
; %bb.12:                               ;   in Loop: Header=BB123_10 Depth=2
	s_or_saveexec_b32 s9, s9
	v_dual_mov_b32 v24, v10 :: v_dual_mov_b32 v23, v9
	s_xor_b32 exec_lo, exec_lo, s9
	s_cbranch_execz .LBB123_9
; %bb.13:                               ;   in Loop: Header=BB123_10 Depth=2
	global_load_b64 v[42:43], v[19:20], off
	v_mul_lo_u32 v23, v25, s17
	s_delay_alu instid0(VALU_DEP_1) | instskip(NEXT) | instid1(VALU_DEP_1)
	v_sub_nc_u32_e32 v23, v41, v23
	v_add_lshl_u32 v25, v23, v29, 3
	v_dual_mov_b32 v23, v26 :: v_dual_mov_b32 v24, v27
	ds_store_b8 v4, v39 offset:8192
	s_waitcnt vmcnt(0)
	ds_store_b64 v25, v[42:43]
	s_branch .LBB123_9
.LBB123_14:                             ;   in Loop: Header=BB123_7 Depth=1
	s_or_b32 exec_lo, exec_lo, s11
.LBB123_15:                             ;   in Loop: Header=BB123_7 Depth=1
	s_delay_alu instid0(SALU_CYCLE_1)
	s_or_b32 exec_lo, exec_lo, s10
	ds_bpermute_b32 v9, v32, v23
	ds_bpermute_b32 v10, v32, v24
	s_waitcnt lgkmcnt(0)
	s_barrier
	buffer_gl0_inv
	ds_load_u8 v20, v4 offset:8192
	s_mov_b64 s[10:11], 0
	v_cmp_lt_i64_e32 vcc_lo, v[9:10], v[23:24]
	v_dual_cndmask_b32 v10, v24, v10 :: v_dual_cndmask_b32 v9, v23, v9
	ds_bpermute_b32 v19, v33, v10
	ds_bpermute_b32 v18, v33, v9
	s_waitcnt lgkmcnt(0)
	v_cmp_lt_i64_e32 vcc_lo, v[18:19], v[9:10]
	v_dual_cndmask_b32 v10, v10, v19 :: v_dual_cndmask_b32 v9, v9, v18
	ds_bpermute_b32 v19, v34, v10
	ds_bpermute_b32 v18, v34, v9
	s_waitcnt lgkmcnt(0)
	v_cmp_lt_i64_e32 vcc_lo, v[18:19], v[9:10]
	v_dual_cndmask_b32 v10, v10, v19 :: v_dual_cndmask_b32 v9, v9, v18
	v_cmp_eq_u32_e32 vcc_lo, 0, v20
	ds_bpermute_b32 v10, v0, v10
	ds_bpermute_b32 v9, v0, v9
	s_cbranch_vccnz .LBB123_22
; %bb.16:                               ;   in Loop: Header=BB123_7 Depth=1
	s_lshl_b64 s[10:11], s[22:23], 2
	s_mul_i32 s9, s29, s23
	s_mul_hi_u32 s33, s29, s22
	s_add_u32 s10, s14, s10
	s_addc_u32 s11, s15, s11
	s_add_i32 s9, s33, s9
	s_mul_i32 s33, s28, s22
	s_mul_i32 s34, s29, s22
	s_add_i32 s35, s9, s33
	v_add_nc_u32_e32 v21, s19, v17
	s_lshl_b64 s[34:35], s[34:35], 3
	s_delay_alu instid0(SALU_CYCLE_1)
	v_add_co_u32 v17, vcc_lo, v35, s34
	v_add_co_ci_u32_e32 v18, vcc_lo, s35, v36, vcc_lo
	v_add_co_u32 v19, vcc_lo, v3, s34
	v_add_co_ci_u32_e32 v20, vcc_lo, s35, v37, vcc_lo
	global_store_b32 v4, v21, s[10:11]
	s_and_saveexec_b32 s9, s13
	s_cbranch_execnz .LBB123_38
; %bb.17:                               ;   in Loop: Header=BB123_7 Depth=1
	s_or_b32 exec_lo, exec_lo, s9
	s_and_saveexec_b32 s9, s20
	s_cbranch_execnz .LBB123_39
.LBB123_18:                             ;   in Loop: Header=BB123_7 Depth=1
	s_or_b32 exec_lo, exec_lo, s9
	s_and_saveexec_b32 s9, s21
	s_cbranch_execnz .LBB123_40
.LBB123_19:                             ;   in Loop: Header=BB123_7 Depth=1
	s_or_b32 exec_lo, exec_lo, s9
	s_and_saveexec_b32 s9, s12
	s_cbranch_execz .LBB123_21
.LBB123_20:                             ;   in Loop: Header=BB123_7 Depth=1
	ds_load_b64 v[21:22], v31 offset:192
	v_add_co_u32 v19, vcc_lo, 0xc0, v19
	v_add_co_ci_u32_e32 v20, vcc_lo, 0, v20, vcc_lo
	v_add_co_u32 v17, vcc_lo, v17, v15
	v_add_co_ci_u32_e32 v18, vcc_lo, v18, v16, vcc_lo
	s_delay_alu instid0(VALU_DEP_2) | instskip(NEXT) | instid1(VALU_DEP_2)
	v_cndmask_b32_e64 v17, v17, v19, s8
	v_cndmask_b32_e64 v18, v18, v20, s8
	s_waitcnt lgkmcnt(0)
	global_store_b64 v[17:18], v[21:22], off
.LBB123_21:                             ;   in Loop: Header=BB123_7 Depth=1
	s_or_b32 exec_lo, exec_lo, s9
	s_mov_b64 s[10:11], 1
.LBB123_22:                             ;   in Loop: Header=BB123_7 Depth=1
	s_waitcnt lgkmcnt(0)
	s_waitcnt_vscnt null, 0x0
	s_barrier
	buffer_gl0_inv
	ds_store_b32 v30, v40
	s_waitcnt lgkmcnt(0)
	s_barrier
	buffer_gl0_inv
	s_and_saveexec_b32 s9, s0
	s_cbranch_execz .LBB123_24
; %bb.23:                               ;   in Loop: Header=BB123_7 Depth=1
	ds_load_2addr_stride64_b32 v[17:18], v30 offset1:2
	s_waitcnt lgkmcnt(0)
	v_min_i32_e32 v17, v18, v17
	ds_store_b32 v30, v17
.LBB123_24:                             ;   in Loop: Header=BB123_7 Depth=1
	s_or_b32 exec_lo, exec_lo, s9
	s_waitcnt lgkmcnt(0)
	s_barrier
	buffer_gl0_inv
	s_and_saveexec_b32 s9, s1
	s_cbranch_execz .LBB123_26
; %bb.25:                               ;   in Loop: Header=BB123_7 Depth=1
	ds_load_2addr_stride64_b32 v[17:18], v30 offset1:1
	s_waitcnt lgkmcnt(0)
	v_min_i32_e32 v17, v18, v17
	ds_store_b32 v30, v17
.LBB123_26:                             ;   in Loop: Header=BB123_7 Depth=1
	s_or_b32 exec_lo, exec_lo, s9
	s_waitcnt lgkmcnt(0)
	s_barrier
	buffer_gl0_inv
	s_and_saveexec_b32 s9, s2
	s_cbranch_execz .LBB123_28
; %bb.27:                               ;   in Loop: Header=BB123_7 Depth=1
	ds_load_2addr_b32 v[17:18], v30 offset1:32
	s_waitcnt lgkmcnt(0)
	v_min_i32_e32 v17, v18, v17
	ds_store_b32 v30, v17
.LBB123_28:                             ;   in Loop: Header=BB123_7 Depth=1
	s_or_b32 exec_lo, exec_lo, s9
	s_waitcnt lgkmcnt(0)
	s_barrier
	buffer_gl0_inv
	s_and_saveexec_b32 s9, s3
	s_cbranch_execz .LBB123_30
; %bb.29:                               ;   in Loop: Header=BB123_7 Depth=1
	ds_load_2addr_b32 v[17:18], v30 offset1:16
	s_waitcnt lgkmcnt(0)
	v_min_i32_e32 v17, v18, v17
	ds_store_b32 v30, v17
.LBB123_30:                             ;   in Loop: Header=BB123_7 Depth=1
	;; [unrolled: 12-line block ×5, first 2 shown]
	s_or_b32 exec_lo, exec_lo, s9
	s_waitcnt lgkmcnt(0)
	s_barrier
	buffer_gl0_inv
	s_and_saveexec_b32 s9, s7
	s_cbranch_execz .LBB123_6
; %bb.37:                               ;   in Loop: Header=BB123_7 Depth=1
	ds_load_b64 v[17:18], v4
	s_waitcnt lgkmcnt(0)
	v_min_i32_e32 v17, v18, v17
	ds_store_b32 v4, v17
	s_branch .LBB123_6
.LBB123_38:                             ;   in Loop: Header=BB123_7 Depth=1
	ds_load_b64 v[21:22], v31
	v_add_co_u32 v23, vcc_lo, v17, v7
	v_add_co_ci_u32_e32 v24, vcc_lo, v18, v8, vcc_lo
	s_delay_alu instid0(VALU_DEP_2) | instskip(NEXT) | instid1(VALU_DEP_2)
	v_cndmask_b32_e64 v23, v23, v19, s8
	v_cndmask_b32_e64 v24, v24, v20, s8
	s_waitcnt lgkmcnt(0)
	global_store_b64 v[23:24], v[21:22], off
	s_or_b32 exec_lo, exec_lo, s9
	s_and_saveexec_b32 s9, s20
	s_cbranch_execz .LBB123_18
.LBB123_39:                             ;   in Loop: Header=BB123_7 Depth=1
	ds_load_b64 v[21:22], v31 offset:64
	v_add_co_u32 v23, vcc_lo, v19, 64
	v_add_co_ci_u32_e32 v24, vcc_lo, 0, v20, vcc_lo
	v_add_co_u32 v25, vcc_lo, v17, v11
	v_add_co_ci_u32_e32 v26, vcc_lo, v18, v12, vcc_lo
	s_delay_alu instid0(VALU_DEP_2) | instskip(NEXT) | instid1(VALU_DEP_2)
	v_cndmask_b32_e64 v23, v25, v23, s8
	v_cndmask_b32_e64 v24, v26, v24, s8
	s_waitcnt lgkmcnt(0)
	global_store_b64 v[23:24], v[21:22], off
	s_or_b32 exec_lo, exec_lo, s9
	s_and_saveexec_b32 s9, s21
	s_cbranch_execz .LBB123_19
.LBB123_40:                             ;   in Loop: Header=BB123_7 Depth=1
	ds_load_b64 v[21:22], v31 offset:128
	v_add_co_u32 v23, vcc_lo, 0x80, v19
	v_add_co_ci_u32_e32 v24, vcc_lo, 0, v20, vcc_lo
	v_add_co_u32 v25, vcc_lo, v17, v13
	v_add_co_ci_u32_e32 v26, vcc_lo, v18, v14, vcc_lo
	s_delay_alu instid0(VALU_DEP_2) | instskip(NEXT) | instid1(VALU_DEP_2)
	v_cndmask_b32_e64 v23, v25, v23, s8
	v_cndmask_b32_e64 v24, v26, v24, s8
	s_waitcnt lgkmcnt(0)
	global_store_b64 v[23:24], v[21:22], off
	s_or_b32 exec_lo, exec_lo, s9
	s_and_saveexec_b32 s9, s12
	s_cbranch_execnz .LBB123_20
	s_branch .LBB123_21
.LBB123_41:
	s_endpgm
	.section	.rodata,"a",@progbits
	.p2align	6, 0x0
	.amdhsa_kernel _ZN9rocsparseL38csr2bsr_block_per_row_multipass_kernelILj256ELj32EdliEEv20rocsparse_direction_T3_S2_S2_S2_S2_21rocsparse_index_base_PKT1_PKT2_PKS2_S3_PS4_PS7_PS2_
		.amdhsa_group_segment_fixed_size 8200
		.amdhsa_private_segment_fixed_size 0
		.amdhsa_kernarg_size 88
		.amdhsa_user_sgpr_count 15
		.amdhsa_user_sgpr_dispatch_ptr 0
		.amdhsa_user_sgpr_queue_ptr 0
		.amdhsa_user_sgpr_kernarg_segment_ptr 1
		.amdhsa_user_sgpr_dispatch_id 0
		.amdhsa_user_sgpr_private_segment_size 0
		.amdhsa_wavefront_size32 1
		.amdhsa_uses_dynamic_stack 0
		.amdhsa_enable_private_segment 0
		.amdhsa_system_sgpr_workgroup_id_x 1
		.amdhsa_system_sgpr_workgroup_id_y 0
		.amdhsa_system_sgpr_workgroup_id_z 0
		.amdhsa_system_sgpr_workgroup_info 0
		.amdhsa_system_vgpr_workitem_id 0
		.amdhsa_next_free_vgpr 44
		.amdhsa_next_free_sgpr 36
		.amdhsa_reserve_vcc 1
		.amdhsa_float_round_mode_32 0
		.amdhsa_float_round_mode_16_64 0
		.amdhsa_float_denorm_mode_32 3
		.amdhsa_float_denorm_mode_16_64 3
		.amdhsa_dx10_clamp 1
		.amdhsa_ieee_mode 1
		.amdhsa_fp16_overflow 0
		.amdhsa_workgroup_processor_mode 1
		.amdhsa_memory_ordered 1
		.amdhsa_forward_progress 0
		.amdhsa_shared_vgpr_count 0
		.amdhsa_exception_fp_ieee_invalid_op 0
		.amdhsa_exception_fp_denorm_src 0
		.amdhsa_exception_fp_ieee_div_zero 0
		.amdhsa_exception_fp_ieee_overflow 0
		.amdhsa_exception_fp_ieee_underflow 0
		.amdhsa_exception_fp_ieee_inexact 0
		.amdhsa_exception_int_div_zero 0
	.end_amdhsa_kernel
	.section	.text._ZN9rocsparseL38csr2bsr_block_per_row_multipass_kernelILj256ELj32EdliEEv20rocsparse_direction_T3_S2_S2_S2_S2_21rocsparse_index_base_PKT1_PKT2_PKS2_S3_PS4_PS7_PS2_,"axG",@progbits,_ZN9rocsparseL38csr2bsr_block_per_row_multipass_kernelILj256ELj32EdliEEv20rocsparse_direction_T3_S2_S2_S2_S2_21rocsparse_index_base_PKT1_PKT2_PKS2_S3_PS4_PS7_PS2_,comdat
.Lfunc_end123:
	.size	_ZN9rocsparseL38csr2bsr_block_per_row_multipass_kernelILj256ELj32EdliEEv20rocsparse_direction_T3_S2_S2_S2_S2_21rocsparse_index_base_PKT1_PKT2_PKS2_S3_PS4_PS7_PS2_, .Lfunc_end123-_ZN9rocsparseL38csr2bsr_block_per_row_multipass_kernelILj256ELj32EdliEEv20rocsparse_direction_T3_S2_S2_S2_S2_21rocsparse_index_base_PKT1_PKT2_PKS2_S3_PS4_PS7_PS2_
                                        ; -- End function
	.section	.AMDGPU.csdata,"",@progbits
; Kernel info:
; codeLenInByte = 2440
; NumSgprs: 38
; NumVgprs: 44
; ScratchSize: 0
; MemoryBound: 0
; FloatMode: 240
; IeeeMode: 1
; LDSByteSize: 8200 bytes/workgroup (compile time only)
; SGPRBlocks: 4
; VGPRBlocks: 5
; NumSGPRsForWavesPerEU: 38
; NumVGPRsForWavesPerEU: 44
; Occupancy: 16
; WaveLimiterHint : 0
; COMPUTE_PGM_RSRC2:SCRATCH_EN: 0
; COMPUTE_PGM_RSRC2:USER_SGPR: 15
; COMPUTE_PGM_RSRC2:TRAP_HANDLER: 0
; COMPUTE_PGM_RSRC2:TGID_X_EN: 1
; COMPUTE_PGM_RSRC2:TGID_Y_EN: 0
; COMPUTE_PGM_RSRC2:TGID_Z_EN: 0
; COMPUTE_PGM_RSRC2:TIDIG_COMP_CNT: 0
	.section	.text._ZN9rocsparseL38csr2bsr_block_per_row_multipass_kernelILj256ELj64EdliEEv20rocsparse_direction_T3_S2_S2_S2_S2_21rocsparse_index_base_PKT1_PKT2_PKS2_S3_PS4_PS7_PS2_,"axG",@progbits,_ZN9rocsparseL38csr2bsr_block_per_row_multipass_kernelILj256ELj64EdliEEv20rocsparse_direction_T3_S2_S2_S2_S2_21rocsparse_index_base_PKT1_PKT2_PKS2_S3_PS4_PS7_PS2_,comdat
	.globl	_ZN9rocsparseL38csr2bsr_block_per_row_multipass_kernelILj256ELj64EdliEEv20rocsparse_direction_T3_S2_S2_S2_S2_21rocsparse_index_base_PKT1_PKT2_PKS2_S3_PS4_PS7_PS2_ ; -- Begin function _ZN9rocsparseL38csr2bsr_block_per_row_multipass_kernelILj256ELj64EdliEEv20rocsparse_direction_T3_S2_S2_S2_S2_21rocsparse_index_base_PKT1_PKT2_PKS2_S3_PS4_PS7_PS2_
	.p2align	8
	.type	_ZN9rocsparseL38csr2bsr_block_per_row_multipass_kernelILj256ELj64EdliEEv20rocsparse_direction_T3_S2_S2_S2_S2_21rocsparse_index_base_PKT1_PKT2_PKS2_S3_PS4_PS7_PS2_,@function
_ZN9rocsparseL38csr2bsr_block_per_row_multipass_kernelILj256ELj64EdliEEv20rocsparse_direction_T3_S2_S2_S2_S2_21rocsparse_index_base_PKT1_PKT2_PKS2_S3_PS4_PS7_PS2_: ; @_ZN9rocsparseL38csr2bsr_block_per_row_multipass_kernelILj256ELj64EdliEEv20rocsparse_direction_T3_S2_S2_S2_S2_21rocsparse_index_base_PKT1_PKT2_PKS2_S3_PS4_PS7_PS2_
; %bb.0:
	s_mov_b32 s10, s15
	s_clause 0x1
	s_load_b128 s[12:15], s[0:1], 0x10
	s_load_b64 s[8:9], s[0:1], 0x0
	v_lshrrev_b32_e32 v3, 2, v0
	s_load_b64 s[4:5], s[0:1], 0x28
	v_mov_b32_e32 v1, 0
	v_mov_b32_e32 v2, 0
	s_delay_alu instid0(VALU_DEP_1) | instskip(SKIP_3) | instid1(VALU_DEP_2)
	v_dual_mov_b32 v6, v2 :: v_dual_mov_b32 v5, v1
	s_waitcnt lgkmcnt(0)
	v_mad_u64_u32 v[7:8], null, s10, s13, v[3:4]
	v_cmp_gt_i32_e32 vcc_lo, s13, v3
	v_cmp_gt_i32_e64 s2, s9, v7
	s_delay_alu instid0(VALU_DEP_1) | instskip(NEXT) | instid1(SALU_CYCLE_1)
	s_and_b32 s3, vcc_lo, s2
	s_and_saveexec_b32 s6, s3
	s_cbranch_execnz .LBB124_3
; %bb.1:
	s_or_b32 exec_lo, exec_lo, s6
	s_and_saveexec_b32 s6, s3
	s_cbranch_execnz .LBB124_4
.LBB124_2:
	s_or_b32 exec_lo, exec_lo, s6
	s_cmp_lt_i32 s12, 1
	s_cbranch_scc0 .LBB124_5
	s_branch .LBB124_65
.LBB124_3:
	v_ashrrev_i32_e32 v8, 31, v7
	s_delay_alu instid0(VALU_DEP_1) | instskip(NEXT) | instid1(VALU_DEP_1)
	v_lshlrev_b64 v[4:5], 3, v[7:8]
	v_add_co_u32 v4, s2, s4, v4
	s_delay_alu instid0(VALU_DEP_1) | instskip(SKIP_3) | instid1(VALU_DEP_1)
	v_add_co_ci_u32_e64 v5, s2, s5, v5, s2
	global_load_b64 v[5:6], v[4:5], off
	s_waitcnt vmcnt(0)
	v_sub_co_u32 v5, s2, v5, s14
	v_subrev_co_ci_u32_e64 v6, s2, 0, v6, s2
	s_or_b32 exec_lo, exec_lo, s6
	s_and_saveexec_b32 s6, s3
	s_cbranch_execz .LBB124_2
.LBB124_4:
	v_ashrrev_i32_e32 v8, 31, v7
	s_delay_alu instid0(VALU_DEP_1) | instskip(NEXT) | instid1(VALU_DEP_1)
	v_lshlrev_b64 v[1:2], 3, v[7:8]
	v_add_co_u32 v1, s2, s4, v1
	s_delay_alu instid0(VALU_DEP_1) | instskip(SKIP_3) | instid1(VALU_DEP_1)
	v_add_co_ci_u32_e64 v2, s2, s5, v2, s2
	global_load_b64 v[1:2], v[1:2], off offset:8
	s_waitcnt vmcnt(0)
	v_sub_co_u32 v1, s2, v1, s14
	v_subrev_co_ci_u32_e64 v2, s2, 0, v2, s2
	s_or_b32 exec_lo, exec_lo, s6
	s_cmp_lt_i32 s12, 1
	s_cbranch_scc1 .LBB124_65
.LBB124_5:
	s_clause 0x4
	s_load_b128 s[4:7], s[0:1], 0x40
	s_load_b64 s[16:17], s[0:1], 0x50
	s_load_b64 s[18:19], s[0:1], 0x20
	s_load_b64 s[20:21], s[0:1], 0x30
	s_load_b32 s15, s[0:1], 0x38
	v_mbcnt_lo_u32_b32 v7, -1, 0
	s_ashr_i32 s11, s10, 31
	v_dual_mov_b32 v4, 0 :: v_dual_lshlrev_b32 v53, 6, v3
	s_lshl_b64 s[0:1], s[10:11], 3
	s_delay_alu instid0(VALU_DEP_2)
	v_xor_b32_e32 v8, 2, v7
	v_xor_b32_e32 v10, 1, v7
	v_lshlrev_b32_e32 v9, 3, v3
	v_mul_lo_u32 v3, v3, s13
	v_lshl_or_b32 v55, v7, 2, 12
	v_and_b32_e32 v52, 3, v0
	s_mov_b32 s24, 0
	v_dual_mov_b32 v41, 0 :: v_dual_lshlrev_b32 v54, 2, v0
	s_mul_hi_u32 s26, s13, s13
	s_waitcnt lgkmcnt(0)
	s_add_u32 s0, s6, s0
	s_addc_u32 s1, s7, s1
	v_lshlrev_b32_e32 v12, 3, v52
	s_load_b64 s[2:3], s[0:1], 0x0
	v_cmp_gt_i32_e64 s1, 32, v8
	v_cmp_gt_u32_e64 s0, 0x80, v0
	v_cmp_gt_u32_e64 s6, 4, v0
	;; [unrolled: 1-line block ×4, first 2 shown]
	v_cndmask_b32_e64 v11, v7, v8, s1
	v_cmp_gt_i32_e64 s1, 32, v10
	s_mul_i32 s27, s13, s13
	v_mov_b32_e32 v14, v4
	v_mov_b32_e32 v16, v4
	v_lshlrev_b32_e32 v56, 2, v11
	v_cndmask_b32_e64 v10, v7, v10, s1
	v_lshlrev_b64 v[7:8], 3, v[3:4]
	v_add_co_u32 v58, s1, s4, v9
	s_delay_alu instid0(VALU_DEP_1) | instskip(NEXT) | instid1(VALU_DEP_4)
	v_add_co_ci_u32_e64 v59, null, s5, 0, s1
	v_lshlrev_b32_e32 v57, 2, v10
	s_delay_alu instid0(VALU_DEP_4) | instskip(NEXT) | instid1(VALU_DEP_1)
	v_add_co_u32 v3, s1, s4, v7
	v_add_co_ci_u32_e64 v7, s1, s5, v8, s1
	s_waitcnt lgkmcnt(0)
	s_sub_u32 s22, s2, s15
	s_delay_alu instid0(VALU_DEP_2)
	v_add_co_u32 v60, s1, v3, v12
	s_subb_u32 s23, s3, 0
	s_cmp_eq_u32 s8, 0
	v_add_co_ci_u32_e64 v61, s1, 0, v7, s1
	v_cmp_gt_u32_e64 s2, 64, v0
	v_cmp_gt_u32_e64 s3, 32, v0
	;; [unrolled: 1-line block ×4, first 2 shown]
	v_cmp_eq_u32_e64 s8, 0, v0
	v_or_b32_e32 v0, 4, v52
	v_or_b32_e32 v7, v53, v52
	;; [unrolled: 1-line block ×3, first 2 shown]
	s_cselect_b32 s1, -1, 0
	s_and_b32 s28, vcc_lo, s9
	v_cmp_gt_u32_e64 s10, s13, v0
	v_lshlrev_b32_e32 v0, 3, v7
	v_cmp_gt_u32_e64 s9, s13, v8
	v_or_b32_e32 v7, 12, v52
	v_or_b32_e32 v8, 16, v52
	s_and_b32 s29, vcc_lo, s10
	s_abs_i32 s38, s13
	s_and_b32 s30, vcc_lo, s9
	v_cmp_gt_u32_e64 s9, s13, v7
	v_or_b32_e32 v7, 20, v52
	v_cmp_gt_u32_e64 s10, s13, v8
	v_or_b32_e32 v8, 28, v52
	s_lshl_b32 s11, s13, 2
	s_and_b32 s31, vcc_lo, s9
	v_cmp_gt_u32_e64 s9, s13, v7
	v_or_b32_e32 v7, 24, v52
	s_and_b32 s33, vcc_lo, s10
	v_cmp_gt_u32_e64 s10, s13, v8
	v_cvt_f32_u32_e32 v8, s38
	s_and_b32 s34, vcc_lo, s9
	v_cmp_gt_u32_e64 s9, s13, v7
	v_or_b32_e32 v7, 32, v52
	s_sub_i32 s25, 0, s38
	s_and_b32 s36, vcc_lo, s10
	v_mov_b32_e32 v12, v4
	s_and_b32 s35, vcc_lo, s9
	v_cmp_gt_u32_e64 s9, s13, v7
	v_or_b32_e32 v7, 36, v52
	s_ashr_i32 s44, s13, 31
	v_mov_b32_e32 v18, v4
	v_mov_b32_e32 v20, v4
	s_and_b32 s37, vcc_lo, s9
	v_cmp_gt_u32_e64 s9, s13, v7
	v_rcp_iflag_f32_e32 v7, v8
	v_mov_b32_e32 v22, v4
	v_mov_b32_e32 v24, v4
	;; [unrolled: 1-line block ×3, first 2 shown]
	s_and_b32 s39, vcc_lo, s9
	v_mov_b32_e32 v28, v4
	v_mov_b32_e32 v30, v4
	;; [unrolled: 1-line block ×4, first 2 shown]
	s_delay_alu instid0(TRANS32_DEP_1)
	v_dual_mov_b32 v36, v4 :: v_dual_mul_f32 v7, 0x4f7ffffe, v7
	v_mul_lo_u32 v3, v52, s13
	v_or_b32_e32 v8, 44, v52
	v_or_b32_e32 v9, 40, v52
	;; [unrolled: 1-line block ×3, first 2 shown]
	v_cvt_u32_f32_e32 v7, v7
	v_mov_b32_e32 v38, v4
	v_cmp_gt_u32_e64 s9, s13, v8
	v_or_b32_e32 v8, 48, v52
	v_add_nc_u32_e32 v11, s11, v3
	v_cmp_gt_u32_e64 s10, s13, v9
	v_or_b32_e32 v9, 52, v52
	s_and_b32 s41, vcc_lo, s9
	v_cmp_gt_u32_e64 s9, s13, v8
	v_add_nc_u32_e32 v13, s11, v11
	v_mul_lo_u32 v8, s25, v7
	s_and_b32 s40, vcc_lo, s10
	v_cmp_gt_u32_e64 s10, s13, v9
	v_or_b32_e32 v9, 56, v52
	v_add_nc_u32_e32 v15, s11, v13
	s_mov_b32 s25, s24
	s_and_b32 s42, vcc_lo, s9
	s_and_b32 s43, vcc_lo, s10
	v_mul_hi_u32 v8, v7, v8
	v_add_nc_u32_e32 v17, s11, v15
	v_cmp_gt_u32_e64 s9, s13, v9
	v_cmp_gt_u32_e64 s10, s13, v10
	v_lshlrev_b64 v[9:10], 3, v[3:4]
	v_lshlrev_b64 v[11:12], 3, v[11:12]
	v_add_nc_u32_e32 v19, s11, v17
	v_lshlrev_b64 v[13:14], 3, v[13:14]
	v_dual_mov_b32 v7, s24 :: v_dual_add_nc_u32 v62, v7, v8
	v_lshlrev_b64 v[15:16], 3, v[15:16]
	s_delay_alu instid0(VALU_DEP_4) | instskip(SKIP_3) | instid1(VALU_DEP_4)
	v_add_nc_u32_e32 v21, s11, v19
	v_lshlrev_b64 v[17:18], 3, v[17:18]
	v_lshlrev_b64 v[19:20], 3, v[19:20]
	v_dual_mov_b32 v3, 1 :: v_dual_mov_b32 v40, v4
	v_add_nc_u32_e32 v23, s11, v21
	v_lshlrev_b64 v[21:22], 3, v[21:22]
	v_mov_b32_e32 v42, 0
	v_mov_b32_e32 v8, s25
	s_and_b32 s24, vcc_lo, s9
	v_add_nc_u32_e32 v25, s11, v23
	v_lshlrev_b64 v[23:24], 3, v[23:24]
	s_and_b32 s25, vcc_lo, s10
	s_delay_alu instid0(VALU_DEP_2) | instskip(SKIP_1) | instid1(VALU_DEP_2)
	v_add_nc_u32_e32 v27, s11, v25
	v_lshlrev_b64 v[25:26], 3, v[25:26]
	v_add_nc_u32_e32 v29, s11, v27
	v_lshlrev_b64 v[27:28], 3, v[27:28]
	s_delay_alu instid0(VALU_DEP_2) | instskip(SKIP_1) | instid1(VALU_DEP_2)
	v_add_nc_u32_e32 v31, s11, v29
	v_lshlrev_b64 v[29:30], 3, v[29:30]
	v_add_nc_u32_e32 v33, s11, v31
	v_lshlrev_b64 v[31:32], 3, v[31:32]
	;; [unrolled: 5-line block ×3, first 2 shown]
	s_delay_alu instid0(VALU_DEP_2) | instskip(SKIP_1) | instid1(VALU_DEP_2)
	v_add_nc_u32_e32 v39, s11, v37
	v_lshlrev_b64 v[37:38], 3, v[37:38]
	v_lshlrev_b64 v[39:40], 3, v[39:40]
	s_branch .LBB124_7
.LBB124_6:                              ;   in Loop: Header=BB124_7 Depth=1
	s_or_b32 exec_lo, exec_lo, s9
	s_waitcnt lgkmcnt(0)
	s_barrier
	buffer_gl0_inv
	ds_load_b32 v41, v4
	s_add_u32 s22, s10, s22
	s_addc_u32 s23, s11, s23
	s_waitcnt lgkmcnt(0)
	s_barrier
	buffer_gl0_inv
	v_cmp_gt_i32_e32 vcc_lo, s12, v41
	v_ashrrev_i32_e32 v42, 31, v41
	s_cbranch_vccz .LBB124_65
.LBB124_7:                              ; =>This Loop Header: Depth=1
                                        ;     Child Loop BB124_10 Depth 2
	v_add_co_u32 v5, vcc_lo, v5, v52
	v_dual_mov_b32 v63, s12 :: v_dual_mov_b32 v48, v2
	v_add_co_ci_u32_e32 v6, vcc_lo, 0, v6, vcc_lo
	v_mov_b32_e32 v47, v1
	s_mov_b32 s10, exec_lo
	ds_store_b8 v4, v4 offset:32768
	ds_store_2addr_b64 v0, v[7:8], v[7:8] offset1:4
	ds_store_2addr_b64 v0, v[7:8], v[7:8] offset0:8 offset1:12
	ds_store_2addr_b64 v0, v[7:8], v[7:8] offset0:16 offset1:20
	;; [unrolled: 1-line block ×7, first 2 shown]
	s_waitcnt lgkmcnt(0)
	s_barrier
	buffer_gl0_inv
	v_cmpx_lt_i64_e64 v[5:6], v[1:2]
	s_cbranch_execz .LBB124_15
; %bb.8:                                ;   in Loop: Header=BB124_7 Depth=1
	v_lshlrev_b64 v[43:44], 3, v[5:6]
	v_lshlrev_b64 v[45:46], 2, v[5:6]
	v_dual_mov_b32 v63, s12 :: v_dual_mov_b32 v48, v2
	v_mov_b32_e32 v47, v1
	s_mov_b32 s11, 0
	s_delay_alu instid0(VALU_DEP_4)
	v_add_co_u32 v43, vcc_lo, s18, v43
	v_add_co_ci_u32_e32 v44, vcc_lo, s19, v44, vcc_lo
	v_add_co_u32 v45, vcc_lo, s20, v45
	v_add_co_ci_u32_e32 v46, vcc_lo, s21, v46, vcc_lo
	s_branch .LBB124_10
.LBB124_9:                              ;   in Loop: Header=BB124_10 Depth=2
	s_or_b32 exec_lo, exec_lo, s9
	v_add_co_u32 v5, s9, v5, 4
	s_delay_alu instid0(VALU_DEP_1) | instskip(SKIP_2) | instid1(VALU_DEP_2)
	v_add_co_ci_u32_e64 v6, s9, 0, v6, s9
	s_xor_b32 s45, vcc_lo, -1
	v_add_co_u32 v43, vcc_lo, v43, 32
	v_cmp_ge_i64_e64 s9, v[5:6], v[1:2]
	v_add_co_ci_u32_e32 v44, vcc_lo, 0, v44, vcc_lo
	v_add_co_u32 v45, vcc_lo, v45, 16
	v_add_co_ci_u32_e32 v46, vcc_lo, 0, v46, vcc_lo
	s_delay_alu instid0(VALU_DEP_4) | instskip(NEXT) | instid1(SALU_CYCLE_1)
	s_or_b32 s9, s45, s9
	s_and_b32 s9, exec_lo, s9
	s_delay_alu instid0(SALU_CYCLE_1) | instskip(NEXT) | instid1(SALU_CYCLE_1)
	s_or_b32 s11, s9, s11
	s_and_not1_b32 exec_lo, exec_lo, s11
	s_cbranch_execz .LBB124_14
.LBB124_10:                             ;   Parent Loop BB124_7 Depth=1
                                        ; =>  This Inner Loop Header: Depth=2
	global_load_b32 v49, v[45:46], off
	s_waitcnt vmcnt(0)
	v_subrev_nc_u32_e32 v64, s14, v49
	s_delay_alu instid0(VALU_DEP_1) | instskip(NEXT) | instid1(VALU_DEP_1)
	v_sub_nc_u32_e32 v49, 0, v64
	v_max_i32_e32 v49, v64, v49
	s_delay_alu instid0(VALU_DEP_1) | instskip(NEXT) | instid1(VALU_DEP_1)
	v_mul_hi_u32 v50, v49, v62
	v_mul_lo_u32 v51, v50, s38
	s_delay_alu instid0(VALU_DEP_1) | instskip(SKIP_1) | instid1(VALU_DEP_2)
	v_sub_nc_u32_e32 v49, v49, v51
	v_add_nc_u32_e32 v51, 1, v50
	v_subrev_nc_u32_e32 v65, s38, v49
	v_cmp_le_u32_e32 vcc_lo, s38, v49
	s_delay_alu instid0(VALU_DEP_2) | instskip(SKIP_1) | instid1(VALU_DEP_2)
	v_dual_cndmask_b32 v50, v50, v51 :: v_dual_cndmask_b32 v49, v49, v65
	v_ashrrev_i32_e32 v51, 31, v64
	v_add_nc_u32_e32 v65, 1, v50
	s_delay_alu instid0(VALU_DEP_3) | instskip(NEXT) | instid1(VALU_DEP_3)
	v_cmp_le_u32_e32 vcc_lo, s38, v49
	v_xor_b32_e32 v51, s44, v51
	s_delay_alu instid0(VALU_DEP_3) | instskip(NEXT) | instid1(VALU_DEP_1)
	v_cndmask_b32_e32 v49, v50, v65, vcc_lo
	v_xor_b32_e32 v49, v49, v51
	s_delay_alu instid0(VALU_DEP_1) | instskip(NEXT) | instid1(VALU_DEP_1)
	v_sub_nc_u32_e32 v49, v49, v51
	v_ashrrev_i32_e32 v50, 31, v49
	s_delay_alu instid0(VALU_DEP_1) | instskip(SKIP_2) | instid1(VALU_DEP_2)
	v_cmp_eq_u64_e32 vcc_lo, v[41:42], v[49:50]
	v_cmp_ne_u64_e64 s9, v[41:42], v[49:50]
	v_dual_mov_b32 v51, v48 :: v_dual_mov_b32 v50, v47
	s_and_saveexec_b32 s45, s9
	s_delay_alu instid0(SALU_CYCLE_1)
	s_xor_b32 s9, exec_lo, s45
; %bb.11:                               ;   in Loop: Header=BB124_10 Depth=2
	v_min_i32_e32 v63, v49, v63
                                        ; implicit-def: $vgpr49
                                        ; implicit-def: $vgpr64
                                        ; implicit-def: $vgpr50_vgpr51
; %bb.12:                               ;   in Loop: Header=BB124_10 Depth=2
	s_or_saveexec_b32 s9, s9
	v_dual_mov_b32 v48, v6 :: v_dual_mov_b32 v47, v5
	s_xor_b32 exec_lo, exec_lo, s9
	s_cbranch_execz .LBB124_9
; %bb.13:                               ;   in Loop: Header=BB124_10 Depth=2
	global_load_b64 v[65:66], v[43:44], off
	v_mul_lo_u32 v47, v49, s13
	s_delay_alu instid0(VALU_DEP_1) | instskip(NEXT) | instid1(VALU_DEP_1)
	v_sub_nc_u32_e32 v47, v64, v47
	v_add_lshl_u32 v49, v47, v53, 3
	v_dual_mov_b32 v47, v50 :: v_dual_mov_b32 v48, v51
	ds_store_b8 v4, v3 offset:32768
	s_waitcnt vmcnt(0)
	ds_store_b64 v49, v[65:66]
	s_branch .LBB124_9
.LBB124_14:                             ;   in Loop: Header=BB124_7 Depth=1
	s_or_b32 exec_lo, exec_lo, s11
.LBB124_15:                             ;   in Loop: Header=BB124_7 Depth=1
	s_delay_alu instid0(SALU_CYCLE_1)
	s_or_b32 exec_lo, exec_lo, s10
	ds_bpermute_b32 v5, v56, v47
	ds_bpermute_b32 v6, v56, v48
	s_waitcnt lgkmcnt(0)
	s_barrier
	buffer_gl0_inv
	ds_load_u8 v44, v4 offset:32768
	s_mov_b64 s[10:11], 0
	v_cmp_lt_i64_e32 vcc_lo, v[5:6], v[47:48]
	v_dual_cndmask_b32 v6, v48, v6 :: v_dual_cndmask_b32 v5, v47, v5
	ds_bpermute_b32 v43, v57, v6
	ds_bpermute_b32 v42, v57, v5
	s_waitcnt lgkmcnt(0)
	v_cmp_lt_i64_e32 vcc_lo, v[42:43], v[5:6]
	v_dual_cndmask_b32 v6, v6, v43 :: v_dual_cndmask_b32 v5, v5, v42
	v_cmp_eq_u32_e32 vcc_lo, 0, v44
	ds_bpermute_b32 v6, v55, v6
	ds_bpermute_b32 v5, v55, v5
	s_cbranch_vccnz .LBB124_34
; %bb.16:                               ;   in Loop: Header=BB124_7 Depth=1
	s_lshl_b64 s[10:11], s[22:23], 2
	s_mul_i32 s9, s27, s23
	s_mul_hi_u32 s45, s27, s22
	s_add_u32 s10, s16, s10
	s_addc_u32 s11, s17, s11
	s_add_i32 s9, s45, s9
	s_mul_i32 s45, s26, s22
	s_mul_i32 s46, s27, s22
	s_add_i32 s47, s9, s45
	v_add_nc_u32_e32 v45, s15, v41
	s_lshl_b64 s[46:47], s[46:47], 3
	s_delay_alu instid0(SALU_CYCLE_1)
	v_add_co_u32 v41, vcc_lo, v58, s46
	v_add_co_ci_u32_e32 v42, vcc_lo, s47, v59, vcc_lo
	v_add_co_u32 v43, vcc_lo, v60, s46
	v_add_co_ci_u32_e32 v44, vcc_lo, s47, v61, vcc_lo
	global_store_b32 v4, v45, s[10:11]
	s_and_saveexec_b32 s9, s28
	s_cbranch_execnz .LBB124_50
; %bb.17:                               ;   in Loop: Header=BB124_7 Depth=1
	s_or_b32 exec_lo, exec_lo, s9
	s_and_saveexec_b32 s9, s29
	s_cbranch_execnz .LBB124_51
.LBB124_18:                             ;   in Loop: Header=BB124_7 Depth=1
	s_or_b32 exec_lo, exec_lo, s9
	s_and_saveexec_b32 s9, s30
	s_cbranch_execnz .LBB124_52
.LBB124_19:                             ;   in Loop: Header=BB124_7 Depth=1
	s_or_b32 exec_lo, exec_lo, s9
	s_and_saveexec_b32 s9, s31
	s_cbranch_execnz .LBB124_53
.LBB124_20:                             ;   in Loop: Header=BB124_7 Depth=1
	s_or_b32 exec_lo, exec_lo, s9
	s_and_saveexec_b32 s9, s33
	s_cbranch_execnz .LBB124_54
.LBB124_21:                             ;   in Loop: Header=BB124_7 Depth=1
	s_or_b32 exec_lo, exec_lo, s9
	s_and_saveexec_b32 s9, s34
	s_cbranch_execnz .LBB124_55
.LBB124_22:                             ;   in Loop: Header=BB124_7 Depth=1
	s_or_b32 exec_lo, exec_lo, s9
	s_and_saveexec_b32 s9, s35
	s_cbranch_execnz .LBB124_56
.LBB124_23:                             ;   in Loop: Header=BB124_7 Depth=1
	s_or_b32 exec_lo, exec_lo, s9
	s_and_saveexec_b32 s9, s36
	s_cbranch_execnz .LBB124_57
.LBB124_24:                             ;   in Loop: Header=BB124_7 Depth=1
	s_or_b32 exec_lo, exec_lo, s9
	s_and_saveexec_b32 s9, s37
	s_cbranch_execnz .LBB124_58
.LBB124_25:                             ;   in Loop: Header=BB124_7 Depth=1
	s_or_b32 exec_lo, exec_lo, s9
	s_and_saveexec_b32 s9, s39
	s_cbranch_execnz .LBB124_59
.LBB124_26:                             ;   in Loop: Header=BB124_7 Depth=1
	s_or_b32 exec_lo, exec_lo, s9
	s_and_saveexec_b32 s9, s40
	s_cbranch_execnz .LBB124_60
.LBB124_27:                             ;   in Loop: Header=BB124_7 Depth=1
	s_or_b32 exec_lo, exec_lo, s9
	s_and_saveexec_b32 s9, s41
	s_cbranch_execnz .LBB124_61
.LBB124_28:                             ;   in Loop: Header=BB124_7 Depth=1
	s_or_b32 exec_lo, exec_lo, s9
	s_and_saveexec_b32 s9, s42
	s_cbranch_execnz .LBB124_62
.LBB124_29:                             ;   in Loop: Header=BB124_7 Depth=1
	s_or_b32 exec_lo, exec_lo, s9
	s_and_saveexec_b32 s9, s43
	s_cbranch_execnz .LBB124_63
.LBB124_30:                             ;   in Loop: Header=BB124_7 Depth=1
	s_or_b32 exec_lo, exec_lo, s9
	s_and_saveexec_b32 s9, s24
	s_cbranch_execnz .LBB124_64
.LBB124_31:                             ;   in Loop: Header=BB124_7 Depth=1
	s_or_b32 exec_lo, exec_lo, s9
	s_and_saveexec_b32 s9, s25
	s_cbranch_execz .LBB124_33
.LBB124_32:                             ;   in Loop: Header=BB124_7 Depth=1
	ds_load_b64 v[45:46], v0 offset:480
	v_add_co_u32 v43, vcc_lo, 0x1e0, v43
	v_add_co_ci_u32_e32 v44, vcc_lo, 0, v44, vcc_lo
	v_add_co_u32 v41, vcc_lo, v41, v39
	v_add_co_ci_u32_e32 v42, vcc_lo, v42, v40, vcc_lo
	s_delay_alu instid0(VALU_DEP_2) | instskip(NEXT) | instid1(VALU_DEP_2)
	v_cndmask_b32_e64 v41, v41, v43, s1
	v_cndmask_b32_e64 v42, v42, v44, s1
	s_waitcnt lgkmcnt(0)
	global_store_b64 v[41:42], v[45:46], off
.LBB124_33:                             ;   in Loop: Header=BB124_7 Depth=1
	s_or_b32 exec_lo, exec_lo, s9
	s_mov_b64 s[10:11], 1
.LBB124_34:                             ;   in Loop: Header=BB124_7 Depth=1
	s_waitcnt lgkmcnt(0)
	s_waitcnt_vscnt null, 0x0
	s_barrier
	buffer_gl0_inv
	ds_store_b32 v54, v63
	s_waitcnt lgkmcnt(0)
	s_barrier
	buffer_gl0_inv
	s_and_saveexec_b32 s9, s0
	s_cbranch_execz .LBB124_36
; %bb.35:                               ;   in Loop: Header=BB124_7 Depth=1
	ds_load_2addr_stride64_b32 v[41:42], v54 offset1:2
	s_waitcnt lgkmcnt(0)
	v_min_i32_e32 v41, v42, v41
	ds_store_b32 v54, v41
.LBB124_36:                             ;   in Loop: Header=BB124_7 Depth=1
	s_or_b32 exec_lo, exec_lo, s9
	s_waitcnt lgkmcnt(0)
	s_barrier
	buffer_gl0_inv
	s_and_saveexec_b32 s9, s2
	s_cbranch_execz .LBB124_38
; %bb.37:                               ;   in Loop: Header=BB124_7 Depth=1
	ds_load_2addr_stride64_b32 v[41:42], v54 offset1:1
	s_waitcnt lgkmcnt(0)
	v_min_i32_e32 v41, v42, v41
	ds_store_b32 v54, v41
.LBB124_38:                             ;   in Loop: Header=BB124_7 Depth=1
	s_or_b32 exec_lo, exec_lo, s9
	s_waitcnt lgkmcnt(0)
	s_barrier
	buffer_gl0_inv
	s_and_saveexec_b32 s9, s3
	s_cbranch_execz .LBB124_40
; %bb.39:                               ;   in Loop: Header=BB124_7 Depth=1
	ds_load_2addr_b32 v[41:42], v54 offset1:32
	s_waitcnt lgkmcnt(0)
	v_min_i32_e32 v41, v42, v41
	ds_store_b32 v54, v41
.LBB124_40:                             ;   in Loop: Header=BB124_7 Depth=1
	s_or_b32 exec_lo, exec_lo, s9
	s_waitcnt lgkmcnt(0)
	s_barrier
	buffer_gl0_inv
	s_and_saveexec_b32 s9, s4
	s_cbranch_execz .LBB124_42
; %bb.41:                               ;   in Loop: Header=BB124_7 Depth=1
	ds_load_2addr_b32 v[41:42], v54 offset1:16
	s_waitcnt lgkmcnt(0)
	v_min_i32_e32 v41, v42, v41
	ds_store_b32 v54, v41
.LBB124_42:                             ;   in Loop: Header=BB124_7 Depth=1
	;; [unrolled: 12-line block ×5, first 2 shown]
	s_or_b32 exec_lo, exec_lo, s9
	s_waitcnt lgkmcnt(0)
	s_barrier
	buffer_gl0_inv
	s_and_saveexec_b32 s9, s8
	s_cbranch_execz .LBB124_6
; %bb.49:                               ;   in Loop: Header=BB124_7 Depth=1
	ds_load_b64 v[41:42], v4
	s_waitcnt lgkmcnt(0)
	v_min_i32_e32 v41, v42, v41
	ds_store_b32 v4, v41
	s_branch .LBB124_6
.LBB124_50:                             ;   in Loop: Header=BB124_7 Depth=1
	ds_load_b64 v[45:46], v0
	v_add_co_u32 v47, vcc_lo, v41, v9
	v_add_co_ci_u32_e32 v48, vcc_lo, v42, v10, vcc_lo
	s_delay_alu instid0(VALU_DEP_2) | instskip(NEXT) | instid1(VALU_DEP_2)
	v_cndmask_b32_e64 v47, v47, v43, s1
	v_cndmask_b32_e64 v48, v48, v44, s1
	s_waitcnt lgkmcnt(0)
	global_store_b64 v[47:48], v[45:46], off
	s_or_b32 exec_lo, exec_lo, s9
	s_and_saveexec_b32 s9, s29
	s_cbranch_execz .LBB124_18
.LBB124_51:                             ;   in Loop: Header=BB124_7 Depth=1
	ds_load_b64 v[45:46], v0 offset:32
	v_add_co_u32 v47, vcc_lo, v43, 32
	v_add_co_ci_u32_e32 v48, vcc_lo, 0, v44, vcc_lo
	v_add_co_u32 v49, vcc_lo, v41, v11
	v_add_co_ci_u32_e32 v50, vcc_lo, v42, v12, vcc_lo
	s_delay_alu instid0(VALU_DEP_2) | instskip(NEXT) | instid1(VALU_DEP_2)
	v_cndmask_b32_e64 v47, v49, v47, s1
	v_cndmask_b32_e64 v48, v50, v48, s1
	s_waitcnt lgkmcnt(0)
	global_store_b64 v[47:48], v[45:46], off
	s_or_b32 exec_lo, exec_lo, s9
	s_and_saveexec_b32 s9, s30
	s_cbranch_execz .LBB124_19
.LBB124_52:                             ;   in Loop: Header=BB124_7 Depth=1
	ds_load_b64 v[45:46], v0 offset:64
	v_add_co_u32 v47, vcc_lo, v43, 64
	v_add_co_ci_u32_e32 v48, vcc_lo, 0, v44, vcc_lo
	v_add_co_u32 v49, vcc_lo, v41, v13
	v_add_co_ci_u32_e32 v50, vcc_lo, v42, v14, vcc_lo
	s_delay_alu instid0(VALU_DEP_2) | instskip(NEXT) | instid1(VALU_DEP_2)
	v_cndmask_b32_e64 v47, v49, v47, s1
	v_cndmask_b32_e64 v48, v50, v48, s1
	s_waitcnt lgkmcnt(0)
	global_store_b64 v[47:48], v[45:46], off
	s_or_b32 exec_lo, exec_lo, s9
	s_and_saveexec_b32 s9, s31
	s_cbranch_execz .LBB124_20
.LBB124_53:                             ;   in Loop: Header=BB124_7 Depth=1
	ds_load_b64 v[45:46], v0 offset:96
	v_add_co_u32 v47, vcc_lo, 0x60, v43
	v_add_co_ci_u32_e32 v48, vcc_lo, 0, v44, vcc_lo
	v_add_co_u32 v49, vcc_lo, v41, v15
	v_add_co_ci_u32_e32 v50, vcc_lo, v42, v16, vcc_lo
	s_delay_alu instid0(VALU_DEP_2) | instskip(NEXT) | instid1(VALU_DEP_2)
	v_cndmask_b32_e64 v47, v49, v47, s1
	v_cndmask_b32_e64 v48, v50, v48, s1
	s_waitcnt lgkmcnt(0)
	global_store_b64 v[47:48], v[45:46], off
	s_or_b32 exec_lo, exec_lo, s9
	s_and_saveexec_b32 s9, s33
	s_cbranch_execz .LBB124_21
.LBB124_54:                             ;   in Loop: Header=BB124_7 Depth=1
	ds_load_b64 v[45:46], v0 offset:128
	v_add_co_u32 v47, vcc_lo, 0x80, v43
	v_add_co_ci_u32_e32 v48, vcc_lo, 0, v44, vcc_lo
	v_add_co_u32 v49, vcc_lo, v41, v17
	v_add_co_ci_u32_e32 v50, vcc_lo, v42, v18, vcc_lo
	s_delay_alu instid0(VALU_DEP_2) | instskip(NEXT) | instid1(VALU_DEP_2)
	v_cndmask_b32_e64 v47, v49, v47, s1
	v_cndmask_b32_e64 v48, v50, v48, s1
	s_waitcnt lgkmcnt(0)
	global_store_b64 v[47:48], v[45:46], off
	s_or_b32 exec_lo, exec_lo, s9
	s_and_saveexec_b32 s9, s34
	s_cbranch_execz .LBB124_22
.LBB124_55:                             ;   in Loop: Header=BB124_7 Depth=1
	ds_load_b64 v[45:46], v0 offset:160
	v_add_co_u32 v47, vcc_lo, 0xa0, v43
	v_add_co_ci_u32_e32 v48, vcc_lo, 0, v44, vcc_lo
	v_add_co_u32 v49, vcc_lo, v41, v19
	v_add_co_ci_u32_e32 v50, vcc_lo, v42, v20, vcc_lo
	s_delay_alu instid0(VALU_DEP_2) | instskip(NEXT) | instid1(VALU_DEP_2)
	v_cndmask_b32_e64 v47, v49, v47, s1
	v_cndmask_b32_e64 v48, v50, v48, s1
	s_waitcnt lgkmcnt(0)
	global_store_b64 v[47:48], v[45:46], off
	s_or_b32 exec_lo, exec_lo, s9
	s_and_saveexec_b32 s9, s35
	s_cbranch_execz .LBB124_23
.LBB124_56:                             ;   in Loop: Header=BB124_7 Depth=1
	ds_load_b64 v[45:46], v0 offset:192
	v_add_co_u32 v47, vcc_lo, 0xc0, v43
	v_add_co_ci_u32_e32 v48, vcc_lo, 0, v44, vcc_lo
	v_add_co_u32 v49, vcc_lo, v41, v21
	v_add_co_ci_u32_e32 v50, vcc_lo, v42, v22, vcc_lo
	s_delay_alu instid0(VALU_DEP_2) | instskip(NEXT) | instid1(VALU_DEP_2)
	v_cndmask_b32_e64 v47, v49, v47, s1
	v_cndmask_b32_e64 v48, v50, v48, s1
	s_waitcnt lgkmcnt(0)
	global_store_b64 v[47:48], v[45:46], off
	s_or_b32 exec_lo, exec_lo, s9
	s_and_saveexec_b32 s9, s36
	s_cbranch_execz .LBB124_24
.LBB124_57:                             ;   in Loop: Header=BB124_7 Depth=1
	ds_load_b64 v[45:46], v0 offset:224
	v_add_co_u32 v47, vcc_lo, 0xe0, v43
	v_add_co_ci_u32_e32 v48, vcc_lo, 0, v44, vcc_lo
	v_add_co_u32 v49, vcc_lo, v41, v23
	v_add_co_ci_u32_e32 v50, vcc_lo, v42, v24, vcc_lo
	s_delay_alu instid0(VALU_DEP_2) | instskip(NEXT) | instid1(VALU_DEP_2)
	v_cndmask_b32_e64 v47, v49, v47, s1
	v_cndmask_b32_e64 v48, v50, v48, s1
	s_waitcnt lgkmcnt(0)
	global_store_b64 v[47:48], v[45:46], off
	s_or_b32 exec_lo, exec_lo, s9
	s_and_saveexec_b32 s9, s37
	s_cbranch_execz .LBB124_25
.LBB124_58:                             ;   in Loop: Header=BB124_7 Depth=1
	ds_load_b64 v[45:46], v0 offset:256
	v_add_co_u32 v47, vcc_lo, 0x100, v43
	v_add_co_ci_u32_e32 v48, vcc_lo, 0, v44, vcc_lo
	v_add_co_u32 v49, vcc_lo, v41, v25
	v_add_co_ci_u32_e32 v50, vcc_lo, v42, v26, vcc_lo
	s_delay_alu instid0(VALU_DEP_2) | instskip(NEXT) | instid1(VALU_DEP_2)
	v_cndmask_b32_e64 v47, v49, v47, s1
	v_cndmask_b32_e64 v48, v50, v48, s1
	s_waitcnt lgkmcnt(0)
	global_store_b64 v[47:48], v[45:46], off
	s_or_b32 exec_lo, exec_lo, s9
	s_and_saveexec_b32 s9, s39
	s_cbranch_execz .LBB124_26
.LBB124_59:                             ;   in Loop: Header=BB124_7 Depth=1
	ds_load_b64 v[45:46], v0 offset:288
	v_add_co_u32 v47, vcc_lo, 0x120, v43
	v_add_co_ci_u32_e32 v48, vcc_lo, 0, v44, vcc_lo
	v_add_co_u32 v49, vcc_lo, v41, v27
	v_add_co_ci_u32_e32 v50, vcc_lo, v42, v28, vcc_lo
	s_delay_alu instid0(VALU_DEP_2) | instskip(NEXT) | instid1(VALU_DEP_2)
	v_cndmask_b32_e64 v47, v49, v47, s1
	v_cndmask_b32_e64 v48, v50, v48, s1
	s_waitcnt lgkmcnt(0)
	global_store_b64 v[47:48], v[45:46], off
	s_or_b32 exec_lo, exec_lo, s9
	s_and_saveexec_b32 s9, s40
	s_cbranch_execz .LBB124_27
.LBB124_60:                             ;   in Loop: Header=BB124_7 Depth=1
	ds_load_b64 v[45:46], v0 offset:320
	v_add_co_u32 v47, vcc_lo, 0x140, v43
	v_add_co_ci_u32_e32 v48, vcc_lo, 0, v44, vcc_lo
	v_add_co_u32 v49, vcc_lo, v41, v29
	v_add_co_ci_u32_e32 v50, vcc_lo, v42, v30, vcc_lo
	s_delay_alu instid0(VALU_DEP_2) | instskip(NEXT) | instid1(VALU_DEP_2)
	v_cndmask_b32_e64 v47, v49, v47, s1
	v_cndmask_b32_e64 v48, v50, v48, s1
	s_waitcnt lgkmcnt(0)
	global_store_b64 v[47:48], v[45:46], off
	s_or_b32 exec_lo, exec_lo, s9
	s_and_saveexec_b32 s9, s41
	s_cbranch_execz .LBB124_28
.LBB124_61:                             ;   in Loop: Header=BB124_7 Depth=1
	ds_load_b64 v[45:46], v0 offset:352
	v_add_co_u32 v47, vcc_lo, 0x160, v43
	v_add_co_ci_u32_e32 v48, vcc_lo, 0, v44, vcc_lo
	v_add_co_u32 v49, vcc_lo, v41, v31
	v_add_co_ci_u32_e32 v50, vcc_lo, v42, v32, vcc_lo
	s_delay_alu instid0(VALU_DEP_2) | instskip(NEXT) | instid1(VALU_DEP_2)
	v_cndmask_b32_e64 v47, v49, v47, s1
	v_cndmask_b32_e64 v48, v50, v48, s1
	s_waitcnt lgkmcnt(0)
	global_store_b64 v[47:48], v[45:46], off
	s_or_b32 exec_lo, exec_lo, s9
	s_and_saveexec_b32 s9, s42
	s_cbranch_execz .LBB124_29
.LBB124_62:                             ;   in Loop: Header=BB124_7 Depth=1
	ds_load_b64 v[45:46], v0 offset:384
	v_add_co_u32 v47, vcc_lo, 0x180, v43
	v_add_co_ci_u32_e32 v48, vcc_lo, 0, v44, vcc_lo
	v_add_co_u32 v49, vcc_lo, v41, v33
	v_add_co_ci_u32_e32 v50, vcc_lo, v42, v34, vcc_lo
	s_delay_alu instid0(VALU_DEP_2) | instskip(NEXT) | instid1(VALU_DEP_2)
	v_cndmask_b32_e64 v47, v49, v47, s1
	v_cndmask_b32_e64 v48, v50, v48, s1
	s_waitcnt lgkmcnt(0)
	global_store_b64 v[47:48], v[45:46], off
	s_or_b32 exec_lo, exec_lo, s9
	s_and_saveexec_b32 s9, s43
	s_cbranch_execz .LBB124_30
.LBB124_63:                             ;   in Loop: Header=BB124_7 Depth=1
	ds_load_b64 v[45:46], v0 offset:416
	v_add_co_u32 v47, vcc_lo, 0x1a0, v43
	v_add_co_ci_u32_e32 v48, vcc_lo, 0, v44, vcc_lo
	v_add_co_u32 v49, vcc_lo, v41, v35
	v_add_co_ci_u32_e32 v50, vcc_lo, v42, v36, vcc_lo
	s_delay_alu instid0(VALU_DEP_2) | instskip(NEXT) | instid1(VALU_DEP_2)
	v_cndmask_b32_e64 v47, v49, v47, s1
	v_cndmask_b32_e64 v48, v50, v48, s1
	s_waitcnt lgkmcnt(0)
	global_store_b64 v[47:48], v[45:46], off
	s_or_b32 exec_lo, exec_lo, s9
	s_and_saveexec_b32 s9, s24
	s_cbranch_execz .LBB124_31
.LBB124_64:                             ;   in Loop: Header=BB124_7 Depth=1
	ds_load_b64 v[45:46], v0 offset:448
	v_add_co_u32 v47, vcc_lo, 0x1c0, v43
	v_add_co_ci_u32_e32 v48, vcc_lo, 0, v44, vcc_lo
	v_add_co_u32 v49, vcc_lo, v41, v37
	v_add_co_ci_u32_e32 v50, vcc_lo, v42, v38, vcc_lo
	s_delay_alu instid0(VALU_DEP_2) | instskip(NEXT) | instid1(VALU_DEP_2)
	v_cndmask_b32_e64 v47, v49, v47, s1
	v_cndmask_b32_e64 v48, v50, v48, s1
	s_waitcnt lgkmcnt(0)
	global_store_b64 v[47:48], v[45:46], off
	s_or_b32 exec_lo, exec_lo, s9
	s_and_saveexec_b32 s9, s25
	s_cbranch_execnz .LBB124_32
	s_branch .LBB124_33
.LBB124_65:
	s_endpgm
	.section	.rodata,"a",@progbits
	.p2align	6, 0x0
	.amdhsa_kernel _ZN9rocsparseL38csr2bsr_block_per_row_multipass_kernelILj256ELj64EdliEEv20rocsparse_direction_T3_S2_S2_S2_S2_21rocsparse_index_base_PKT1_PKT2_PKS2_S3_PS4_PS7_PS2_
		.amdhsa_group_segment_fixed_size 32776
		.amdhsa_private_segment_fixed_size 0
		.amdhsa_kernarg_size 88
		.amdhsa_user_sgpr_count 15
		.amdhsa_user_sgpr_dispatch_ptr 0
		.amdhsa_user_sgpr_queue_ptr 0
		.amdhsa_user_sgpr_kernarg_segment_ptr 1
		.amdhsa_user_sgpr_dispatch_id 0
		.amdhsa_user_sgpr_private_segment_size 0
		.amdhsa_wavefront_size32 1
		.amdhsa_uses_dynamic_stack 0
		.amdhsa_enable_private_segment 0
		.amdhsa_system_sgpr_workgroup_id_x 1
		.amdhsa_system_sgpr_workgroup_id_y 0
		.amdhsa_system_sgpr_workgroup_id_z 0
		.amdhsa_system_sgpr_workgroup_info 0
		.amdhsa_system_vgpr_workitem_id 0
		.amdhsa_next_free_vgpr 67
		.amdhsa_next_free_sgpr 48
		.amdhsa_reserve_vcc 1
		.amdhsa_float_round_mode_32 0
		.amdhsa_float_round_mode_16_64 0
		.amdhsa_float_denorm_mode_32 3
		.amdhsa_float_denorm_mode_16_64 3
		.amdhsa_dx10_clamp 1
		.amdhsa_ieee_mode 1
		.amdhsa_fp16_overflow 0
		.amdhsa_workgroup_processor_mode 1
		.amdhsa_memory_ordered 1
		.amdhsa_forward_progress 0
		.amdhsa_shared_vgpr_count 0
		.amdhsa_exception_fp_ieee_invalid_op 0
		.amdhsa_exception_fp_denorm_src 0
		.amdhsa_exception_fp_ieee_div_zero 0
		.amdhsa_exception_fp_ieee_overflow 0
		.amdhsa_exception_fp_ieee_underflow 0
		.amdhsa_exception_fp_ieee_inexact 0
		.amdhsa_exception_int_div_zero 0
	.end_amdhsa_kernel
	.section	.text._ZN9rocsparseL38csr2bsr_block_per_row_multipass_kernelILj256ELj64EdliEEv20rocsparse_direction_T3_S2_S2_S2_S2_21rocsparse_index_base_PKT1_PKT2_PKS2_S3_PS4_PS7_PS2_,"axG",@progbits,_ZN9rocsparseL38csr2bsr_block_per_row_multipass_kernelILj256ELj64EdliEEv20rocsparse_direction_T3_S2_S2_S2_S2_21rocsparse_index_base_PKT1_PKT2_PKS2_S3_PS4_PS7_PS2_,comdat
.Lfunc_end124:
	.size	_ZN9rocsparseL38csr2bsr_block_per_row_multipass_kernelILj256ELj64EdliEEv20rocsparse_direction_T3_S2_S2_S2_S2_21rocsparse_index_base_PKT1_PKT2_PKS2_S3_PS4_PS7_PS2_, .Lfunc_end124-_ZN9rocsparseL38csr2bsr_block_per_row_multipass_kernelILj256ELj64EdliEEv20rocsparse_direction_T3_S2_S2_S2_S2_21rocsparse_index_base_PKT1_PKT2_PKS2_S3_PS4_PS7_PS2_
                                        ; -- End function
	.section	.AMDGPU.csdata,"",@progbits
; Kernel info:
; codeLenInByte = 3928
; NumSgprs: 50
; NumVgprs: 67
; ScratchSize: 0
; MemoryBound: 0
; FloatMode: 240
; IeeeMode: 1
; LDSByteSize: 32776 bytes/workgroup (compile time only)
; SGPRBlocks: 6
; VGPRBlocks: 8
; NumSGPRsForWavesPerEU: 50
; NumVGPRsForWavesPerEU: 67
; Occupancy: 6
; WaveLimiterHint : 0
; COMPUTE_PGM_RSRC2:SCRATCH_EN: 0
; COMPUTE_PGM_RSRC2:USER_SGPR: 15
; COMPUTE_PGM_RSRC2:TRAP_HANDLER: 0
; COMPUTE_PGM_RSRC2:TGID_X_EN: 1
; COMPUTE_PGM_RSRC2:TGID_Y_EN: 0
; COMPUTE_PGM_RSRC2:TGID_Z_EN: 0
; COMPUTE_PGM_RSRC2:TIDIG_COMP_CNT: 0
	.section	.text._ZN9rocsparseL21csr2bsr_65_inf_kernelILj32EdliEEv20rocsparse_direction_T2_S2_S2_S2_S2_S2_21rocsparse_index_base_PKT0_PKT1_PKS2_S3_PS4_PS7_PS2_SD_SE_SC_,"axG",@progbits,_ZN9rocsparseL21csr2bsr_65_inf_kernelILj32EdliEEv20rocsparse_direction_T2_S2_S2_S2_S2_S2_21rocsparse_index_base_PKT0_PKT1_PKS2_S3_PS4_PS7_PS2_SD_SE_SC_,comdat
	.globl	_ZN9rocsparseL21csr2bsr_65_inf_kernelILj32EdliEEv20rocsparse_direction_T2_S2_S2_S2_S2_S2_21rocsparse_index_base_PKT0_PKT1_PKS2_S3_PS4_PS7_PS2_SD_SE_SC_ ; -- Begin function _ZN9rocsparseL21csr2bsr_65_inf_kernelILj32EdliEEv20rocsparse_direction_T2_S2_S2_S2_S2_S2_21rocsparse_index_base_PKT0_PKT1_PKS2_S3_PS4_PS7_PS2_SD_SE_SC_
	.p2align	8
	.type	_ZN9rocsparseL21csr2bsr_65_inf_kernelILj32EdliEEv20rocsparse_direction_T2_S2_S2_S2_S2_S2_21rocsparse_index_base_PKT0_PKT1_PKS2_S3_PS4_PS7_PS2_SD_SE_SC_,@function
_ZN9rocsparseL21csr2bsr_65_inf_kernelILj32EdliEEv20rocsparse_direction_T2_S2_S2_S2_S2_S2_21rocsparse_index_base_PKT0_PKT1_PKS2_S3_PS4_PS7_PS2_SD_SE_SC_: ; @_ZN9rocsparseL21csr2bsr_65_inf_kernelILj32EdliEEv20rocsparse_direction_T2_S2_S2_S2_S2_S2_21rocsparse_index_base_PKT0_PKT1_PKS2_S3_PS4_PS7_PS2_SD_SE_SC_
; %bb.0:
	s_clause 0x2
	s_load_b128 s[4:7], s[0:1], 0x0
	s_load_b64 s[2:3], s[0:1], 0x58
	s_load_b32 s26, s[0:1], 0x38
	s_mov_b32 s22, s15
	s_mov_b32 s25, 0
	s_waitcnt lgkmcnt(0)
	s_cmp_ge_i32 s15, s7
	s_mov_b32 s7, 0
	s_cbranch_scc1 .LBB125_2
; %bb.1:
	s_load_b64 s[8:9], s[0:1], 0x48
	s_ashr_i32 s23, s22, 31
	s_delay_alu instid0(SALU_CYCLE_1)
	s_lshl_b64 s[10:11], s[22:23], 3
	s_waitcnt lgkmcnt(0)
	s_add_u32 s8, s8, s10
	s_addc_u32 s9, s9, s11
	s_load_b32 s7, s[8:9], 0x0
	s_waitcnt lgkmcnt(0)
	s_sub_i32 s7, s7, s26
.LBB125_2:
	s_load_b128 s[8:11], s[0:1], 0x14
	s_waitcnt lgkmcnt(0)
	v_mul_lo_u32 v3, v0, s9
	s_mul_i32 s11, s22, s9
	s_delay_alu instid0(SALU_CYCLE_1) | instskip(NEXT) | instid1(SALU_CYCLE_1)
	s_lshl_b32 s24, s11, 6
	s_lshl_b64 s[12:13], s[24:25], 3
	s_delay_alu instid0(SALU_CYCLE_1) | instskip(NEXT) | instid1(VALU_DEP_1)
	s_add_u32 s27, s2, s12
	v_ashrrev_i32_e32 v4, 31, v3
	s_addc_u32 s28, s3, s13
	s_lshl_b32 s24, s9, 5
	s_cmp_gt_i32 s9, 0
	s_cselect_b32 s11, -1, 0
	v_lshlrev_b64 v[8:9], 3, v[3:4]
	s_cmp_lt_i32 s9, 1
	s_delay_alu instid0(VALU_DEP_1) | instskip(NEXT) | instid1(VALU_DEP_2)
	v_add_co_u32 v1, vcc_lo, s27, v8
	v_add_co_ci_u32_e32 v2, vcc_lo, s28, v9, vcc_lo
	s_cbranch_scc1 .LBB125_7
; %bb.3:
	s_load_b64 s[12:13], s[0:1], 0x28
	s_mov_b32 s2, 0
	s_delay_alu instid0(VALU_DEP_1)
	v_mov_b32_e32 v11, v2
	s_mov_b32 s3, s2
	v_dual_mov_b32 v7, v0 :: v_dual_mov_b32 v10, v1
	v_dual_mov_b32 v6, s3 :: v_dual_mov_b32 v5, s2
	s_mul_i32 s16, s22, s8
	s_lshl_b64 s[14:15], s[24:25], 3
	s_mov_b32 s17, s9
	s_set_inst_prefetch_distance 0x1
	s_branch .LBB125_5
	.p2align	6
.LBB125_4:                              ;   in Loop: Header=BB125_5 Depth=1
	s_or_b32 exec_lo, exec_lo, s2
	v_add_co_u32 v10, vcc_lo, v10, 8
	v_add_co_ci_u32_e32 v11, vcc_lo, 0, v11, vcc_lo
	v_add_nc_u32_e32 v7, 32, v7
	s_add_i32 s17, s17, -1
	s_delay_alu instid0(SALU_CYCLE_1)
	s_cmp_eq_u32 s17, 0
	s_cbranch_scc1 .LBB125_7
.LBB125_5:                              ; =>This Inner Loop Header: Depth=1
	s_delay_alu instid0(VALU_DEP_1) | instskip(SKIP_2) | instid1(VALU_DEP_1)
	v_add_nc_u32_e32 v14, s16, v7
	v_cmp_gt_u32_e32 vcc_lo, s8, v7
	v_add_co_u32 v12, s3, v10, s14
	v_add_co_ci_u32_e64 v13, s3, s15, v11, s3
	s_delay_alu instid0(VALU_DEP_4) | instskip(SKIP_4) | instid1(SALU_CYCLE_1)
	v_cmp_gt_i32_e64 s2, s5, v14
	s_clause 0x1
	global_store_b64 v[10:11], v[5:6], off
	global_store_b64 v[12:13], v[5:6], off
	s_and_b32 s3, vcc_lo, s2
	s_and_saveexec_b32 s2, s3
	s_cbranch_execz .LBB125_4
; %bb.6:                                ;   in Loop: Header=BB125_5 Depth=1
	v_ashrrev_i32_e32 v15, 31, v14
	s_delay_alu instid0(VALU_DEP_1) | instskip(SKIP_1) | instid1(VALU_DEP_1)
	v_lshlrev_b64 v[14:15], 3, v[14:15]
	s_waitcnt lgkmcnt(0)
	v_add_co_u32 v14, vcc_lo, s12, v14
	s_delay_alu instid0(VALU_DEP_2)
	v_add_co_ci_u32_e32 v15, vcc_lo, s13, v15, vcc_lo
	global_load_b128 v[14:17], v[14:15], off
	s_waitcnt vmcnt(0)
	v_sub_co_u32 v14, vcc_lo, v14, s10
	v_subrev_co_ci_u32_e32 v15, vcc_lo, 0, v15, vcc_lo
	v_sub_co_u32 v16, vcc_lo, v16, s10
	v_subrev_co_ci_u32_e32 v17, vcc_lo, 0, v17, vcc_lo
	s_clause 0x1
	global_store_b64 v[10:11], v[14:15], off
	global_store_b64 v[12:13], v[16:17], off
	s_branch .LBB125_4
.LBB125_7:
	s_set_inst_prefetch_distance 0x2
	s_cmp_lt_i32 s6, 1
	s_cbranch_scc1 .LBB125_37
; %bb.8:
	s_waitcnt lgkmcnt(0)
	s_clause 0x4
	s_load_b128 s[12:15], s[0:1], 0x60
	s_load_b64 s[2:3], s[0:1], 0x20
	s_load_b64 s[16:17], s[0:1], 0x50
	;; [unrolled: 1-line block ×4, first 2 shown]
	s_lshl_b64 s[30:31], s[24:25], 3
	s_mul_i32 s22, s24, s22
	s_mov_b32 s23, 0
	s_add_u32 s1, s27, s30
	s_addc_u32 s27, s28, s31
	s_lshl_b64 s[24:25], s[22:23], 2
	v_lshlrev_b64 v[6:7], 2, v[3:4]
	v_mbcnt_lo_u32_b32 v4, -1, 0
	v_add_co_u32 v26, vcc_lo, s1, v8
	v_add_co_ci_u32_e32 v27, vcc_lo, s27, v9, vcc_lo
	s_delay_alu instid0(VALU_DEP_3)
	v_xor_b32_e32 v11, 16, v4
	v_xor_b32_e32 v12, 8, v4
	;; [unrolled: 1-line block ×3, first 2 shown]
	s_waitcnt lgkmcnt(0)
	s_add_u32 s24, s12, s24
	s_addc_u32 s25, s13, s25
	s_lshl_b64 s[12:13], s[22:23], 3
	v_cmp_gt_i32_e32 vcc_lo, 32, v11
	s_add_u32 s14, s14, s12
	s_addc_u32 s15, s15, s13
	s_cmp_lg_u32 s4, 0
	v_xor_b32_e32 v14, 2, v4
	s_cselect_b32 s12, -1, 0
	s_abs_i32 s13, s8
	v_xor_b32_e32 v15, 1, v4
	v_cvt_f32_u32_e32 v10, s13
	s_sub_i32 s1, 0, s13
	v_mul_lo_u32 v25, v0, s8
	v_cmp_eq_u32_e64 s0, 31, v0
	v_dual_mov_b32 v24, 0x7c :: v_dual_mov_b32 v3, 0
	v_rcp_iflag_f32_e32 v10, v10
	v_dual_mov_b32 v5, 0 :: v_dual_mov_b32 v36, 0
	s_mul_hi_i32 s5, s8, s8
	s_mul_i32 s4, s8, s8
	v_cndmask_b32_e32 v11, v4, v11, vcc_lo
	v_cmp_gt_i32_e32 vcc_lo, 32, v12
	v_dual_mov_b32 v35, 0 :: v_dual_mov_b32 v34, 0
	s_waitcnt_depctr 0xfff
	v_mul_f32_e32 v10, 0x4f7ffffe, v10
	v_cndmask_b32_e32 v12, v4, v12, vcc_lo
	v_cmp_gt_i32_e32 vcc_lo, 32, v13
	v_lshlrev_b32_e32 v28, 2, v11
	s_delay_alu instid0(VALU_DEP_4) | instskip(SKIP_2) | instid1(VALU_DEP_3)
	v_cvt_u32_f32_e32 v10, v10
	v_cndmask_b32_e32 v13, v4, v13, vcc_lo
	v_cmp_gt_i32_e32 vcc_lo, 32, v14
	v_mul_lo_u32 v16, s1, v10
	s_delay_alu instid0(VALU_DEP_3) | instskip(SKIP_2) | instid1(VALU_DEP_2)
	v_lshlrev_b32_e32 v30, 2, v13
	v_cndmask_b32_e32 v14, v4, v14, vcc_lo
	v_cmp_gt_i32_e32 vcc_lo, 32, v15
	v_lshlrev_b32_e32 v31, 2, v14
	v_dual_cndmask_b32 v4, v4, v15 :: v_dual_lshlrev_b32 v29, 2, v12
	v_add_co_u32 v6, vcc_lo, s24, v6
	v_add_co_ci_u32_e32 v7, vcc_lo, s25, v7, vcc_lo
	s_delay_alu instid0(VALU_DEP_3)
	v_lshlrev_b32_e32 v32, 2, v4
	v_mul_hi_u32 v4, v10, v16
	v_add_co_u32 v8, vcc_lo, s14, v8
	v_add_co_ci_u32_e32 v9, vcc_lo, s15, v9, vcc_lo
	s_add_i32 s14, s7, -1
	s_ashr_i32 s15, s8, 31
	s_lshl_b32 s24, s8, 5
	s_delay_alu instid0(VALU_DEP_3)
	v_add_nc_u32_e32 v33, v10, v4
	s_mov_b32 s25, 0
	s_branch .LBB125_10
.LBB125_9:                              ;   in Loop: Header=BB125_10 Depth=1
	s_waitcnt lgkmcnt(1)
	v_add_nc_u32_e32 v36, 1, v22
	s_delay_alu instid0(VALU_DEP_1) | instskip(SKIP_1) | instid1(SALU_CYCLE_1)
	v_cmp_le_i32_e32 vcc_lo, s6, v36
	s_or_b32 s25, vcc_lo, s25
	s_and_not1_b32 exec_lo, exec_lo, s25
	s_cbranch_execz .LBB125_37
.LBB125_10:                             ; =>This Loop Header: Depth=1
                                        ;     Child Loop BB125_14 Depth 2
                                        ;       Child Loop BB125_17 Depth 3
                                        ;     Child Loop BB125_31 Depth 2
	v_mov_b32_e32 v37, s6
	s_and_not1_b32 vcc_lo, exec_lo, s11
	s_cbranch_vccnz .LBB125_23
; %bb.11:                               ;   in Loop: Header=BB125_10 Depth=1
	v_mov_b32_e32 v37, s6
	s_mov_b32 s22, 0
	s_branch .LBB125_14
.LBB125_12:                             ;   in Loop: Header=BB125_14 Depth=2
	s_or_b32 exec_lo, exec_lo, s1
.LBB125_13:                             ;   in Loop: Header=BB125_14 Depth=2
	s_delay_alu instid0(SALU_CYCLE_1) | instskip(SKIP_1) | instid1(SALU_CYCLE_1)
	s_or_b32 exec_lo, exec_lo, s27
	s_add_i32 s22, s22, 1
	s_cmp_eq_u32 s22, s9
	s_cbranch_scc1 .LBB125_23
.LBB125_14:                             ;   Parent Loop BB125_10 Depth=1
                                        ; =>  This Loop Header: Depth=2
                                        ;       Child Loop BB125_17 Depth 3
	s_lshl_b64 s[28:29], s[22:23], 3
	v_mov_b32_e32 v4, v3
	v_add_co_u32 v10, vcc_lo, v1, s28
	v_add_co_ci_u32_e32 v11, vcc_lo, s29, v2, vcc_lo
	v_add_co_u32 v12, vcc_lo, v26, s28
	v_add_co_ci_u32_e32 v13, vcc_lo, s29, v27, vcc_lo
	v_mov_b32_e32 v16, s6
	s_clause 0x1
	global_load_b64 v[20:21], v[10:11], off
	global_load_b64 v[18:19], v[12:13], off
	v_add_co_u32 v12, vcc_lo, v8, s28
	v_add_co_ci_u32_e32 v13, vcc_lo, s29, v9, vcc_lo
	s_lshl_b64 s[28:29], s[22:23], 2
	s_mov_b32 s27, exec_lo
	v_add_co_u32 v14, vcc_lo, v6, s28
	v_add_co_ci_u32_e32 v15, vcc_lo, s29, v7, vcc_lo
	global_store_b64 v[12:13], v[3:4], off
	global_store_b32 v[14:15], v16, off
	s_waitcnt vmcnt(0)
	v_cmpx_lt_i64_e64 v[20:21], v[18:19]
	s_cbranch_execz .LBB125_13
; %bb.15:                               ;   in Loop: Header=BB125_14 Depth=2
	v_lshlrev_b64 v[16:17], 2, v[20:21]
	s_mov_b32 s28, 0
                                        ; implicit-def: $sgpr29
                                        ; implicit-def: $sgpr31
                                        ; implicit-def: $sgpr30
	s_delay_alu instid0(VALU_DEP_1) | instskip(NEXT) | instid1(VALU_DEP_2)
	v_add_co_u32 v22, vcc_lo, s20, v16
	v_add_co_ci_u32_e32 v23, vcc_lo, s21, v17, vcc_lo
	s_set_inst_prefetch_distance 0x1
	s_branch .LBB125_17
	.p2align	6
.LBB125_16:                             ;   in Loop: Header=BB125_17 Depth=3
	s_or_b32 exec_lo, exec_lo, s33
	s_delay_alu instid0(SALU_CYCLE_1) | instskip(NEXT) | instid1(SALU_CYCLE_1)
	s_and_b32 s1, exec_lo, s31
	s_or_b32 s28, s1, s28
	s_and_not1_b32 s1, s29, exec_lo
	s_and_b32 s29, s30, exec_lo
	s_delay_alu instid0(SALU_CYCLE_1)
	s_or_b32 s29, s1, s29
	s_and_not1_b32 exec_lo, exec_lo, s28
	s_cbranch_execz .LBB125_19
.LBB125_17:                             ;   Parent Loop BB125_10 Depth=1
                                        ;     Parent Loop BB125_14 Depth=2
                                        ; =>    This Inner Loop Header: Depth=3
	global_load_b32 v4, v[22:23], off
	v_dual_mov_b32 v16, v20 :: v_dual_mov_b32 v17, v21
	s_or_b32 s30, s30, exec_lo
	s_or_b32 s31, s31, exec_lo
	s_mov_b32 s33, exec_lo
                                        ; implicit-def: $vgpr20_vgpr21
	s_waitcnt vmcnt(0)
	v_subrev_nc_u32_e32 v4, s10, v4
	s_delay_alu instid0(VALU_DEP_1)
	v_cmpx_lt_i32_e64 v4, v36
	s_cbranch_execz .LBB125_16
; %bb.18:                               ;   in Loop: Header=BB125_17 Depth=3
	v_add_co_u32 v20, vcc_lo, v16, 1
	v_add_co_ci_u32_e32 v21, vcc_lo, 0, v17, vcc_lo
	v_add_co_u32 v22, s1, v22, 4
	s_delay_alu instid0(VALU_DEP_1) | instskip(NEXT) | instid1(VALU_DEP_3)
	v_add_co_ci_u32_e64 v23, s1, 0, v23, s1
	v_cmp_ge_i64_e32 vcc_lo, v[20:21], v[18:19]
	s_and_not1_b32 s1, s31, exec_lo
	s_and_not1_b32 s30, s30, exec_lo
	s_and_b32 s31, vcc_lo, exec_lo
	s_delay_alu instid0(SALU_CYCLE_1)
	s_or_b32 s31, s1, s31
	s_branch .LBB125_16
.LBB125_19:                             ;   in Loop: Header=BB125_14 Depth=2
	s_set_inst_prefetch_distance 0x2
	s_or_b32 exec_lo, exec_lo, s28
	v_lshlrev_b64 v[18:19], 3, v[16:17]
	s_xor_b32 s1, s29, -1
	s_delay_alu instid0(SALU_CYCLE_1) | instskip(NEXT) | instid1(SALU_CYCLE_1)
	s_and_saveexec_b32 s28, s1
	s_xor_b32 s1, exec_lo, s28
	s_cbranch_execz .LBB125_21
; %bb.20:                               ;   in Loop: Header=BB125_14 Depth=2
	s_delay_alu instid0(VALU_DEP_1)
	v_add_co_u32 v10, vcc_lo, s2, v18
	v_add_co_ci_u32_e32 v11, vcc_lo, s3, v19, vcc_lo
                                        ; implicit-def: $vgpr18_vgpr19
	global_load_b64 v[10:11], v[10:11], off
	s_waitcnt vmcnt(0)
	global_store_b64 v[12:13], v[10:11], off
	global_store_b32 v[14:15], v4, off
                                        ; implicit-def: $vgpr12_vgpr13
                                        ; implicit-def: $vgpr14_vgpr15
                                        ; implicit-def: $vgpr10_vgpr11
.LBB125_21:                             ;   in Loop: Header=BB125_14 Depth=2
	s_and_not1_saveexec_b32 s1, s1
	s_cbranch_execz .LBB125_12
; %bb.22:                               ;   in Loop: Header=BB125_14 Depth=2
	v_add_co_u32 v18, vcc_lo, s2, v18
	v_add_co_ci_u32_e32 v19, vcc_lo, s3, v19, vcc_lo
	v_min_i32_e32 v37, v4, v37
	global_load_b64 v[18:19], v[18:19], off
	global_store_b32 v[14:15], v4, off
	s_waitcnt vmcnt(0)
	global_store_b64 v[12:13], v[18:19], off
	global_store_b64 v[10:11], v[16:17], off
	s_branch .LBB125_12
.LBB125_23:                             ;   in Loop: Header=BB125_10 Depth=1
	ds_bpermute_b32 v4, v28, v37
	s_waitcnt lgkmcnt(0)
	v_min_i32_e32 v4, v4, v37
	ds_bpermute_b32 v10, v29, v4
	s_waitcnt lgkmcnt(0)
	v_min_i32_e32 v4, v10, v4
	;; [unrolled: 3-line block ×5, first 2 shown]
	s_delay_alu instid0(VALU_DEP_1) | instskip(SKIP_1) | instid1(SALU_CYCLE_1)
	v_cmp_gt_i32_e32 vcc_lo, s6, v4
	s_and_b32 s22, s0, vcc_lo
	s_and_saveexec_b32 s1, s22
	s_cbranch_execz .LBB125_27
; %bb.24:                               ;   in Loop: Header=BB125_10 Depth=1
	v_sub_nc_u32_e32 v10, 0, v4
	s_mov_b32 s22, exec_lo
	s_delay_alu instid0(VALU_DEP_1) | instskip(NEXT) | instid1(VALU_DEP_1)
	v_max_i32_e32 v10, v4, v10
	v_mul_hi_u32 v11, v10, v33
	s_delay_alu instid0(VALU_DEP_1) | instskip(NEXT) | instid1(VALU_DEP_1)
	v_mul_lo_u32 v12, v11, s13
	v_sub_nc_u32_e32 v10, v10, v12
	v_add_nc_u32_e32 v12, 1, v11
	s_delay_alu instid0(VALU_DEP_2) | instskip(SKIP_1) | instid1(VALU_DEP_2)
	v_subrev_nc_u32_e32 v13, s13, v10
	v_cmp_le_u32_e32 vcc_lo, s13, v10
	v_dual_cndmask_b32 v11, v11, v12 :: v_dual_cndmask_b32 v10, v10, v13
	v_ashrrev_i32_e32 v12, 31, v4
	s_delay_alu instid0(VALU_DEP_2) | instskip(NEXT) | instid1(VALU_DEP_3)
	v_add_nc_u32_e32 v13, 1, v11
	v_cmp_le_u32_e32 vcc_lo, s13, v10
	s_delay_alu instid0(VALU_DEP_3) | instskip(NEXT) | instid1(VALU_DEP_3)
	v_xor_b32_e32 v12, s15, v12
	v_cndmask_b32_e32 v10, v11, v13, vcc_lo
	s_delay_alu instid0(VALU_DEP_1) | instskip(NEXT) | instid1(VALU_DEP_1)
	v_xor_b32_e32 v10, v10, v12
	v_sub_nc_u32_e32 v10, v10, v12
	s_delay_alu instid0(VALU_DEP_1)
	v_cmpx_ge_i32_e64 v10, v34
	s_cbranch_execz .LBB125_26
; %bb.25:                               ;   in Loop: Header=BB125_10 Depth=1
	v_add_nc_u32_e32 v11, s7, v35
	v_add_nc_u32_e32 v34, 1, v10
	;; [unrolled: 1-line block ×4, first 2 shown]
	s_delay_alu instid0(VALU_DEP_4) | instskip(NEXT) | instid1(VALU_DEP_1)
	v_ashrrev_i32_e32 v12, 31, v11
	v_lshlrev_b64 v[11:12], 2, v[11:12]
	s_delay_alu instid0(VALU_DEP_1) | instskip(NEXT) | instid1(VALU_DEP_2)
	v_add_co_u32 v11, vcc_lo, s16, v11
	v_add_co_ci_u32_e32 v12, vcc_lo, s17, v12, vcc_lo
	global_store_b32 v[11:12], v10, off
.LBB125_26:                             ;   in Loop: Header=BB125_10 Depth=1
	s_or_b32 exec_lo, exec_lo, s22
.LBB125_27:                             ;   in Loop: Header=BB125_10 Depth=1
	s_delay_alu instid0(SALU_CYCLE_1)
	s_or_b32 exec_lo, exec_lo, s1
	ds_bpermute_b32 v22, v24, v4
	ds_bpermute_b32 v35, v24, v35
	s_and_not1_b32 vcc_lo, exec_lo, s11
	s_cbranch_vccnz .LBB125_9
; %bb.28:                               ;   in Loop: Header=BB125_10 Depth=1
	s_waitcnt lgkmcnt(1)
	v_sub_nc_u32_e32 v4, 0, v22
	s_mov_b32 s1, s9
	s_delay_alu instid0(VALU_DEP_1) | instskip(NEXT) | instid1(VALU_DEP_1)
	v_max_i32_e32 v4, v22, v4
	v_mul_hi_u32 v12, v4, v33
	s_delay_alu instid0(VALU_DEP_1) | instskip(SKIP_1) | instid1(VALU_DEP_2)
	v_mul_lo_u32 v10, v12, s13
	v_add_nc_u32_e32 v16, 1, v12
	v_sub_nc_u32_e32 v4, v4, v10
	s_delay_alu instid0(VALU_DEP_1) | instskip(SKIP_1) | instid1(VALU_DEP_3)
	v_cmp_le_u32_e32 vcc_lo, s13, v4
	s_waitcnt lgkmcnt(0)
	v_dual_cndmask_b32 v12, v12, v16 :: v_dual_add_nc_u32 v13, s14, v35
	s_delay_alu instid0(VALU_DEP_1) | instskip(SKIP_3) | instid1(VALU_DEP_4)
	v_ashrrev_i32_e32 v14, 31, v13
	v_mul_lo_u32 v15, s5, v13
	v_mad_u64_u32 v[10:11], null, s4, v13, 0
	v_ashrrev_i32_e32 v16, 31, v22
	v_mul_lo_u32 v13, s4, v14
	v_subrev_nc_u32_e32 v14, s13, v4
	s_delay_alu instid0(VALU_DEP_3) | instskip(NEXT) | instid1(VALU_DEP_2)
	v_xor_b32_e32 v17, s15, v16
	v_cndmask_b32_e32 v4, v4, v14, vcc_lo
	v_add_nc_u32_e32 v14, 1, v12
	v_add3_u32 v11, v11, v13, v15
	s_delay_alu instid0(VALU_DEP_3) | instskip(NEXT) | instid1(VALU_DEP_2)
	v_cmp_le_u32_e32 vcc_lo, s13, v4
	v_lshlrev_b64 v[15:16], 3, v[10:11]
	v_dual_mov_b32 v11, v9 :: v_dual_mov_b32 v10, v8
	v_dual_cndmask_b32 v4, v12, v14 :: v_dual_mov_b32 v13, v7
	v_mov_b32_e32 v12, v6
	s_delay_alu instid0(VALU_DEP_4) | instskip(NEXT) | instid1(VALU_DEP_3)
	v_add_co_u32 v23, vcc_lo, s18, v15
	v_xor_b32_e32 v4, v4, v17
	v_mov_b32_e32 v14, v0
	v_add_co_ci_u32_e32 v36, vcc_lo, s19, v16, vcc_lo
	s_delay_alu instid0(VALU_DEP_3)
	v_sub_nc_u32_e32 v37, v4, v17
	v_mov_b32_e32 v4, v25
	s_branch .LBB125_31
.LBB125_29:                             ;   in Loop: Header=BB125_31 Depth=2
	s_delay_alu instid0(VALU_DEP_1) | instskip(NEXT) | instid1(VALU_DEP_2)
	v_lshlrev_b64 v[18:19], 3, v[18:19]
	v_lshlrev_b64 v[20:21], 3, v[20:21]
	s_delay_alu instid0(VALU_DEP_2) | instskip(NEXT) | instid1(VALU_DEP_3)
	v_add_co_u32 v15, vcc_lo, v23, v18
	v_add_co_ci_u32_e32 v19, vcc_lo, v36, v19, vcc_lo
	s_delay_alu instid0(VALU_DEP_2) | instskip(NEXT) | instid1(VALU_DEP_2)
	v_add_co_u32 v18, vcc_lo, v15, v20
	v_add_co_ci_u32_e32 v19, vcc_lo, v19, v21, vcc_lo
	s_waitcnt vmcnt(0)
	global_store_b64 v[18:19], v[16:17], off
.LBB125_30:                             ;   in Loop: Header=BB125_31 Depth=2
	s_or_b32 exec_lo, exec_lo, s22
	v_add_co_u32 v12, vcc_lo, v12, 4
	v_add_co_ci_u32_e32 v13, vcc_lo, 0, v13, vcc_lo
	v_add_co_u32 v10, vcc_lo, v10, 8
	v_add_nc_u32_e32 v4, s24, v4
	v_add_nc_u32_e32 v14, 32, v14
	v_add_co_ci_u32_e32 v11, vcc_lo, 0, v11, vcc_lo
	s_add_i32 s1, s1, -1
	s_delay_alu instid0(SALU_CYCLE_1)
	s_cmp_eq_u32 s1, 0
	s_cbranch_scc1 .LBB125_9
.LBB125_31:                             ;   Parent Loop BB125_10 Depth=1
                                        ; =>  This Inner Loop Header: Depth=2
	global_load_b32 v15, v[12:13], off
	s_mov_b32 s22, exec_lo
	s_waitcnt vmcnt(0)
	v_cmpx_gt_i32_e64 s6, v15
	s_cbranch_execz .LBB125_30
; %bb.32:                               ;   in Loop: Header=BB125_31 Depth=2
	v_sub_nc_u32_e32 v16, 0, v15
	v_ashrrev_i32_e32 v39, 31, v15
	s_delay_alu instid0(VALU_DEP_2) | instskip(NEXT) | instid1(VALU_DEP_2)
	v_max_i32_e32 v16, v15, v16
	v_xor_b32_e32 v19, s15, v39
	s_delay_alu instid0(VALU_DEP_2) | instskip(NEXT) | instid1(VALU_DEP_1)
	v_mul_hi_u32 v17, v16, v33
	v_mul_lo_u32 v18, v17, s13
	s_delay_alu instid0(VALU_DEP_1) | instskip(NEXT) | instid1(VALU_DEP_1)
	v_sub_nc_u32_e32 v38, v16, v18
	v_subrev_nc_u32_e32 v40, s13, v38
	v_cmp_le_u32_e32 vcc_lo, s13, v38
	v_add_nc_u32_e32 v16, 1, v17
	s_delay_alu instid0(VALU_DEP_1) | instskip(NEXT) | instid1(VALU_DEP_4)
	v_cndmask_b32_e32 v16, v17, v16, vcc_lo
	v_cndmask_b32_e32 v17, v38, v40, vcc_lo
	s_delay_alu instid0(VALU_DEP_2) | instskip(NEXT) | instid1(VALU_DEP_2)
	v_add_nc_u32_e32 v18, 1, v16
	v_cmp_le_u32_e32 vcc_lo, s13, v17
	s_delay_alu instid0(VALU_DEP_2) | instskip(NEXT) | instid1(VALU_DEP_1)
	v_cndmask_b32_e32 v16, v16, v18, vcc_lo
	v_xor_b32_e32 v16, v16, v19
	s_delay_alu instid0(VALU_DEP_1) | instskip(NEXT) | instid1(VALU_DEP_1)
	v_sub_nc_u32_e32 v16, v16, v19
	v_cmp_eq_u32_e32 vcc_lo, v16, v37
	s_and_b32 exec_lo, exec_lo, vcc_lo
	s_cbranch_execz .LBB125_30
; %bb.33:                               ;   in Loop: Header=BB125_31 Depth=2
	global_load_b64 v[16:17], v[10:11], off
	s_and_b32 vcc_lo, exec_lo, s12
	s_cbranch_vccz .LBB125_35
; %bb.34:                               ;   in Loop: Header=BB125_31 Depth=2
	v_mul_lo_u32 v18, v37, s8
	s_delay_alu instid0(VALU_DEP_1) | instskip(NEXT) | instid1(VALU_DEP_1)
	v_sub_nc_u32_e32 v15, v15, v18
	v_mul_lo_u32 v18, v15, s8
	v_mov_b32_e32 v15, v3
	s_delay_alu instid0(VALU_DEP_1) | instskip(NEXT) | instid1(VALU_DEP_3)
	v_dual_mov_b32 v21, v15 :: v_dual_mov_b32 v20, v14
	v_ashrrev_i32_e32 v19, 31, v18
	s_cbranch_execnz .LBB125_29
	s_branch .LBB125_36
.LBB125_35:                             ;   in Loop: Header=BB125_31 Depth=2
                                        ; implicit-def: $vgpr20_vgpr21
                                        ; implicit-def: $vgpr18_vgpr19
.LBB125_36:                             ;   in Loop: Header=BB125_31 Depth=2
	v_cmp_le_u32_e32 vcc_lo, s13, v38
	v_cndmask_b32_e32 v15, v38, v40, vcc_lo
	s_delay_alu instid0(VALU_DEP_1) | instskip(SKIP_1) | instid1(VALU_DEP_2)
	v_subrev_nc_u32_e32 v18, s13, v15
	v_cmp_le_u32_e32 vcc_lo, s13, v15
	v_cndmask_b32_e32 v15, v15, v18, vcc_lo
	v_dual_mov_b32 v19, v5 :: v_dual_mov_b32 v18, v4
	s_delay_alu instid0(VALU_DEP_2) | instskip(NEXT) | instid1(VALU_DEP_1)
	v_xor_b32_e32 v15, v15, v39
	v_sub_nc_u32_e32 v20, v15, v39
	s_delay_alu instid0(VALU_DEP_1)
	v_ashrrev_i32_e32 v21, 31, v20
	s_branch .LBB125_29
.LBB125_37:
	s_nop 0
	s_sendmsg sendmsg(MSG_DEALLOC_VGPRS)
	s_endpgm
	.section	.rodata,"a",@progbits
	.p2align	6, 0x0
	.amdhsa_kernel _ZN9rocsparseL21csr2bsr_65_inf_kernelILj32EdliEEv20rocsparse_direction_T2_S2_S2_S2_S2_S2_21rocsparse_index_base_PKT0_PKT1_PKS2_S3_PS4_PS7_PS2_SD_SE_SC_
		.amdhsa_group_segment_fixed_size 0
		.amdhsa_private_segment_fixed_size 0
		.amdhsa_kernarg_size 112
		.amdhsa_user_sgpr_count 15
		.amdhsa_user_sgpr_dispatch_ptr 0
		.amdhsa_user_sgpr_queue_ptr 0
		.amdhsa_user_sgpr_kernarg_segment_ptr 1
		.amdhsa_user_sgpr_dispatch_id 0
		.amdhsa_user_sgpr_private_segment_size 0
		.amdhsa_wavefront_size32 1
		.amdhsa_uses_dynamic_stack 0
		.amdhsa_enable_private_segment 0
		.amdhsa_system_sgpr_workgroup_id_x 1
		.amdhsa_system_sgpr_workgroup_id_y 0
		.amdhsa_system_sgpr_workgroup_id_z 0
		.amdhsa_system_sgpr_workgroup_info 0
		.amdhsa_system_vgpr_workitem_id 0
		.amdhsa_next_free_vgpr 41
		.amdhsa_next_free_sgpr 34
		.amdhsa_reserve_vcc 1
		.amdhsa_float_round_mode_32 0
		.amdhsa_float_round_mode_16_64 0
		.amdhsa_float_denorm_mode_32 3
		.amdhsa_float_denorm_mode_16_64 3
		.amdhsa_dx10_clamp 1
		.amdhsa_ieee_mode 1
		.amdhsa_fp16_overflow 0
		.amdhsa_workgroup_processor_mode 1
		.amdhsa_memory_ordered 1
		.amdhsa_forward_progress 0
		.amdhsa_shared_vgpr_count 0
		.amdhsa_exception_fp_ieee_invalid_op 0
		.amdhsa_exception_fp_denorm_src 0
		.amdhsa_exception_fp_ieee_div_zero 0
		.amdhsa_exception_fp_ieee_overflow 0
		.amdhsa_exception_fp_ieee_underflow 0
		.amdhsa_exception_fp_ieee_inexact 0
		.amdhsa_exception_int_div_zero 0
	.end_amdhsa_kernel
	.section	.text._ZN9rocsparseL21csr2bsr_65_inf_kernelILj32EdliEEv20rocsparse_direction_T2_S2_S2_S2_S2_S2_21rocsparse_index_base_PKT0_PKT1_PKS2_S3_PS4_PS7_PS2_SD_SE_SC_,"axG",@progbits,_ZN9rocsparseL21csr2bsr_65_inf_kernelILj32EdliEEv20rocsparse_direction_T2_S2_S2_S2_S2_S2_21rocsparse_index_base_PKT0_PKT1_PKS2_S3_PS4_PS7_PS2_SD_SE_SC_,comdat
.Lfunc_end125:
	.size	_ZN9rocsparseL21csr2bsr_65_inf_kernelILj32EdliEEv20rocsparse_direction_T2_S2_S2_S2_S2_S2_21rocsparse_index_base_PKT0_PKT1_PKS2_S3_PS4_PS7_PS2_SD_SE_SC_, .Lfunc_end125-_ZN9rocsparseL21csr2bsr_65_inf_kernelILj32EdliEEv20rocsparse_direction_T2_S2_S2_S2_S2_S2_21rocsparse_index_base_PKT0_PKT1_PKS2_S3_PS4_PS7_PS2_SD_SE_SC_
                                        ; -- End function
	.section	.AMDGPU.csdata,"",@progbits
; Kernel info:
; codeLenInByte = 2296
; NumSgprs: 36
; NumVgprs: 41
; ScratchSize: 0
; MemoryBound: 0
; FloatMode: 240
; IeeeMode: 1
; LDSByteSize: 0 bytes/workgroup (compile time only)
; SGPRBlocks: 4
; VGPRBlocks: 5
; NumSGPRsForWavesPerEU: 36
; NumVGPRsForWavesPerEU: 41
; Occupancy: 16
; WaveLimiterHint : 0
; COMPUTE_PGM_RSRC2:SCRATCH_EN: 0
; COMPUTE_PGM_RSRC2:USER_SGPR: 15
; COMPUTE_PGM_RSRC2:TRAP_HANDLER: 0
; COMPUTE_PGM_RSRC2:TGID_X_EN: 1
; COMPUTE_PGM_RSRC2:TGID_Y_EN: 0
; COMPUTE_PGM_RSRC2:TGID_Z_EN: 0
; COMPUTE_PGM_RSRC2:TIDIG_COMP_CNT: 0
	.section	.text._ZN9rocsparseL35csr2bsr_block_dim_equals_one_kernelILj256EdilEEvT2_S1_S1_S1_21rocsparse_index_base_PKT0_PKT1_PKS1_S2_PS3_PS6_PS1_,"axG",@progbits,_ZN9rocsparseL35csr2bsr_block_dim_equals_one_kernelILj256EdilEEvT2_S1_S1_S1_21rocsparse_index_base_PKT0_PKT1_PKS1_S2_PS3_PS6_PS1_,comdat
	.globl	_ZN9rocsparseL35csr2bsr_block_dim_equals_one_kernelILj256EdilEEvT2_S1_S1_S1_21rocsparse_index_base_PKT0_PKT1_PKS1_S2_PS3_PS6_PS1_ ; -- Begin function _ZN9rocsparseL35csr2bsr_block_dim_equals_one_kernelILj256EdilEEvT2_S1_S1_S1_21rocsparse_index_base_PKT0_PKT1_PKS1_S2_PS3_PS6_PS1_
	.p2align	8
	.type	_ZN9rocsparseL35csr2bsr_block_dim_equals_one_kernelILj256EdilEEvT2_S1_S1_S1_21rocsparse_index_base_PKT0_PKT1_PKS1_S2_PS3_PS6_PS1_,@function
_ZN9rocsparseL35csr2bsr_block_dim_equals_one_kernelILj256EdilEEvT2_S1_S1_S1_21rocsparse_index_base_PKT0_PKT1_PKS1_S2_PS3_PS6_PS1_: ; @_ZN9rocsparseL35csr2bsr_block_dim_equals_one_kernelILj256EdilEEvT2_S1_S1_S1_21rocsparse_index_base_PKT0_PKT1_PKS1_S2_PS3_PS6_PS1_
; %bb.0:
	s_clause 0x1
	s_load_b64 s[2:3], s[0:1], 0x0
	s_load_b128 s[4:7], s[0:1], 0x28
	v_lshl_or_b32 v0, s15, 8, v0
	s_waitcnt lgkmcnt(0)
	s_lshl_b64 s[2:3], s[2:3], 2
	s_delay_alu instid0(SALU_CYCLE_1)
	s_add_u32 s2, s6, s2
	s_addc_u32 s3, s7, s3
	s_clause 0x1
	s_load_b32 s2, s[2:3], 0x0
	s_load_b32 s3, s[6:7], 0x0
	s_waitcnt lgkmcnt(0)
	s_sub_i32 s10, s2, s3
	s_mov_b32 s2, exec_lo
	v_cmpx_gt_i32_e64 s10, v0
	s_cbranch_execz .LBB126_3
; %bb.1:
	s_clause 0x5
	s_load_b32 s11, s[0:1], 0x40
	s_load_b64 s[2:3], s[0:1], 0x48
	s_load_b32 s12, s[0:1], 0x20
	s_load_b32 s13, s[0:1], 0x60
	s_load_b64 s[6:7], s[0:1], 0x38
	s_load_b64 s[8:9], s[0:1], 0x58
	s_mov_b32 s1, 0
	s_waitcnt lgkmcnt(0)
	s_sub_u32 s11, s11, s12
	s_subb_u32 s12, 0, 0
	s_lshl_b32 s13, s13, 8
	s_set_inst_prefetch_distance 0x1
	.p2align	6
.LBB126_2:                              ; =>This Inner Loop Header: Depth=1
	v_ashrrev_i32_e32 v1, 31, v0
	s_delay_alu instid0(VALU_DEP_1) | instskip(SKIP_1) | instid1(VALU_DEP_2)
	v_lshlrev_b64 v[1:2], 3, v[0:1]
	v_add_nc_u32_e32 v0, s13, v0
	v_add_co_u32 v3, vcc_lo, s6, v1
	s_delay_alu instid0(VALU_DEP_3)
	v_add_co_ci_u32_e32 v4, vcc_lo, s7, v2, vcc_lo
	v_add_co_u32 v5, vcc_lo, s4, v1
	v_add_co_ci_u32_e32 v6, vcc_lo, s5, v2, vcc_lo
	global_load_b64 v[3:4], v[3:4], off
	v_add_co_u32 v7, s0, s8, v1
	global_load_b64 v[5:6], v[5:6], off
	v_add_co_ci_u32_e64 v8, s0, s9, v2, s0
	v_cmp_le_i32_e32 vcc_lo, s10, v0
	s_or_b32 s1, vcc_lo, s1
	s_waitcnt vmcnt(1)
	v_add_co_u32 v3, s0, s11, v3
	s_delay_alu instid0(VALU_DEP_1) | instskip(SKIP_1) | instid1(VALU_DEP_1)
	v_add_co_ci_u32_e64 v4, s0, s12, v4, s0
	v_add_co_u32 v1, s0, s2, v1
	v_add_co_ci_u32_e64 v2, s0, s3, v2, s0
	global_store_b64 v[7:8], v[3:4], off
	s_waitcnt vmcnt(0)
	global_store_b64 v[1:2], v[5:6], off
	s_and_not1_b32 exec_lo, exec_lo, s1
	s_cbranch_execnz .LBB126_2
.LBB126_3:
	s_set_inst_prefetch_distance 0x2
	s_nop 0
	s_sendmsg sendmsg(MSG_DEALLOC_VGPRS)
	s_endpgm
	.section	.rodata,"a",@progbits
	.p2align	6, 0x0
	.amdhsa_kernel _ZN9rocsparseL35csr2bsr_block_dim_equals_one_kernelILj256EdilEEvT2_S1_S1_S1_21rocsparse_index_base_PKT0_PKT1_PKS1_S2_PS3_PS6_PS1_
		.amdhsa_group_segment_fixed_size 0
		.amdhsa_private_segment_fixed_size 0
		.amdhsa_kernarg_size 352
		.amdhsa_user_sgpr_count 15
		.amdhsa_user_sgpr_dispatch_ptr 0
		.amdhsa_user_sgpr_queue_ptr 0
		.amdhsa_user_sgpr_kernarg_segment_ptr 1
		.amdhsa_user_sgpr_dispatch_id 0
		.amdhsa_user_sgpr_private_segment_size 0
		.amdhsa_wavefront_size32 1
		.amdhsa_uses_dynamic_stack 0
		.amdhsa_enable_private_segment 0
		.amdhsa_system_sgpr_workgroup_id_x 1
		.amdhsa_system_sgpr_workgroup_id_y 0
		.amdhsa_system_sgpr_workgroup_id_z 0
		.amdhsa_system_sgpr_workgroup_info 0
		.amdhsa_system_vgpr_workitem_id 0
		.amdhsa_next_free_vgpr 9
		.amdhsa_next_free_sgpr 16
		.amdhsa_reserve_vcc 1
		.amdhsa_float_round_mode_32 0
		.amdhsa_float_round_mode_16_64 0
		.amdhsa_float_denorm_mode_32 3
		.amdhsa_float_denorm_mode_16_64 3
		.amdhsa_dx10_clamp 1
		.amdhsa_ieee_mode 1
		.amdhsa_fp16_overflow 0
		.amdhsa_workgroup_processor_mode 1
		.amdhsa_memory_ordered 1
		.amdhsa_forward_progress 0
		.amdhsa_shared_vgpr_count 0
		.amdhsa_exception_fp_ieee_invalid_op 0
		.amdhsa_exception_fp_denorm_src 0
		.amdhsa_exception_fp_ieee_div_zero 0
		.amdhsa_exception_fp_ieee_overflow 0
		.amdhsa_exception_fp_ieee_underflow 0
		.amdhsa_exception_fp_ieee_inexact 0
		.amdhsa_exception_int_div_zero 0
	.end_amdhsa_kernel
	.section	.text._ZN9rocsparseL35csr2bsr_block_dim_equals_one_kernelILj256EdilEEvT2_S1_S1_S1_21rocsparse_index_base_PKT0_PKT1_PKS1_S2_PS3_PS6_PS1_,"axG",@progbits,_ZN9rocsparseL35csr2bsr_block_dim_equals_one_kernelILj256EdilEEvT2_S1_S1_S1_21rocsparse_index_base_PKT0_PKT1_PKS1_S2_PS3_PS6_PS1_,comdat
.Lfunc_end126:
	.size	_ZN9rocsparseL35csr2bsr_block_dim_equals_one_kernelILj256EdilEEvT2_S1_S1_S1_21rocsparse_index_base_PKT0_PKT1_PKS1_S2_PS3_PS6_PS1_, .Lfunc_end126-_ZN9rocsparseL35csr2bsr_block_dim_equals_one_kernelILj256EdilEEvT2_S1_S1_S1_21rocsparse_index_base_PKT0_PKT1_PKS1_S2_PS3_PS6_PS1_
                                        ; -- End function
	.section	.AMDGPU.csdata,"",@progbits
; Kernel info:
; codeLenInByte = 340
; NumSgprs: 18
; NumVgprs: 9
; ScratchSize: 0
; MemoryBound: 0
; FloatMode: 240
; IeeeMode: 1
; LDSByteSize: 0 bytes/workgroup (compile time only)
; SGPRBlocks: 2
; VGPRBlocks: 1
; NumSGPRsForWavesPerEU: 18
; NumVGPRsForWavesPerEU: 9
; Occupancy: 16
; WaveLimiterHint : 0
; COMPUTE_PGM_RSRC2:SCRATCH_EN: 0
; COMPUTE_PGM_RSRC2:USER_SGPR: 15
; COMPUTE_PGM_RSRC2:TRAP_HANDLER: 0
; COMPUTE_PGM_RSRC2:TGID_X_EN: 1
; COMPUTE_PGM_RSRC2:TGID_Y_EN: 0
; COMPUTE_PGM_RSRC2:TGID_Z_EN: 0
; COMPUTE_PGM_RSRC2:TIDIG_COMP_CNT: 0
	.section	.text._ZN9rocsparseL42csr2bsr_wavefront_per_row_multipass_kernelILj256ELj16ELj4EdilEEv20rocsparse_direction_T4_S2_S2_S2_S2_21rocsparse_index_base_PKT2_PKT3_PKS2_S3_PS4_PS7_PS2_,"axG",@progbits,_ZN9rocsparseL42csr2bsr_wavefront_per_row_multipass_kernelILj256ELj16ELj4EdilEEv20rocsparse_direction_T4_S2_S2_S2_S2_21rocsparse_index_base_PKT2_PKT3_PKS2_S3_PS4_PS7_PS2_,comdat
	.globl	_ZN9rocsparseL42csr2bsr_wavefront_per_row_multipass_kernelILj256ELj16ELj4EdilEEv20rocsparse_direction_T4_S2_S2_S2_S2_21rocsparse_index_base_PKT2_PKT3_PKS2_S3_PS4_PS7_PS2_ ; -- Begin function _ZN9rocsparseL42csr2bsr_wavefront_per_row_multipass_kernelILj256ELj16ELj4EdilEEv20rocsparse_direction_T4_S2_S2_S2_S2_21rocsparse_index_base_PKT2_PKT3_PKS2_S3_PS4_PS7_PS2_
	.p2align	8
	.type	_ZN9rocsparseL42csr2bsr_wavefront_per_row_multipass_kernelILj256ELj16ELj4EdilEEv20rocsparse_direction_T4_S2_S2_S2_S2_21rocsparse_index_base_PKT2_PKT3_PKS2_S3_PS4_PS7_PS2_,@function
_ZN9rocsparseL42csr2bsr_wavefront_per_row_multipass_kernelILj256ELj16ELj4EdilEEv20rocsparse_direction_T4_S2_S2_S2_S2_21rocsparse_index_base_PKT2_PKT3_PKS2_S3_PS4_PS7_PS2_: ; @_ZN9rocsparseL42csr2bsr_wavefront_per_row_multipass_kernelILj256ELj16ELj4EdilEEv20rocsparse_direction_T4_S2_S2_S2_S2_21rocsparse_index_base_PKT2_PKT3_PKS2_S3_PS4_PS7_PS2_
; %bb.0:
	s_load_b64 s[8:9], s[0:1], 0x28
	v_lshrrev_b32_e32 v19, 4, v0
	s_mov_b32 s10, s15
	s_ashr_i32 s11, s15, 31
	s_clause 0x1
	s_load_b64 s[14:15], s[0:1], 0x8
	s_load_b128 s[4:7], s[0:1], 0x18
	s_lshl_b64 s[2:3], s[10:11], 4
	v_mov_b32_e32 v2, 0
	v_or_b32_e32 v5, s2, v19
	v_bfe_u32 v1, v0, 2, 2
	s_clause 0x1
	s_load_b32 s16, s[0:1], 0x30
	s_load_b64 s[12:13], s[0:1], 0x40
	v_mov_b32_e32 v12, v2
	s_waitcnt lgkmcnt(0)
	v_mul_lo_u32 v6, v5, s9
	v_mad_u64_u32 v[3:4], null, v5, s8, v[1:2]
	s_mul_i32 s2, s3, s8
	s_delay_alu instid0(VALU_DEP_1) | instid1(SALU_CYCLE_1)
	v_add3_u32 v4, s2, v4, v6
	v_cmp_gt_i64_e64 s2, s[8:9], v[1:2]
	s_delay_alu instid0(VALU_DEP_2) | instskip(NEXT) | instid1(VALU_DEP_2)
	v_cmp_gt_i64_e32 vcc_lo, s[14:15], v[3:4]
	s_and_b32 s3, s2, vcc_lo
	s_delay_alu instid0(SALU_CYCLE_1)
	s_and_saveexec_b32 s11, s3
	s_cbranch_execz .LBB127_2
; %bb.1:
	v_lshlrev_b64 v[5:6], 2, v[3:4]
	s_delay_alu instid0(VALU_DEP_1) | instskip(NEXT) | instid1(VALU_DEP_2)
	v_add_co_u32 v5, vcc_lo, s12, v5
	v_add_co_ci_u32_e32 v6, vcc_lo, s13, v6, vcc_lo
	global_load_b32 v5, v[5:6], off
	s_waitcnt vmcnt(0)
	v_subrev_nc_u32_e32 v12, s16, v5
.LBB127_2:
	s_or_b32 exec_lo, exec_lo, s11
	s_and_saveexec_b32 s11, s3
	s_cbranch_execz .LBB127_4
; %bb.3:
	v_lshlrev_b64 v[2:3], 2, v[3:4]
	s_delay_alu instid0(VALU_DEP_1) | instskip(NEXT) | instid1(VALU_DEP_2)
	v_add_co_u32 v2, vcc_lo, s12, v2
	v_add_co_ci_u32_e32 v3, vcc_lo, s13, v3, vcc_lo
	global_load_b32 v2, v[2:3], off offset:4
	s_waitcnt vmcnt(0)
	v_subrev_nc_u32_e32 v2, s16, v2
.LBB127_4:
	s_or_b32 exec_lo, exec_lo, s11
	s_load_b32 s17, s[0:1], 0x50
	v_mov_b32_e32 v5, 0
	v_lshl_or_b32 v4, s10, 4, v19
	s_mov_b32 s3, exec_lo
	s_delay_alu instid0(VALU_DEP_2) | instskip(NEXT) | instid1(VALU_DEP_2)
	v_mov_b32_e32 v3, v5
	v_cmpx_gt_i64_e64 s[4:5], v[4:5]
	s_cbranch_execz .LBB127_6
; %bb.5:
	s_load_b64 s[4:5], s[0:1], 0x60
	v_lshlrev_b64 v[3:4], 2, v[4:5]
	s_waitcnt lgkmcnt(0)
	s_delay_alu instid0(VALU_DEP_1) | instskip(NEXT) | instid1(VALU_DEP_2)
	v_add_co_u32 v3, vcc_lo, s4, v3
	v_add_co_ci_u32_e32 v4, vcc_lo, s5, v4, vcc_lo
	global_load_b32 v3, v[3:4], off
	s_waitcnt vmcnt(0)
	v_subrev_nc_u32_e32 v3, s17, v3
.LBB127_6:
	s_or_b32 exec_lo, exec_lo, s3
	v_cmp_lt_i64_e64 s3, s[6:7], 1
	s_delay_alu instid0(VALU_DEP_1)
	s_and_b32 vcc_lo, exec_lo, s3
	s_cbranch_vccnz .LBB127_25
; %bb.7:
	v_mbcnt_lo_u32_b32 v15, -1, 0
	v_and_b32_e32 v5, 3, v0
	v_and_b32_e32 v4, 0x3f0, v0
	v_mad_u64_u32 v[9:10], null, v1, s8, 0
	s_delay_alu instid0(VALU_DEP_4) | instskip(NEXT) | instid1(VALU_DEP_4)
	v_xor_b32_e32 v0, 2, v15
	v_mad_u64_u32 v[7:8], null, v5, s8, 0
	s_delay_alu instid0(VALU_DEP_4) | instskip(SKIP_1) | instid1(VALU_DEP_4)
	v_lshl_or_b32 v20, v1, 2, v4
	v_xor_b32_e32 v6, 1, v15
	v_cmp_gt_i32_e32 vcc_lo, 32, v0
	s_clause 0x4
	s_load_b64 s[4:5], s[0:1], 0x68
	s_load_b64 s[14:15], s[0:1], 0x58
	;; [unrolled: 1-line block ×4, first 2 shown]
	s_load_b32 s0, s[0:1], 0x0
	s_mul_i32 s3, s8, s9
	v_dual_mov_b32 v30, 1 :: v_dual_cndmask_b32 v11, v15, v0
	v_mov_b32_e32 v0, v8
	v_or_b32_e32 v4, v20, v5
	v_cmp_gt_i32_e32 vcc_lo, 32, v6
	s_mov_b32 s1, 0
	s_mul_i32 s19, s8, s8
	v_mad_u64_u32 v[13:14], null, v5, s9, v[0:1]
	v_dual_cndmask_b32 v6, v15, v6 :: v_dual_lshlrev_b32 v21, 3, v4
	v_mov_b32_e32 v4, v10
	v_lshlrev_b32_e32 v22, 2, v11
	s_delay_alu instid0(VALU_DEP_3) | instskip(SKIP_1) | instid1(VALU_DEP_4)
	v_dual_mov_b32 v0, 0 :: v_dual_lshlrev_b32 v23, 2, v6
	v_mov_b32_e32 v8, v13
	v_mad_u64_u32 v[10:11], null, v1, s9, v[4:5]
	s_delay_alu instid0(VALU_DEP_3) | instskip(NEXT) | instid1(VALU_DEP_3)
	v_dual_mov_b32 v6, v0 :: v_dual_lshlrev_b32 v1, 3, v1
	v_lshlrev_b64 v[7:8], 3, v[7:8]
	s_waitcnt lgkmcnt(0)
	s_cmp_eq_u32 s0, 0
	s_mul_hi_u32 s0, s8, s8
	v_dual_mov_b32 v31, 0 :: v_dual_lshlrev_b32 v14, 2, v15
	s_delay_alu instid0(VALU_DEP_2) | instskip(SKIP_2) | instid1(VALU_DEP_3)
	v_add_co_u32 v4, vcc_lo, s14, v7
	v_add_co_ci_u32_e32 v11, vcc_lo, s15, v8, vcc_lo
	v_lshlrev_b64 v[7:8], 3, v[9:10]
	v_add_co_u32 v1, vcc_lo, v4, v1
	s_delay_alu instid0(VALU_DEP_3) | instskip(SKIP_1) | instid1(VALU_DEP_4)
	v_add_co_ci_u32_e32 v4, vcc_lo, 0, v11, vcc_lo
	v_lshlrev_b32_e32 v9, 3, v5
	v_add_co_u32 v7, vcc_lo, s14, v7
	v_add_co_ci_u32_e32 v8, vcc_lo, s15, v8, vcc_lo
	v_xor_b32_e32 v10, 8, v15
	s_delay_alu instid0(VALU_DEP_3) | instskip(NEXT) | instid1(VALU_DEP_3)
	v_add_co_u32 v7, vcc_lo, v7, v9
	v_add_co_ci_u32_e32 v8, vcc_lo, 0, v8, vcc_lo
	v_xor_b32_e32 v9, 4, v15
	s_cselect_b32 vcc_lo, -1, 0
	s_add_i32 s14, s0, s3
	v_cmp_gt_i32_e64 s0, 32, v10
	v_dual_cndmask_b32 v28, v4, v8 :: v_dual_cndmask_b32 v29, v1, v7
	v_mov_b32_e32 v7, v0
	v_or_b32_e32 v24, 12, v14
	s_delay_alu instid0(VALU_DEP_4)
	v_cndmask_b32_e64 v10, v15, v10, s0
	v_cmp_gt_i32_e64 s0, 32, v9
	v_or_b32_e32 v27, 60, v14
	s_add_i32 s18, s14, s3
	s_sub_i32 s21, 0, s8
	v_lshlrev_b32_e32 v25, 2, v10
	v_cndmask_b32_e64 v9, v15, v9, s0
	v_cmp_gt_u64_e64 s0, s[8:9], v[5:6]
	v_mov_b32_e32 v10, 0
	v_dual_mov_b32 v11, 0 :: v_dual_mov_b32 v6, 0
	s_delay_alu instid0(VALU_DEP_4) | instskip(NEXT) | instid1(VALU_DEP_4)
	v_lshlrev_b32_e32 v26, 2, v9
	s_and_b32 s20, s2, s0
	s_ashr_i32 s2, s9, 31
	s_branch .LBB127_10
.LBB127_8:                              ;   in Loop: Header=BB127_10 Depth=1
	s_or_b32 exec_lo, exec_lo, s3
	v_mov_b32_e32 v1, 1
.LBB127_9:                              ;   in Loop: Header=BB127_10 Depth=1
	s_or_b32 exec_lo, exec_lo, s0
	ds_bpermute_b32 v10, v25, v8
	ds_bpermute_b32 v11, v25, v9
	s_waitcnt lgkmcnt(0)
	s_waitcnt_vscnt null, 0x0
	buffer_gl0_inv
	buffer_gl0_inv
	v_add_nc_u32_e32 v3, v1, v3
	v_cmp_lt_i64_e32 vcc_lo, v[10:11], v[8:9]
	v_dual_cndmask_b32 v9, v9, v11 :: v_dual_cndmask_b32 v8, v8, v10
	ds_bpermute_b32 v11, v26, v9
	ds_bpermute_b32 v10, v26, v8
	s_waitcnt lgkmcnt(0)
	v_cmp_lt_i64_e32 vcc_lo, v[10:11], v[8:9]
	v_dual_cndmask_b32 v9, v9, v11 :: v_dual_cndmask_b32 v8, v8, v10
	ds_bpermute_b32 v11, v22, v9
	ds_bpermute_b32 v10, v22, v8
	s_waitcnt lgkmcnt(0)
	;; [unrolled: 5-line block ×3, first 2 shown]
	v_cmp_lt_i64_e32 vcc_lo, v[10:11], v[8:9]
	v_cndmask_b32_e32 v4, v8, v10, vcc_lo
	ds_bpermute_b32 v10, v27, v4
	s_waitcnt lgkmcnt(0)
	v_ashrrev_i32_e32 v11, 31, v10
	v_mov_b32_e32 v31, v10
	s_delay_alu instid0(VALU_DEP_2) | instskip(SKIP_1) | instid1(SALU_CYCLE_1)
	v_cmp_le_i64_e32 vcc_lo, s[6:7], v[10:11]
	s_or_b32 s1, vcc_lo, s1
	s_and_not1_b32 exec_lo, exec_lo, s1
	s_cbranch_execz .LBB127_25
.LBB127_10:                             ; =>This Loop Header: Depth=1
                                        ;     Child Loop BB127_13 Depth 2
	v_dual_mov_b32 v9, s7 :: v_dual_add_nc_u32 v12, v12, v5
	v_dual_mov_b32 v8, s6 :: v_dual_mov_b32 v1, v2
	s_mov_b32 s22, exec_lo
	ds_store_b8 v19, v0 offset:2048
	ds_store_b64 v21, v[6:7]
	s_waitcnt lgkmcnt(0)
	buffer_gl0_inv
	v_cmpx_lt_i32_e64 v12, v2
	s_cbranch_execz .LBB127_22
; %bb.11:                               ;   in Loop: Header=BB127_10 Depth=1
	v_mad_u64_u32 v[14:15], null, v10, s8, 0
	v_dual_mov_b32 v9, s7 :: v_dual_mov_b32 v8, s6
	v_mov_b32_e32 v4, v2
	s_mov_b32 s23, 0
	s_branch .LBB127_13
.LBB127_12:                             ;   in Loop: Header=BB127_13 Depth=2
	s_or_b32 exec_lo, exec_lo, s3
	v_add_nc_u32_e32 v12, 4, v12
	s_xor_b32 s3, vcc_lo, -1
	v_mov_b32_e32 v4, v1
	s_delay_alu instid0(VALU_DEP_2) | instskip(NEXT) | instid1(VALU_DEP_1)
	v_cmp_ge_i32_e64 s0, v12, v2
	s_or_b32 s0, s3, s0
	s_delay_alu instid0(SALU_CYCLE_1) | instskip(NEXT) | instid1(SALU_CYCLE_1)
	s_and_b32 s0, exec_lo, s0
	s_or_b32 s23, s0, s23
	s_delay_alu instid0(SALU_CYCLE_1)
	s_and_not1_b32 exec_lo, exec_lo, s23
	s_cbranch_execz .LBB127_21
.LBB127_13:                             ;   Parent Loop BB127_10 Depth=1
                                        ; =>  This Inner Loop Header: Depth=2
	v_ashrrev_i32_e32 v13, 31, v12
	s_mov_b32 s0, exec_lo
	s_delay_alu instid0(VALU_DEP_1) | instskip(NEXT) | instid1(VALU_DEP_1)
	v_lshlrev_b64 v[15:16], 3, v[12:13]
	v_add_co_u32 v17, vcc_lo, s10, v15
	s_delay_alu instid0(VALU_DEP_2) | instskip(SKIP_4) | instid1(VALU_DEP_1)
	v_add_co_ci_u32_e32 v18, vcc_lo, s11, v16, vcc_lo
	global_load_b64 v[17:18], v[17:18], off
	s_waitcnt vmcnt(0)
	v_sub_co_u32 v13, vcc_lo, v17, s16
	v_subrev_co_ci_u32_e32 v32, vcc_lo, 0, v18, vcc_lo
                                        ; implicit-def: $vgpr17_vgpr18
	v_or_b32_e32 v1, s9, v32
	s_delay_alu instid0(VALU_DEP_1)
	v_cmpx_ne_u64_e32 0, v[0:1]
	s_xor_b32 s24, exec_lo, s0
	s_cbranch_execz .LBB127_15
; %bb.14:                               ;   in Loop: Header=BB127_13 Depth=2
	s_add_u32 s14, s8, s2
	s_mov_b32 s3, s2
	s_addc_u32 s15, s9, s2
	s_delay_alu instid0(SALU_CYCLE_1) | instskip(NEXT) | instid1(SALU_CYCLE_1)
	s_xor_b64 s[14:15], s[14:15], s[2:3]
	v_cvt_f32_u32_e32 v1, s14
	v_cvt_f32_u32_e32 v17, s15
	s_sub_u32 s0, 0, s14
	s_subb_u32 s3, 0, s15
	s_delay_alu instid0(VALU_DEP_1) | instskip(NEXT) | instid1(VALU_DEP_1)
	v_fmac_f32_e32 v1, 0x4f800000, v17
	v_rcp_f32_e32 v1, v1
	s_waitcnt_depctr 0xfff
	v_mul_f32_e32 v1, 0x5f7ffffc, v1
	s_delay_alu instid0(VALU_DEP_1) | instskip(NEXT) | instid1(VALU_DEP_1)
	v_mul_f32_e32 v17, 0x2f800000, v1
	v_trunc_f32_e32 v17, v17
	s_delay_alu instid0(VALU_DEP_1) | instskip(SKIP_1) | instid1(VALU_DEP_2)
	v_fmac_f32_e32 v1, 0xcf800000, v17
	v_cvt_u32_f32_e32 v17, v17
	v_cvt_u32_f32_e32 v1, v1
	s_delay_alu instid0(VALU_DEP_2) | instskip(NEXT) | instid1(VALU_DEP_2)
	v_mul_lo_u32 v18, s0, v17
	v_mul_hi_u32 v33, s0, v1
	v_mul_lo_u32 v34, s3, v1
	s_delay_alu instid0(VALU_DEP_2) | instskip(SKIP_1) | instid1(VALU_DEP_2)
	v_add_nc_u32_e32 v18, v33, v18
	v_mul_lo_u32 v33, s0, v1
	v_add_nc_u32_e32 v18, v18, v34
	s_delay_alu instid0(VALU_DEP_2) | instskip(NEXT) | instid1(VALU_DEP_2)
	v_mul_hi_u32 v34, v1, v33
	v_mul_lo_u32 v35, v1, v18
	v_mul_hi_u32 v36, v1, v18
	v_mul_hi_u32 v37, v17, v33
	v_mul_lo_u32 v33, v17, v33
	v_mul_hi_u32 v38, v17, v18
	v_mul_lo_u32 v18, v17, v18
	v_add_co_u32 v34, vcc_lo, v34, v35
	v_add_co_ci_u32_e32 v35, vcc_lo, 0, v36, vcc_lo
	s_delay_alu instid0(VALU_DEP_2) | instskip(NEXT) | instid1(VALU_DEP_2)
	v_add_co_u32 v33, vcc_lo, v34, v33
	v_add_co_ci_u32_e32 v33, vcc_lo, v35, v37, vcc_lo
	v_add_co_ci_u32_e32 v34, vcc_lo, 0, v38, vcc_lo
	v_ashrrev_i32_e32 v37, 31, v32
	s_delay_alu instid0(VALU_DEP_3) | instskip(NEXT) | instid1(VALU_DEP_3)
	v_add_co_u32 v18, vcc_lo, v33, v18
	v_add_co_ci_u32_e32 v33, vcc_lo, 0, v34, vcc_lo
	s_delay_alu instid0(VALU_DEP_2) | instskip(NEXT) | instid1(VALU_DEP_2)
	v_add_co_u32 v1, vcc_lo, v1, v18
	v_add_co_ci_u32_e32 v17, vcc_lo, v17, v33, vcc_lo
	s_delay_alu instid0(VALU_DEP_2) | instskip(SKIP_1) | instid1(VALU_DEP_3)
	v_mul_hi_u32 v18, s0, v1
	v_mul_lo_u32 v34, s3, v1
	v_mul_lo_u32 v33, s0, v17
	s_delay_alu instid0(VALU_DEP_1) | instskip(SKIP_1) | instid1(VALU_DEP_2)
	v_add_nc_u32_e32 v18, v18, v33
	v_mul_lo_u32 v33, s0, v1
	v_add_nc_u32_e32 v18, v18, v34
	s_delay_alu instid0(VALU_DEP_2) | instskip(NEXT) | instid1(VALU_DEP_2)
	v_mul_hi_u32 v34, v1, v33
	v_mul_lo_u32 v35, v1, v18
	v_mul_hi_u32 v36, v1, v18
	v_mul_hi_u32 v38, v17, v33
	v_mul_lo_u32 v33, v17, v33
	v_mul_hi_u32 v39, v17, v18
	v_mul_lo_u32 v18, v17, v18
	v_add_co_u32 v34, vcc_lo, v34, v35
	v_add_co_ci_u32_e32 v35, vcc_lo, 0, v36, vcc_lo
	s_delay_alu instid0(VALU_DEP_2) | instskip(NEXT) | instid1(VALU_DEP_2)
	v_add_co_u32 v33, vcc_lo, v34, v33
	v_add_co_ci_u32_e32 v33, vcc_lo, v35, v38, vcc_lo
	v_add_co_ci_u32_e32 v34, vcc_lo, 0, v39, vcc_lo
	v_add_co_u32 v35, vcc_lo, v13, v37
	v_add_co_ci_u32_e32 v32, vcc_lo, v32, v37, vcc_lo
	s_delay_alu instid0(VALU_DEP_4) | instskip(NEXT) | instid1(VALU_DEP_4)
	v_add_co_u32 v18, vcc_lo, v33, v18
	v_add_co_ci_u32_e32 v33, vcc_lo, 0, v34, vcc_lo
	s_delay_alu instid0(VALU_DEP_4) | instskip(NEXT) | instid1(VALU_DEP_3)
	v_xor_b32_e32 v36, v35, v37
	v_add_co_u32 v1, vcc_lo, v1, v18
	s_delay_alu instid0(VALU_DEP_3) | instskip(SKIP_1) | instid1(VALU_DEP_3)
	v_add_co_ci_u32_e32 v38, vcc_lo, v17, v33, vcc_lo
	v_xor_b32_e32 v39, v32, v37
	v_mul_hi_u32 v40, v36, v1
	s_delay_alu instid0(VALU_DEP_3) | instskip(NEXT) | instid1(VALU_DEP_3)
	v_mad_u64_u32 v[17:18], null, v36, v38, 0
	v_mad_u64_u32 v[32:33], null, v39, v1, 0
	v_mad_u64_u32 v[34:35], null, v39, v38, 0
	s_delay_alu instid0(VALU_DEP_3) | instskip(NEXT) | instid1(VALU_DEP_4)
	v_add_co_u32 v1, vcc_lo, v40, v17
	v_add_co_ci_u32_e32 v17, vcc_lo, 0, v18, vcc_lo
	s_delay_alu instid0(VALU_DEP_2) | instskip(NEXT) | instid1(VALU_DEP_2)
	v_add_co_u32 v1, vcc_lo, v1, v32
	v_add_co_ci_u32_e32 v1, vcc_lo, v17, v33, vcc_lo
	v_add_co_ci_u32_e32 v17, vcc_lo, 0, v35, vcc_lo
	s_delay_alu instid0(VALU_DEP_2) | instskip(NEXT) | instid1(VALU_DEP_2)
	v_add_co_u32 v1, vcc_lo, v1, v34
	v_add_co_ci_u32_e32 v32, vcc_lo, 0, v17, vcc_lo
	s_delay_alu instid0(VALU_DEP_2) | instskip(SKIP_1) | instid1(VALU_DEP_3)
	v_mul_lo_u32 v33, s15, v1
	v_mad_u64_u32 v[17:18], null, s14, v1, 0
	v_mul_lo_u32 v34, s14, v32
	s_delay_alu instid0(VALU_DEP_2) | instskip(NEXT) | instid1(VALU_DEP_2)
	v_sub_co_u32 v17, vcc_lo, v36, v17
	v_add3_u32 v18, v18, v34, v33
	s_delay_alu instid0(VALU_DEP_1) | instskip(NEXT) | instid1(VALU_DEP_1)
	v_sub_nc_u32_e32 v33, v39, v18
	v_subrev_co_ci_u32_e64 v33, s0, s15, v33, vcc_lo
	v_add_co_u32 v34, s0, v1, 2
	s_delay_alu instid0(VALU_DEP_1) | instskip(SKIP_3) | instid1(VALU_DEP_3)
	v_add_co_ci_u32_e64 v35, s0, 0, v32, s0
	v_sub_co_u32 v36, s0, v17, s14
	v_sub_co_ci_u32_e32 v18, vcc_lo, v39, v18, vcc_lo
	v_subrev_co_ci_u32_e64 v33, s0, 0, v33, s0
	v_cmp_le_u32_e32 vcc_lo, s14, v36
	s_delay_alu instid0(VALU_DEP_3) | instskip(SKIP_1) | instid1(VALU_DEP_4)
	v_cmp_eq_u32_e64 s0, s15, v18
	v_cndmask_b32_e64 v36, 0, -1, vcc_lo
	v_cmp_le_u32_e32 vcc_lo, s15, v33
	v_cndmask_b32_e64 v38, 0, -1, vcc_lo
	v_cmp_le_u32_e32 vcc_lo, s14, v17
	;; [unrolled: 2-line block ×3, first 2 shown]
	v_cndmask_b32_e64 v39, 0, -1, vcc_lo
	v_cmp_eq_u32_e32 vcc_lo, s15, v33
	s_delay_alu instid0(VALU_DEP_2) | instskip(SKIP_3) | instid1(VALU_DEP_3)
	v_cndmask_b32_e64 v17, v39, v17, s0
	v_cndmask_b32_e32 v33, v38, v36, vcc_lo
	v_add_co_u32 v36, vcc_lo, v1, 1
	v_add_co_ci_u32_e32 v38, vcc_lo, 0, v32, vcc_lo
	v_cmp_ne_u32_e32 vcc_lo, 0, v33
	s_delay_alu instid0(VALU_DEP_2) | instskip(SKIP_2) | instid1(VALU_DEP_3)
	v_dual_cndmask_b32 v33, v36, v34 :: v_dual_cndmask_b32 v18, v38, v35
	v_cmp_ne_u32_e32 vcc_lo, 0, v17
	v_xor_b32_e32 v34, s2, v37
	v_cndmask_b32_e32 v1, v1, v33, vcc_lo
	s_delay_alu instid0(VALU_DEP_4) | instskip(NEXT) | instid1(VALU_DEP_2)
	v_cndmask_b32_e32 v17, v32, v18, vcc_lo
	v_xor_b32_e32 v1, v1, v34
	s_delay_alu instid0(VALU_DEP_2) | instskip(NEXT) | instid1(VALU_DEP_2)
	v_xor_b32_e32 v18, v17, v34
	v_sub_co_u32 v17, vcc_lo, v1, v34
	s_delay_alu instid0(VALU_DEP_2)
	v_sub_co_ci_u32_e32 v18, vcc_lo, v18, v34, vcc_lo
.LBB127_15:                             ;   in Loop: Header=BB127_13 Depth=2
	s_and_not1_saveexec_b32 s0, s24
	s_cbranch_execz .LBB127_17
; %bb.16:                               ;   in Loop: Header=BB127_13 Depth=2
	v_cvt_f32_u32_e32 v1, s8
	s_delay_alu instid0(VALU_DEP_1) | instskip(SKIP_2) | instid1(VALU_DEP_1)
	v_rcp_iflag_f32_e32 v1, v1
	s_waitcnt_depctr 0xfff
	v_mul_f32_e32 v1, 0x4f7ffffe, v1
	v_cvt_u32_f32_e32 v1, v1
	s_delay_alu instid0(VALU_DEP_1) | instskip(NEXT) | instid1(VALU_DEP_1)
	v_mul_lo_u32 v17, s21, v1
	v_mul_hi_u32 v17, v1, v17
	s_delay_alu instid0(VALU_DEP_1) | instskip(NEXT) | instid1(VALU_DEP_1)
	v_add_nc_u32_e32 v1, v1, v17
	v_mul_hi_u32 v1, v13, v1
	s_delay_alu instid0(VALU_DEP_1) | instskip(NEXT) | instid1(VALU_DEP_1)
	v_mul_lo_u32 v17, v1, s8
	v_sub_nc_u32_e32 v17, v13, v17
	s_delay_alu instid0(VALU_DEP_1) | instskip(SKIP_1) | instid1(VALU_DEP_2)
	v_subrev_nc_u32_e32 v32, s8, v17
	v_cmp_le_u32_e32 vcc_lo, s8, v17
	v_dual_cndmask_b32 v17, v17, v32 :: v_dual_add_nc_u32 v18, 1, v1
	s_delay_alu instid0(VALU_DEP_1) | instskip(NEXT) | instid1(VALU_DEP_2)
	v_cndmask_b32_e32 v1, v1, v18, vcc_lo
	v_cmp_le_u32_e32 vcc_lo, s8, v17
	s_delay_alu instid0(VALU_DEP_2) | instskip(NEXT) | instid1(VALU_DEP_1)
	v_add_nc_u32_e32 v18, 1, v1
	v_dual_cndmask_b32 v17, v1, v18 :: v_dual_mov_b32 v18, v0
.LBB127_17:                             ;   in Loop: Header=BB127_13 Depth=2
	s_or_b32 exec_lo, exec_lo, s0
	s_delay_alu instid0(VALU_DEP_1)
	v_cmp_eq_u64_e32 vcc_lo, v[17:18], v[10:11]
	s_mov_b32 s3, exec_lo
	v_cmpx_ne_u64_e64 v[17:18], v[10:11]
	s_xor_b32 s3, exec_lo, s3
; %bb.18:                               ;   in Loop: Header=BB127_13 Depth=2
	v_cmp_lt_i64_e64 s0, v[17:18], v[8:9]
                                        ; implicit-def: $vgpr15_vgpr16
                                        ; implicit-def: $vgpr13
                                        ; implicit-def: $vgpr4
	s_delay_alu instid0(VALU_DEP_1)
	v_cndmask_b32_e64 v9, v9, v18, s0
	v_cndmask_b32_e64 v8, v8, v17, s0
; %bb.19:                               ;   in Loop: Header=BB127_13 Depth=2
	s_or_saveexec_b32 s3, s3
	v_mov_b32_e32 v1, v12
	s_xor_b32 exec_lo, exec_lo, s3
	s_cbranch_execz .LBB127_12
; %bb.20:                               ;   in Loop: Header=BB127_13 Depth=2
	v_add_co_u32 v15, s0, s12, v15
	s_delay_alu instid0(VALU_DEP_1)
	v_add_co_ci_u32_e64 v16, s0, s13, v16, s0
	v_sub_nc_u32_e32 v1, v13, v14
	global_load_b64 v[15:16], v[15:16], off
	v_add_lshl_u32 v13, v20, v1, 3
	v_mov_b32_e32 v1, v4
	ds_store_b8 v19, v30 offset:2048
	s_waitcnt vmcnt(0)
	ds_store_b64 v13, v[15:16]
	s_branch .LBB127_12
.LBB127_21:                             ;   in Loop: Header=BB127_10 Depth=1
	s_or_b32 exec_lo, exec_lo, s23
.LBB127_22:                             ;   in Loop: Header=BB127_10 Depth=1
	s_delay_alu instid0(SALU_CYCLE_1)
	s_or_b32 exec_lo, exec_lo, s22
	ds_bpermute_b32 v4, v22, v1
	s_waitcnt lgkmcnt(0)
	buffer_gl0_inv
	ds_load_u8 v10, v19 offset:2048
	v_min_i32_e32 v1, v4, v1
	ds_bpermute_b32 v4, v23, v1
	s_waitcnt lgkmcnt(0)
	v_min_i32_e32 v1, v4, v1
	ds_bpermute_b32 v12, v24, v1
	v_and_b32_e32 v1, 1, v10
	s_delay_alu instid0(VALU_DEP_1)
	v_cmp_eq_u32_e32 vcc_lo, 1, v1
	v_mov_b32_e32 v1, 0
	s_and_saveexec_b32 s0, vcc_lo
	s_cbranch_execz .LBB127_9
; %bb.23:                               ;   in Loop: Header=BB127_10 Depth=1
	v_ashrrev_i32_e32 v4, 31, v3
	v_add_nc_u32_e32 v10, s17, v31
	s_delay_alu instid0(VALU_DEP_2) | instskip(NEXT) | instid1(VALU_DEP_2)
	v_lshlrev_b64 v[13:14], 3, v[3:4]
	v_ashrrev_i32_e32 v11, 31, v10
	s_delay_alu instid0(VALU_DEP_2) | instskip(NEXT) | instid1(VALU_DEP_3)
	v_add_co_u32 v13, vcc_lo, s4, v13
	v_add_co_ci_u32_e32 v14, vcc_lo, s5, v14, vcc_lo
	global_store_b64 v[13:14], v[10:11], off
	s_and_saveexec_b32 s3, s20
	s_cbranch_execz .LBB127_8
; %bb.24:                               ;   in Loop: Header=BB127_10 Depth=1
	v_mul_lo_u32 v1, s18, v3
	v_mul_lo_u32 v4, s19, v4
	v_mad_u64_u32 v[10:11], null, s19, v3, 0
	ds_load_b64 v[13:14], v21
	v_add3_u32 v11, v11, v4, v1
	s_delay_alu instid0(VALU_DEP_1) | instskip(NEXT) | instid1(VALU_DEP_1)
	v_lshlrev_b64 v[10:11], 3, v[10:11]
	v_add_co_u32 v10, vcc_lo, v29, v10
	s_delay_alu instid0(VALU_DEP_2)
	v_add_co_ci_u32_e32 v11, vcc_lo, v28, v11, vcc_lo
	s_waitcnt lgkmcnt(0)
	global_store_b64 v[10:11], v[13:14], off
	s_branch .LBB127_8
.LBB127_25:
	s_endpgm
	.section	.rodata,"a",@progbits
	.p2align	6, 0x0
	.amdhsa_kernel _ZN9rocsparseL42csr2bsr_wavefront_per_row_multipass_kernelILj256ELj16ELj4EdilEEv20rocsparse_direction_T4_S2_S2_S2_S2_21rocsparse_index_base_PKT2_PKT3_PKS2_S3_PS4_PS7_PS2_
		.amdhsa_group_segment_fixed_size 2064
		.amdhsa_private_segment_fixed_size 0
		.amdhsa_kernarg_size 112
		.amdhsa_user_sgpr_count 15
		.amdhsa_user_sgpr_dispatch_ptr 0
		.amdhsa_user_sgpr_queue_ptr 0
		.amdhsa_user_sgpr_kernarg_segment_ptr 1
		.amdhsa_user_sgpr_dispatch_id 0
		.amdhsa_user_sgpr_private_segment_size 0
		.amdhsa_wavefront_size32 1
		.amdhsa_uses_dynamic_stack 0
		.amdhsa_enable_private_segment 0
		.amdhsa_system_sgpr_workgroup_id_x 1
		.amdhsa_system_sgpr_workgroup_id_y 0
		.amdhsa_system_sgpr_workgroup_id_z 0
		.amdhsa_system_sgpr_workgroup_info 0
		.amdhsa_system_vgpr_workitem_id 0
		.amdhsa_next_free_vgpr 41
		.amdhsa_next_free_sgpr 25
		.amdhsa_reserve_vcc 1
		.amdhsa_float_round_mode_32 0
		.amdhsa_float_round_mode_16_64 0
		.amdhsa_float_denorm_mode_32 3
		.amdhsa_float_denorm_mode_16_64 3
		.amdhsa_dx10_clamp 1
		.amdhsa_ieee_mode 1
		.amdhsa_fp16_overflow 0
		.amdhsa_workgroup_processor_mode 1
		.amdhsa_memory_ordered 1
		.amdhsa_forward_progress 0
		.amdhsa_shared_vgpr_count 0
		.amdhsa_exception_fp_ieee_invalid_op 0
		.amdhsa_exception_fp_denorm_src 0
		.amdhsa_exception_fp_ieee_div_zero 0
		.amdhsa_exception_fp_ieee_overflow 0
		.amdhsa_exception_fp_ieee_underflow 0
		.amdhsa_exception_fp_ieee_inexact 0
		.amdhsa_exception_int_div_zero 0
	.end_amdhsa_kernel
	.section	.text._ZN9rocsparseL42csr2bsr_wavefront_per_row_multipass_kernelILj256ELj16ELj4EdilEEv20rocsparse_direction_T4_S2_S2_S2_S2_21rocsparse_index_base_PKT2_PKT3_PKS2_S3_PS4_PS7_PS2_,"axG",@progbits,_ZN9rocsparseL42csr2bsr_wavefront_per_row_multipass_kernelILj256ELj16ELj4EdilEEv20rocsparse_direction_T4_S2_S2_S2_S2_21rocsparse_index_base_PKT2_PKT3_PKS2_S3_PS4_PS7_PS2_,comdat
.Lfunc_end127:
	.size	_ZN9rocsparseL42csr2bsr_wavefront_per_row_multipass_kernelILj256ELj16ELj4EdilEEv20rocsparse_direction_T4_S2_S2_S2_S2_21rocsparse_index_base_PKT2_PKT3_PKS2_S3_PS4_PS7_PS2_, .Lfunc_end127-_ZN9rocsparseL42csr2bsr_wavefront_per_row_multipass_kernelILj256ELj16ELj4EdilEEv20rocsparse_direction_T4_S2_S2_S2_S2_21rocsparse_index_base_PKT2_PKT3_PKS2_S3_PS4_PS7_PS2_
                                        ; -- End function
	.section	.AMDGPU.csdata,"",@progbits
; Kernel info:
; codeLenInByte = 2548
; NumSgprs: 27
; NumVgprs: 41
; ScratchSize: 0
; MemoryBound: 0
; FloatMode: 240
; IeeeMode: 1
; LDSByteSize: 2064 bytes/workgroup (compile time only)
; SGPRBlocks: 3
; VGPRBlocks: 5
; NumSGPRsForWavesPerEU: 27
; NumVGPRsForWavesPerEU: 41
; Occupancy: 16
; WaveLimiterHint : 0
; COMPUTE_PGM_RSRC2:SCRATCH_EN: 0
; COMPUTE_PGM_RSRC2:USER_SGPR: 15
; COMPUTE_PGM_RSRC2:TRAP_HANDLER: 0
; COMPUTE_PGM_RSRC2:TGID_X_EN: 1
; COMPUTE_PGM_RSRC2:TGID_Y_EN: 0
; COMPUTE_PGM_RSRC2:TGID_Z_EN: 0
; COMPUTE_PGM_RSRC2:TIDIG_COMP_CNT: 0
	.section	.text._ZN9rocsparseL42csr2bsr_wavefront_per_row_multipass_kernelILj256ELj64ELj8EdilEEv20rocsparse_direction_T4_S2_S2_S2_S2_21rocsparse_index_base_PKT2_PKT3_PKS2_S3_PS4_PS7_PS2_,"axG",@progbits,_ZN9rocsparseL42csr2bsr_wavefront_per_row_multipass_kernelILj256ELj64ELj8EdilEEv20rocsparse_direction_T4_S2_S2_S2_S2_21rocsparse_index_base_PKT2_PKT3_PKS2_S3_PS4_PS7_PS2_,comdat
	.globl	_ZN9rocsparseL42csr2bsr_wavefront_per_row_multipass_kernelILj256ELj64ELj8EdilEEv20rocsparse_direction_T4_S2_S2_S2_S2_21rocsparse_index_base_PKT2_PKT3_PKS2_S3_PS4_PS7_PS2_ ; -- Begin function _ZN9rocsparseL42csr2bsr_wavefront_per_row_multipass_kernelILj256ELj64ELj8EdilEEv20rocsparse_direction_T4_S2_S2_S2_S2_21rocsparse_index_base_PKT2_PKT3_PKS2_S3_PS4_PS7_PS2_
	.p2align	8
	.type	_ZN9rocsparseL42csr2bsr_wavefront_per_row_multipass_kernelILj256ELj64ELj8EdilEEv20rocsparse_direction_T4_S2_S2_S2_S2_21rocsparse_index_base_PKT2_PKT3_PKS2_S3_PS4_PS7_PS2_,@function
_ZN9rocsparseL42csr2bsr_wavefront_per_row_multipass_kernelILj256ELj64ELj8EdilEEv20rocsparse_direction_T4_S2_S2_S2_S2_21rocsparse_index_base_PKT2_PKT3_PKS2_S3_PS4_PS7_PS2_: ; @_ZN9rocsparseL42csr2bsr_wavefront_per_row_multipass_kernelILj256ELj64ELj8EdilEEv20rocsparse_direction_T4_S2_S2_S2_S2_21rocsparse_index_base_PKT2_PKT3_PKS2_S3_PS4_PS7_PS2_
; %bb.0:
	s_load_b64 s[8:9], s[0:1], 0x28
	v_lshrrev_b32_e32 v19, 6, v0
	s_mov_b32 s10, s15
	s_ashr_i32 s11, s15, 31
	s_clause 0x1
	s_load_b64 s[14:15], s[0:1], 0x8
	s_load_b128 s[4:7], s[0:1], 0x18
	s_lshl_b64 s[2:3], s[10:11], 2
	v_mov_b32_e32 v2, 0
	v_or_b32_e32 v5, s2, v19
	v_bfe_u32 v1, v0, 3, 3
	s_clause 0x1
	s_load_b32 s16, s[0:1], 0x30
	s_load_b64 s[12:13], s[0:1], 0x40
	v_mov_b32_e32 v12, v2
	s_waitcnt lgkmcnt(0)
	v_mul_lo_u32 v6, v5, s9
	v_mad_u64_u32 v[3:4], null, v5, s8, v[1:2]
	s_mul_i32 s2, s3, s8
	s_delay_alu instid0(VALU_DEP_1) | instid1(SALU_CYCLE_1)
	v_add3_u32 v4, s2, v4, v6
	v_cmp_gt_i64_e64 s2, s[8:9], v[1:2]
	s_delay_alu instid0(VALU_DEP_2) | instskip(NEXT) | instid1(VALU_DEP_2)
	v_cmp_gt_i64_e32 vcc_lo, s[14:15], v[3:4]
	s_and_b32 s3, s2, vcc_lo
	s_delay_alu instid0(SALU_CYCLE_1)
	s_and_saveexec_b32 s11, s3
	s_cbranch_execz .LBB128_2
; %bb.1:
	v_lshlrev_b64 v[5:6], 2, v[3:4]
	s_delay_alu instid0(VALU_DEP_1) | instskip(NEXT) | instid1(VALU_DEP_2)
	v_add_co_u32 v5, vcc_lo, s12, v5
	v_add_co_ci_u32_e32 v6, vcc_lo, s13, v6, vcc_lo
	global_load_b32 v5, v[5:6], off
	s_waitcnt vmcnt(0)
	v_subrev_nc_u32_e32 v12, s16, v5
.LBB128_2:
	s_or_b32 exec_lo, exec_lo, s11
	s_and_saveexec_b32 s11, s3
	s_cbranch_execz .LBB128_4
; %bb.3:
	v_lshlrev_b64 v[2:3], 2, v[3:4]
	s_delay_alu instid0(VALU_DEP_1) | instskip(NEXT) | instid1(VALU_DEP_2)
	v_add_co_u32 v2, vcc_lo, s12, v2
	v_add_co_ci_u32_e32 v3, vcc_lo, s13, v3, vcc_lo
	global_load_b32 v2, v[2:3], off offset:4
	s_waitcnt vmcnt(0)
	v_subrev_nc_u32_e32 v2, s16, v2
.LBB128_4:
	s_or_b32 exec_lo, exec_lo, s11
	s_load_b32 s17, s[0:1], 0x50
	v_mov_b32_e32 v5, 0
	v_lshl_or_b32 v4, s10, 2, v19
	s_mov_b32 s3, exec_lo
	s_delay_alu instid0(VALU_DEP_2) | instskip(NEXT) | instid1(VALU_DEP_2)
	v_mov_b32_e32 v3, v5
	v_cmpx_gt_i64_e64 s[4:5], v[4:5]
	s_cbranch_execz .LBB128_6
; %bb.5:
	s_load_b64 s[4:5], s[0:1], 0x60
	v_lshlrev_b64 v[3:4], 2, v[4:5]
	s_waitcnt lgkmcnt(0)
	s_delay_alu instid0(VALU_DEP_1) | instskip(NEXT) | instid1(VALU_DEP_2)
	v_add_co_u32 v3, vcc_lo, s4, v3
	v_add_co_ci_u32_e32 v4, vcc_lo, s5, v4, vcc_lo
	global_load_b32 v3, v[3:4], off
	s_waitcnt vmcnt(0)
	v_subrev_nc_u32_e32 v3, s17, v3
.LBB128_6:
	s_or_b32 exec_lo, exec_lo, s3
	v_cmp_lt_i64_e64 s3, s[6:7], 1
	s_delay_alu instid0(VALU_DEP_1)
	s_and_b32 vcc_lo, exec_lo, s3
	s_cbranch_vccnz .LBB128_25
; %bb.7:
	v_mbcnt_lo_u32_b32 v16, -1, 0
	v_mad_u64_u32 v[9:10], null, v1, s8, 0
	v_and_b32_e32 v5, 7, v0
	s_load_b64 s[4:5], s[0:1], 0x68
	s_delay_alu instid0(VALU_DEP_3)
	v_xor_b32_e32 v4, 4, v16
	s_clause 0x3
	s_load_b64 s[14:15], s[0:1], 0x58
	s_load_b64 s[10:11], s[0:1], 0x48
	;; [unrolled: 1-line block ×3, first 2 shown]
	s_load_b32 s0, s[0:1], 0x0
	v_xor_b32_e32 v17, 1, v16
	s_mul_i32 s3, s8, s9
	s_mul_hi_u32 s1, s8, s8
	v_cmp_gt_i32_e32 vcc_lo, 32, v4
	v_lshl_or_b32 v25, v16, 2, 28
	v_bfrev_b32_e32 v29, 0.5
	v_mov_b32_e32 v32, 1
	s_mov_b32 s18, 0
	v_cndmask_b32_e32 v6, v16, v4, vcc_lo
	v_mov_b32_e32 v4, v10
	v_mad_u64_u32 v[7:8], null, v5, s8, 0
	v_lshlrev_b32_e32 v15, 3, v1
	s_mul_i32 s19, s8, s8
	s_delay_alu instid0(VALU_DEP_3) | instskip(SKIP_1) | instid1(VALU_DEP_3)
	v_mad_u64_u32 v[10:11], null, v1, s9, v[4:5]
	v_mov_b32_e32 v33, 0
	v_and_or_b32 v20, 0x3c0, v0, v15
	s_waitcnt lgkmcnt(0)
	s_cmp_eq_u32 s0, 0
	s_delay_alu instid0(VALU_DEP_1) | instskip(NEXT) | instid1(VALU_DEP_4)
	v_or_b32_e32 v0, v20, v5
	v_lshlrev_b64 v[9:10], 3, v[9:10]
	s_delay_alu instid0(VALU_DEP_2) | instskip(SKIP_1) | instid1(VALU_DEP_2)
	v_dual_mov_b32 v0, v8 :: v_dual_lshlrev_b32 v21, 3, v0
	v_xor_b32_e32 v8, 2, v16
	v_mad_u64_u32 v[13:14], null, v5, s9, v[0:1]
	v_mov_b32_e32 v0, 0
	s_delay_alu instid0(VALU_DEP_3) | instskip(SKIP_1) | instid1(VALU_DEP_4)
	v_cmp_gt_i32_e32 vcc_lo, 32, v8
	v_cndmask_b32_e32 v14, v16, v8, vcc_lo
	v_mov_b32_e32 v8, v13
	v_cmp_gt_i32_e32 vcc_lo, 32, v17
	s_delay_alu instid0(VALU_DEP_3) | instskip(NEXT) | instid1(VALU_DEP_3)
	v_lshlrev_b32_e32 v23, 2, v14
	v_lshlrev_b64 v[7:8], 3, v[7:8]
	v_dual_cndmask_b32 v1, v16, v17 :: v_dual_lshlrev_b32 v22, 2, v6
	v_mov_b32_e32 v6, v0
	s_delay_alu instid0(VALU_DEP_2) | instskip(NEXT) | instid1(VALU_DEP_4)
	v_lshlrev_b32_e32 v24, 2, v1
	v_add_co_u32 v1, s0, s14, v7
	s_delay_alu instid0(VALU_DEP_1) | instskip(NEXT) | instid1(VALU_DEP_4)
	v_add_co_ci_u32_e64 v4, s0, s15, v8, s0
	v_cmp_gt_u64_e32 vcc_lo, s[8:9], v[5:6]
	v_add_co_u32 v6, s0, s14, v9
	v_lshlrev_b32_e32 v8, 3, v5
	v_add_co_ci_u32_e64 v7, s0, s15, v10, s0
	v_add_co_u32 v1, s0, v1, v15
	s_delay_alu instid0(VALU_DEP_1) | instskip(NEXT) | instid1(VALU_DEP_4)
	v_add_co_ci_u32_e64 v4, s0, 0, v4, s0
	v_add_co_u32 v6, s0, v6, v8
	v_or_b32_e32 v8, 32, v16
	v_add_co_ci_u32_e64 v7, s0, 0, v7, s0
	s_cselect_b32 s0, -1, 0
	v_xor_b32_e32 v9, 16, v16
	s_add_i32 s14, s1, s3
	v_cmp_gt_i32_e64 s1, 32, v8
	v_xor_b32_e32 v10, 8, v16
	v_cndmask_b32_e64 v30, v4, v7, s0
	v_mov_b32_e32 v7, v0
	v_cndmask_b32_e64 v31, v1, v6, s0
	v_cndmask_b32_e64 v8, v16, v8, s1
	v_cmp_gt_i32_e64 s1, 32, v9
	v_mov_b32_e32 v6, 0
	s_and_b32 s20, s2, vcc_lo
	s_ashr_i32 s2, s9, 31
	v_lshlrev_b32_e32 v26, 2, v8
	v_cndmask_b32_e64 v9, v16, v9, s1
	v_cmp_gt_i32_e64 s1, 32, v10
	s_sub_i32 s21, 0, s8
	s_delay_alu instid0(VALU_DEP_2) | instskip(NEXT) | instid1(VALU_DEP_2)
	v_lshlrev_b32_e32 v27, 2, v9
	v_cndmask_b32_e64 v10, v16, v10, s1
	s_add_i32 s1, s14, s3
	s_delay_alu instid0(VALU_DEP_1)
	v_lshlrev_b32_e32 v28, 2, v10
	v_mov_b32_e32 v10, 0
	v_mov_b32_e32 v11, 0
	s_branch .LBB128_10
.LBB128_8:                              ;   in Loop: Header=BB128_10 Depth=1
	s_or_b32 exec_lo, exec_lo, s3
	v_mov_b32_e32 v1, 1
.LBB128_9:                              ;   in Loop: Header=BB128_10 Depth=1
	s_or_b32 exec_lo, exec_lo, s0
	ds_bpermute_b32 v10, v26, v8
	ds_bpermute_b32 v11, v26, v9
	s_waitcnt lgkmcnt(0)
	s_waitcnt_vscnt null, 0x0
	buffer_gl0_inv
	buffer_gl0_inv
	v_add_nc_u32_e32 v3, v1, v3
	v_cmp_lt_i64_e32 vcc_lo, v[10:11], v[8:9]
	v_dual_cndmask_b32 v9, v9, v11 :: v_dual_cndmask_b32 v8, v8, v10
	ds_bpermute_b32 v11, v27, v9
	ds_bpermute_b32 v10, v27, v8
	s_waitcnt lgkmcnt(0)
	v_cmp_lt_i64_e32 vcc_lo, v[10:11], v[8:9]
	v_dual_cndmask_b32 v9, v9, v11 :: v_dual_cndmask_b32 v8, v8, v10
	ds_bpermute_b32 v11, v28, v9
	ds_bpermute_b32 v10, v28, v8
	s_waitcnt lgkmcnt(0)
	;; [unrolled: 5-line block ×5, first 2 shown]
	v_cmp_lt_i64_e32 vcc_lo, v[10:11], v[8:9]
	v_cndmask_b32_e32 v4, v8, v10, vcc_lo
	ds_bpermute_b32 v10, v29, v4
	s_waitcnt lgkmcnt(0)
	v_ashrrev_i32_e32 v11, 31, v10
	v_mov_b32_e32 v33, v10
	s_delay_alu instid0(VALU_DEP_2) | instskip(SKIP_1) | instid1(SALU_CYCLE_1)
	v_cmp_le_i64_e32 vcc_lo, s[6:7], v[10:11]
	s_or_b32 s18, vcc_lo, s18
	s_and_not1_b32 exec_lo, exec_lo, s18
	s_cbranch_execz .LBB128_25
.LBB128_10:                             ; =>This Loop Header: Depth=1
                                        ;     Child Loop BB128_13 Depth 2
	v_dual_mov_b32 v9, s7 :: v_dual_add_nc_u32 v12, v12, v5
	v_dual_mov_b32 v8, s6 :: v_dual_mov_b32 v1, v2
	s_mov_b32 s22, exec_lo
	ds_store_b8 v19, v0 offset:2048
	ds_store_b64 v21, v[6:7]
	s_waitcnt lgkmcnt(0)
	buffer_gl0_inv
	v_cmpx_lt_i32_e64 v12, v2
	s_cbranch_execz .LBB128_22
; %bb.11:                               ;   in Loop: Header=BB128_10 Depth=1
	v_mad_u64_u32 v[14:15], null, v10, s8, 0
	v_dual_mov_b32 v9, s7 :: v_dual_mov_b32 v8, s6
	v_mov_b32_e32 v4, v2
	s_mov_b32 s23, 0
	s_branch .LBB128_13
.LBB128_12:                             ;   in Loop: Header=BB128_13 Depth=2
	s_or_b32 exec_lo, exec_lo, s3
	v_add_nc_u32_e32 v12, 8, v12
	s_xor_b32 s3, vcc_lo, -1
	v_mov_b32_e32 v4, v1
	s_delay_alu instid0(VALU_DEP_2) | instskip(NEXT) | instid1(VALU_DEP_1)
	v_cmp_ge_i32_e64 s0, v12, v2
	s_or_b32 s0, s3, s0
	s_delay_alu instid0(SALU_CYCLE_1) | instskip(NEXT) | instid1(SALU_CYCLE_1)
	s_and_b32 s0, exec_lo, s0
	s_or_b32 s23, s0, s23
	s_delay_alu instid0(SALU_CYCLE_1)
	s_and_not1_b32 exec_lo, exec_lo, s23
	s_cbranch_execz .LBB128_21
.LBB128_13:                             ;   Parent Loop BB128_10 Depth=1
                                        ; =>  This Inner Loop Header: Depth=2
	v_ashrrev_i32_e32 v13, 31, v12
	s_mov_b32 s0, exec_lo
	s_delay_alu instid0(VALU_DEP_1) | instskip(NEXT) | instid1(VALU_DEP_1)
	v_lshlrev_b64 v[15:16], 3, v[12:13]
	v_add_co_u32 v17, vcc_lo, s10, v15
	s_delay_alu instid0(VALU_DEP_2) | instskip(SKIP_4) | instid1(VALU_DEP_1)
	v_add_co_ci_u32_e32 v18, vcc_lo, s11, v16, vcc_lo
	global_load_b64 v[17:18], v[17:18], off
	s_waitcnt vmcnt(0)
	v_sub_co_u32 v13, vcc_lo, v17, s16
	v_subrev_co_ci_u32_e32 v34, vcc_lo, 0, v18, vcc_lo
                                        ; implicit-def: $vgpr17_vgpr18
	v_or_b32_e32 v1, s9, v34
	s_delay_alu instid0(VALU_DEP_1)
	v_cmpx_ne_u64_e32 0, v[0:1]
	s_xor_b32 s24, exec_lo, s0
	s_cbranch_execz .LBB128_15
; %bb.14:                               ;   in Loop: Header=BB128_13 Depth=2
	s_add_u32 s14, s8, s2
	s_mov_b32 s3, s2
	s_addc_u32 s15, s9, s2
	s_delay_alu instid0(SALU_CYCLE_1) | instskip(NEXT) | instid1(SALU_CYCLE_1)
	s_xor_b64 s[14:15], s[14:15], s[2:3]
	v_cvt_f32_u32_e32 v1, s14
	v_cvt_f32_u32_e32 v17, s15
	s_sub_u32 s0, 0, s14
	s_subb_u32 s3, 0, s15
	s_delay_alu instid0(VALU_DEP_1) | instskip(NEXT) | instid1(VALU_DEP_1)
	v_fmac_f32_e32 v1, 0x4f800000, v17
	v_rcp_f32_e32 v1, v1
	s_waitcnt_depctr 0xfff
	v_mul_f32_e32 v1, 0x5f7ffffc, v1
	s_delay_alu instid0(VALU_DEP_1) | instskip(NEXT) | instid1(VALU_DEP_1)
	v_mul_f32_e32 v17, 0x2f800000, v1
	v_trunc_f32_e32 v17, v17
	s_delay_alu instid0(VALU_DEP_1) | instskip(SKIP_1) | instid1(VALU_DEP_2)
	v_fmac_f32_e32 v1, 0xcf800000, v17
	v_cvt_u32_f32_e32 v17, v17
	v_cvt_u32_f32_e32 v1, v1
	s_delay_alu instid0(VALU_DEP_2) | instskip(NEXT) | instid1(VALU_DEP_2)
	v_mul_lo_u32 v18, s0, v17
	v_mul_hi_u32 v35, s0, v1
	v_mul_lo_u32 v36, s3, v1
	s_delay_alu instid0(VALU_DEP_2) | instskip(SKIP_1) | instid1(VALU_DEP_2)
	v_add_nc_u32_e32 v18, v35, v18
	v_mul_lo_u32 v35, s0, v1
	v_add_nc_u32_e32 v18, v18, v36
	s_delay_alu instid0(VALU_DEP_2) | instskip(NEXT) | instid1(VALU_DEP_2)
	v_mul_hi_u32 v36, v1, v35
	v_mul_lo_u32 v37, v1, v18
	v_mul_hi_u32 v38, v1, v18
	v_mul_hi_u32 v39, v17, v35
	v_mul_lo_u32 v35, v17, v35
	v_mul_hi_u32 v40, v17, v18
	v_mul_lo_u32 v18, v17, v18
	v_add_co_u32 v36, vcc_lo, v36, v37
	v_add_co_ci_u32_e32 v37, vcc_lo, 0, v38, vcc_lo
	s_delay_alu instid0(VALU_DEP_2) | instskip(NEXT) | instid1(VALU_DEP_2)
	v_add_co_u32 v35, vcc_lo, v36, v35
	v_add_co_ci_u32_e32 v35, vcc_lo, v37, v39, vcc_lo
	v_add_co_ci_u32_e32 v36, vcc_lo, 0, v40, vcc_lo
	v_ashrrev_i32_e32 v39, 31, v34
	s_delay_alu instid0(VALU_DEP_3) | instskip(NEXT) | instid1(VALU_DEP_3)
	v_add_co_u32 v18, vcc_lo, v35, v18
	v_add_co_ci_u32_e32 v35, vcc_lo, 0, v36, vcc_lo
	s_delay_alu instid0(VALU_DEP_2) | instskip(NEXT) | instid1(VALU_DEP_2)
	v_add_co_u32 v1, vcc_lo, v1, v18
	v_add_co_ci_u32_e32 v17, vcc_lo, v17, v35, vcc_lo
	s_delay_alu instid0(VALU_DEP_2) | instskip(SKIP_1) | instid1(VALU_DEP_3)
	v_mul_hi_u32 v18, s0, v1
	v_mul_lo_u32 v36, s3, v1
	v_mul_lo_u32 v35, s0, v17
	s_delay_alu instid0(VALU_DEP_1) | instskip(SKIP_1) | instid1(VALU_DEP_2)
	v_add_nc_u32_e32 v18, v18, v35
	v_mul_lo_u32 v35, s0, v1
	v_add_nc_u32_e32 v18, v18, v36
	s_delay_alu instid0(VALU_DEP_2) | instskip(NEXT) | instid1(VALU_DEP_2)
	v_mul_hi_u32 v36, v1, v35
	v_mul_lo_u32 v37, v1, v18
	v_mul_hi_u32 v38, v1, v18
	v_mul_hi_u32 v40, v17, v35
	v_mul_lo_u32 v35, v17, v35
	v_mul_hi_u32 v41, v17, v18
	v_mul_lo_u32 v18, v17, v18
	v_add_co_u32 v36, vcc_lo, v36, v37
	v_add_co_ci_u32_e32 v37, vcc_lo, 0, v38, vcc_lo
	s_delay_alu instid0(VALU_DEP_2) | instskip(NEXT) | instid1(VALU_DEP_2)
	v_add_co_u32 v35, vcc_lo, v36, v35
	v_add_co_ci_u32_e32 v35, vcc_lo, v37, v40, vcc_lo
	v_add_co_ci_u32_e32 v36, vcc_lo, 0, v41, vcc_lo
	v_add_co_u32 v37, vcc_lo, v13, v39
	v_add_co_ci_u32_e32 v34, vcc_lo, v34, v39, vcc_lo
	s_delay_alu instid0(VALU_DEP_4) | instskip(NEXT) | instid1(VALU_DEP_4)
	v_add_co_u32 v18, vcc_lo, v35, v18
	v_add_co_ci_u32_e32 v35, vcc_lo, 0, v36, vcc_lo
	s_delay_alu instid0(VALU_DEP_4) | instskip(NEXT) | instid1(VALU_DEP_3)
	v_xor_b32_e32 v38, v37, v39
	v_add_co_u32 v1, vcc_lo, v1, v18
	s_delay_alu instid0(VALU_DEP_3) | instskip(SKIP_1) | instid1(VALU_DEP_3)
	v_add_co_ci_u32_e32 v40, vcc_lo, v17, v35, vcc_lo
	v_xor_b32_e32 v41, v34, v39
	v_mul_hi_u32 v42, v38, v1
	s_delay_alu instid0(VALU_DEP_3) | instskip(NEXT) | instid1(VALU_DEP_3)
	v_mad_u64_u32 v[17:18], null, v38, v40, 0
	v_mad_u64_u32 v[34:35], null, v41, v1, 0
	;; [unrolled: 1-line block ×3, first 2 shown]
	s_delay_alu instid0(VALU_DEP_3) | instskip(NEXT) | instid1(VALU_DEP_4)
	v_add_co_u32 v1, vcc_lo, v42, v17
	v_add_co_ci_u32_e32 v17, vcc_lo, 0, v18, vcc_lo
	s_delay_alu instid0(VALU_DEP_2) | instskip(NEXT) | instid1(VALU_DEP_2)
	v_add_co_u32 v1, vcc_lo, v1, v34
	v_add_co_ci_u32_e32 v1, vcc_lo, v17, v35, vcc_lo
	v_add_co_ci_u32_e32 v17, vcc_lo, 0, v37, vcc_lo
	s_delay_alu instid0(VALU_DEP_2) | instskip(NEXT) | instid1(VALU_DEP_2)
	v_add_co_u32 v1, vcc_lo, v1, v36
	v_add_co_ci_u32_e32 v34, vcc_lo, 0, v17, vcc_lo
	s_delay_alu instid0(VALU_DEP_2) | instskip(SKIP_1) | instid1(VALU_DEP_3)
	v_mul_lo_u32 v35, s15, v1
	v_mad_u64_u32 v[17:18], null, s14, v1, 0
	v_mul_lo_u32 v36, s14, v34
	s_delay_alu instid0(VALU_DEP_2) | instskip(NEXT) | instid1(VALU_DEP_2)
	v_sub_co_u32 v17, vcc_lo, v38, v17
	v_add3_u32 v18, v18, v36, v35
	s_delay_alu instid0(VALU_DEP_1) | instskip(NEXT) | instid1(VALU_DEP_1)
	v_sub_nc_u32_e32 v35, v41, v18
	v_subrev_co_ci_u32_e64 v35, s0, s15, v35, vcc_lo
	v_add_co_u32 v36, s0, v1, 2
	s_delay_alu instid0(VALU_DEP_1) | instskip(SKIP_3) | instid1(VALU_DEP_3)
	v_add_co_ci_u32_e64 v37, s0, 0, v34, s0
	v_sub_co_u32 v38, s0, v17, s14
	v_sub_co_ci_u32_e32 v18, vcc_lo, v41, v18, vcc_lo
	v_subrev_co_ci_u32_e64 v35, s0, 0, v35, s0
	v_cmp_le_u32_e32 vcc_lo, s14, v38
	s_delay_alu instid0(VALU_DEP_3) | instskip(SKIP_1) | instid1(VALU_DEP_4)
	v_cmp_eq_u32_e64 s0, s15, v18
	v_cndmask_b32_e64 v38, 0, -1, vcc_lo
	v_cmp_le_u32_e32 vcc_lo, s15, v35
	v_cndmask_b32_e64 v40, 0, -1, vcc_lo
	v_cmp_le_u32_e32 vcc_lo, s14, v17
	;; [unrolled: 2-line block ×3, first 2 shown]
	v_cndmask_b32_e64 v41, 0, -1, vcc_lo
	v_cmp_eq_u32_e32 vcc_lo, s15, v35
	s_delay_alu instid0(VALU_DEP_2) | instskip(SKIP_3) | instid1(VALU_DEP_3)
	v_cndmask_b32_e64 v17, v41, v17, s0
	v_cndmask_b32_e32 v35, v40, v38, vcc_lo
	v_add_co_u32 v38, vcc_lo, v1, 1
	v_add_co_ci_u32_e32 v40, vcc_lo, 0, v34, vcc_lo
	v_cmp_ne_u32_e32 vcc_lo, 0, v35
	s_delay_alu instid0(VALU_DEP_2) | instskip(SKIP_2) | instid1(VALU_DEP_3)
	v_dual_cndmask_b32 v18, v40, v37 :: v_dual_cndmask_b32 v35, v38, v36
	v_cmp_ne_u32_e32 vcc_lo, 0, v17
	v_xor_b32_e32 v36, s2, v39
	v_cndmask_b32_e32 v1, v1, v35, vcc_lo
	s_delay_alu instid0(VALU_DEP_4) | instskip(NEXT) | instid1(VALU_DEP_2)
	v_cndmask_b32_e32 v17, v34, v18, vcc_lo
	v_xor_b32_e32 v1, v1, v36
	s_delay_alu instid0(VALU_DEP_2) | instskip(NEXT) | instid1(VALU_DEP_2)
	v_xor_b32_e32 v18, v17, v36
	v_sub_co_u32 v17, vcc_lo, v1, v36
	s_delay_alu instid0(VALU_DEP_2)
	v_sub_co_ci_u32_e32 v18, vcc_lo, v18, v36, vcc_lo
.LBB128_15:                             ;   in Loop: Header=BB128_13 Depth=2
	s_and_not1_saveexec_b32 s0, s24
	s_cbranch_execz .LBB128_17
; %bb.16:                               ;   in Loop: Header=BB128_13 Depth=2
	v_cvt_f32_u32_e32 v1, s8
	s_delay_alu instid0(VALU_DEP_1) | instskip(SKIP_2) | instid1(VALU_DEP_1)
	v_rcp_iflag_f32_e32 v1, v1
	s_waitcnt_depctr 0xfff
	v_mul_f32_e32 v1, 0x4f7ffffe, v1
	v_cvt_u32_f32_e32 v1, v1
	s_delay_alu instid0(VALU_DEP_1) | instskip(NEXT) | instid1(VALU_DEP_1)
	v_mul_lo_u32 v17, s21, v1
	v_mul_hi_u32 v17, v1, v17
	s_delay_alu instid0(VALU_DEP_1) | instskip(NEXT) | instid1(VALU_DEP_1)
	v_add_nc_u32_e32 v1, v1, v17
	v_mul_hi_u32 v1, v13, v1
	s_delay_alu instid0(VALU_DEP_1) | instskip(NEXT) | instid1(VALU_DEP_1)
	v_mul_lo_u32 v17, v1, s8
	v_sub_nc_u32_e32 v17, v13, v17
	s_delay_alu instid0(VALU_DEP_1) | instskip(SKIP_1) | instid1(VALU_DEP_2)
	v_subrev_nc_u32_e32 v34, s8, v17
	v_cmp_le_u32_e32 vcc_lo, s8, v17
	v_dual_cndmask_b32 v17, v17, v34 :: v_dual_add_nc_u32 v18, 1, v1
	s_delay_alu instid0(VALU_DEP_1) | instskip(NEXT) | instid1(VALU_DEP_2)
	v_cndmask_b32_e32 v1, v1, v18, vcc_lo
	v_cmp_le_u32_e32 vcc_lo, s8, v17
	s_delay_alu instid0(VALU_DEP_2) | instskip(NEXT) | instid1(VALU_DEP_1)
	v_add_nc_u32_e32 v18, 1, v1
	v_dual_cndmask_b32 v17, v1, v18 :: v_dual_mov_b32 v18, v0
.LBB128_17:                             ;   in Loop: Header=BB128_13 Depth=2
	s_or_b32 exec_lo, exec_lo, s0
	s_delay_alu instid0(VALU_DEP_1)
	v_cmp_eq_u64_e32 vcc_lo, v[17:18], v[10:11]
	s_mov_b32 s3, exec_lo
	v_cmpx_ne_u64_e64 v[17:18], v[10:11]
	s_xor_b32 s3, exec_lo, s3
; %bb.18:                               ;   in Loop: Header=BB128_13 Depth=2
	v_cmp_lt_i64_e64 s0, v[17:18], v[8:9]
                                        ; implicit-def: $vgpr15_vgpr16
                                        ; implicit-def: $vgpr13
                                        ; implicit-def: $vgpr4
	s_delay_alu instid0(VALU_DEP_1)
	v_cndmask_b32_e64 v9, v9, v18, s0
	v_cndmask_b32_e64 v8, v8, v17, s0
; %bb.19:                               ;   in Loop: Header=BB128_13 Depth=2
	s_or_saveexec_b32 s3, s3
	v_mov_b32_e32 v1, v12
	s_xor_b32 exec_lo, exec_lo, s3
	s_cbranch_execz .LBB128_12
; %bb.20:                               ;   in Loop: Header=BB128_13 Depth=2
	v_add_co_u32 v15, s0, s12, v15
	s_delay_alu instid0(VALU_DEP_1)
	v_add_co_ci_u32_e64 v16, s0, s13, v16, s0
	v_sub_nc_u32_e32 v1, v13, v14
	global_load_b64 v[15:16], v[15:16], off
	v_add_lshl_u32 v13, v20, v1, 3
	v_mov_b32_e32 v1, v4
	ds_store_b8 v19, v32 offset:2048
	s_waitcnt vmcnt(0)
	ds_store_b64 v13, v[15:16]
	s_branch .LBB128_12
.LBB128_21:                             ;   in Loop: Header=BB128_10 Depth=1
	s_or_b32 exec_lo, exec_lo, s23
.LBB128_22:                             ;   in Loop: Header=BB128_10 Depth=1
	s_delay_alu instid0(SALU_CYCLE_1)
	s_or_b32 exec_lo, exec_lo, s22
	ds_bpermute_b32 v4, v22, v1
	s_waitcnt lgkmcnt(0)
	buffer_gl0_inv
	ds_load_u8 v10, v19 offset:2048
	v_min_i32_e32 v1, v4, v1
	ds_bpermute_b32 v4, v23, v1
	s_waitcnt lgkmcnt(0)
	v_min_i32_e32 v1, v4, v1
	ds_bpermute_b32 v4, v24, v1
	s_waitcnt lgkmcnt(0)
	v_min_i32_e32 v1, v4, v1
	ds_bpermute_b32 v12, v25, v1
	v_and_b32_e32 v1, 1, v10
	s_delay_alu instid0(VALU_DEP_1)
	v_cmp_eq_u32_e32 vcc_lo, 1, v1
	v_mov_b32_e32 v1, 0
	s_and_saveexec_b32 s0, vcc_lo
	s_cbranch_execz .LBB128_9
; %bb.23:                               ;   in Loop: Header=BB128_10 Depth=1
	v_ashrrev_i32_e32 v4, 31, v3
	v_add_nc_u32_e32 v10, s17, v33
	s_delay_alu instid0(VALU_DEP_2) | instskip(NEXT) | instid1(VALU_DEP_2)
	v_lshlrev_b64 v[13:14], 3, v[3:4]
	v_ashrrev_i32_e32 v11, 31, v10
	s_delay_alu instid0(VALU_DEP_2) | instskip(NEXT) | instid1(VALU_DEP_3)
	v_add_co_u32 v13, vcc_lo, s4, v13
	v_add_co_ci_u32_e32 v14, vcc_lo, s5, v14, vcc_lo
	global_store_b64 v[13:14], v[10:11], off
	s_and_saveexec_b32 s3, s20
	s_cbranch_execz .LBB128_8
; %bb.24:                               ;   in Loop: Header=BB128_10 Depth=1
	v_mul_lo_u32 v1, s1, v3
	v_mul_lo_u32 v4, s19, v4
	v_mad_u64_u32 v[10:11], null, s19, v3, 0
	ds_load_b64 v[13:14], v21
	v_add3_u32 v11, v11, v4, v1
	s_delay_alu instid0(VALU_DEP_1) | instskip(NEXT) | instid1(VALU_DEP_1)
	v_lshlrev_b64 v[10:11], 3, v[10:11]
	v_add_co_u32 v10, vcc_lo, v31, v10
	s_delay_alu instid0(VALU_DEP_2)
	v_add_co_ci_u32_e32 v11, vcc_lo, v30, v11, vcc_lo
	s_waitcnt lgkmcnt(0)
	global_store_b64 v[10:11], v[13:14], off
	s_branch .LBB128_8
.LBB128_25:
	s_endpgm
	.section	.rodata,"a",@progbits
	.p2align	6, 0x0
	.amdhsa_kernel _ZN9rocsparseL42csr2bsr_wavefront_per_row_multipass_kernelILj256ELj64ELj8EdilEEv20rocsparse_direction_T4_S2_S2_S2_S2_21rocsparse_index_base_PKT2_PKT3_PKS2_S3_PS4_PS7_PS2_
		.amdhsa_group_segment_fixed_size 2056
		.amdhsa_private_segment_fixed_size 0
		.amdhsa_kernarg_size 112
		.amdhsa_user_sgpr_count 15
		.amdhsa_user_sgpr_dispatch_ptr 0
		.amdhsa_user_sgpr_queue_ptr 0
		.amdhsa_user_sgpr_kernarg_segment_ptr 1
		.amdhsa_user_sgpr_dispatch_id 0
		.amdhsa_user_sgpr_private_segment_size 0
		.amdhsa_wavefront_size32 1
		.amdhsa_uses_dynamic_stack 0
		.amdhsa_enable_private_segment 0
		.amdhsa_system_sgpr_workgroup_id_x 1
		.amdhsa_system_sgpr_workgroup_id_y 0
		.amdhsa_system_sgpr_workgroup_id_z 0
		.amdhsa_system_sgpr_workgroup_info 0
		.amdhsa_system_vgpr_workitem_id 0
		.amdhsa_next_free_vgpr 43
		.amdhsa_next_free_sgpr 25
		.amdhsa_reserve_vcc 1
		.amdhsa_float_round_mode_32 0
		.amdhsa_float_round_mode_16_64 0
		.amdhsa_float_denorm_mode_32 3
		.amdhsa_float_denorm_mode_16_64 3
		.amdhsa_dx10_clamp 1
		.amdhsa_ieee_mode 1
		.amdhsa_fp16_overflow 0
		.amdhsa_workgroup_processor_mode 1
		.amdhsa_memory_ordered 1
		.amdhsa_forward_progress 0
		.amdhsa_shared_vgpr_count 0
		.amdhsa_exception_fp_ieee_invalid_op 0
		.amdhsa_exception_fp_denorm_src 0
		.amdhsa_exception_fp_ieee_div_zero 0
		.amdhsa_exception_fp_ieee_overflow 0
		.amdhsa_exception_fp_ieee_underflow 0
		.amdhsa_exception_fp_ieee_inexact 0
		.amdhsa_exception_int_div_zero 0
	.end_amdhsa_kernel
	.section	.text._ZN9rocsparseL42csr2bsr_wavefront_per_row_multipass_kernelILj256ELj64ELj8EdilEEv20rocsparse_direction_T4_S2_S2_S2_S2_21rocsparse_index_base_PKT2_PKT3_PKS2_S3_PS4_PS7_PS2_,"axG",@progbits,_ZN9rocsparseL42csr2bsr_wavefront_per_row_multipass_kernelILj256ELj64ELj8EdilEEv20rocsparse_direction_T4_S2_S2_S2_S2_21rocsparse_index_base_PKT2_PKT3_PKS2_S3_PS4_PS7_PS2_,comdat
.Lfunc_end128:
	.size	_ZN9rocsparseL42csr2bsr_wavefront_per_row_multipass_kernelILj256ELj64ELj8EdilEEv20rocsparse_direction_T4_S2_S2_S2_S2_21rocsparse_index_base_PKT2_PKT3_PKS2_S3_PS4_PS7_PS2_, .Lfunc_end128-_ZN9rocsparseL42csr2bsr_wavefront_per_row_multipass_kernelILj256ELj64ELj8EdilEEv20rocsparse_direction_T4_S2_S2_S2_S2_21rocsparse_index_base_PKT2_PKT3_PKS2_S3_PS4_PS7_PS2_
                                        ; -- End function
	.section	.AMDGPU.csdata,"",@progbits
; Kernel info:
; codeLenInByte = 2692
; NumSgprs: 27
; NumVgprs: 43
; ScratchSize: 0
; MemoryBound: 0
; FloatMode: 240
; IeeeMode: 1
; LDSByteSize: 2056 bytes/workgroup (compile time only)
; SGPRBlocks: 3
; VGPRBlocks: 5
; NumSGPRsForWavesPerEU: 27
; NumVGPRsForWavesPerEU: 43
; Occupancy: 16
; WaveLimiterHint : 0
; COMPUTE_PGM_RSRC2:SCRATCH_EN: 0
; COMPUTE_PGM_RSRC2:USER_SGPR: 15
; COMPUTE_PGM_RSRC2:TRAP_HANDLER: 0
; COMPUTE_PGM_RSRC2:TGID_X_EN: 1
; COMPUTE_PGM_RSRC2:TGID_Y_EN: 0
; COMPUTE_PGM_RSRC2:TGID_Z_EN: 0
; COMPUTE_PGM_RSRC2:TIDIG_COMP_CNT: 0
	.section	.text._ZN9rocsparseL42csr2bsr_wavefront_per_row_multipass_kernelILj256ELj32ELj8EdilEEv20rocsparse_direction_T4_S2_S2_S2_S2_21rocsparse_index_base_PKT2_PKT3_PKS2_S3_PS4_PS7_PS2_,"axG",@progbits,_ZN9rocsparseL42csr2bsr_wavefront_per_row_multipass_kernelILj256ELj32ELj8EdilEEv20rocsparse_direction_T4_S2_S2_S2_S2_21rocsparse_index_base_PKT2_PKT3_PKS2_S3_PS4_PS7_PS2_,comdat
	.globl	_ZN9rocsparseL42csr2bsr_wavefront_per_row_multipass_kernelILj256ELj32ELj8EdilEEv20rocsparse_direction_T4_S2_S2_S2_S2_21rocsparse_index_base_PKT2_PKT3_PKS2_S3_PS4_PS7_PS2_ ; -- Begin function _ZN9rocsparseL42csr2bsr_wavefront_per_row_multipass_kernelILj256ELj32ELj8EdilEEv20rocsparse_direction_T4_S2_S2_S2_S2_21rocsparse_index_base_PKT2_PKT3_PKS2_S3_PS4_PS7_PS2_
	.p2align	8
	.type	_ZN9rocsparseL42csr2bsr_wavefront_per_row_multipass_kernelILj256ELj32ELj8EdilEEv20rocsparse_direction_T4_S2_S2_S2_S2_21rocsparse_index_base_PKT2_PKT3_PKS2_S3_PS4_PS7_PS2_,@function
_ZN9rocsparseL42csr2bsr_wavefront_per_row_multipass_kernelILj256ELj32ELj8EdilEEv20rocsparse_direction_T4_S2_S2_S2_S2_21rocsparse_index_base_PKT2_PKT3_PKS2_S3_PS4_PS7_PS2_: ; @_ZN9rocsparseL42csr2bsr_wavefront_per_row_multipass_kernelILj256ELj32ELj8EdilEEv20rocsparse_direction_T4_S2_S2_S2_S2_21rocsparse_index_base_PKT2_PKT3_PKS2_S3_PS4_PS7_PS2_
; %bb.0:
	s_load_b64 s[8:9], s[0:1], 0x28
	v_lshrrev_b32_e32 v24, 5, v0
	s_mov_b32 s10, s15
	s_ashr_i32 s11, s15, 31
	s_clause 0x1
	s_load_b64 s[14:15], s[0:1], 0x8
	s_load_b128 s[4:7], s[0:1], 0x18
	s_lshl_b64 s[2:3], s[10:11], 3
	v_mov_b32_e32 v2, 0
	v_or_b32_e32 v5, s2, v24
	v_bfe_u32 v1, v0, 2, 3
	s_clause 0x1
	s_load_b32 s18, s[0:1], 0x30
	s_load_b64 s[12:13], s[0:1], 0x40
	s_waitcnt lgkmcnt(0)
	v_mul_lo_u32 v6, v5, s9
	v_mad_u64_u32 v[3:4], null, v5, s8, v[1:2]
	s_mul_i32 s2, s3, s8
	s_delay_alu instid0(VALU_DEP_1) | instid1(SALU_CYCLE_1)
	v_add3_u32 v4, s2, v4, v6
	v_cmp_gt_i64_e64 s2, s[8:9], v[1:2]
	v_mov_b32_e32 v6, v2
	s_delay_alu instid0(VALU_DEP_3) | instskip(NEXT) | instid1(VALU_DEP_3)
	v_cmp_gt_i64_e32 vcc_lo, s[14:15], v[3:4]
	s_and_b32 s3, s2, vcc_lo
	s_delay_alu instid0(SALU_CYCLE_1)
	s_and_saveexec_b32 s11, s3
	s_cbranch_execz .LBB129_2
; %bb.1:
	v_lshlrev_b64 v[5:6], 2, v[3:4]
	s_delay_alu instid0(VALU_DEP_1) | instskip(NEXT) | instid1(VALU_DEP_2)
	v_add_co_u32 v5, vcc_lo, s12, v5
	v_add_co_ci_u32_e32 v6, vcc_lo, s13, v6, vcc_lo
	global_load_b32 v5, v[5:6], off
	s_waitcnt vmcnt(0)
	v_subrev_nc_u32_e32 v6, s18, v5
.LBB129_2:
	s_or_b32 exec_lo, exec_lo, s11
	s_and_saveexec_b32 s11, s3
	s_cbranch_execz .LBB129_4
; %bb.3:
	v_lshlrev_b64 v[2:3], 2, v[3:4]
	s_delay_alu instid0(VALU_DEP_1) | instskip(NEXT) | instid1(VALU_DEP_2)
	v_add_co_u32 v2, vcc_lo, s12, v2
	v_add_co_ci_u32_e32 v3, vcc_lo, s13, v3, vcc_lo
	global_load_b32 v2, v[2:3], off offset:4
	s_waitcnt vmcnt(0)
	v_subrev_nc_u32_e32 v2, s18, v2
.LBB129_4:
	s_or_b32 exec_lo, exec_lo, s11
	s_load_b32 s19, s[0:1], 0x50
	v_mov_b32_e32 v5, 0
	v_lshl_or_b32 v4, s10, 3, v24
	s_mov_b32 s3, exec_lo
	s_delay_alu instid0(VALU_DEP_2) | instskip(NEXT) | instid1(VALU_DEP_2)
	v_mov_b32_e32 v3, v5
	v_cmpx_gt_i64_e64 s[4:5], v[4:5]
	s_cbranch_execz .LBB129_6
; %bb.5:
	s_load_b64 s[4:5], s[0:1], 0x60
	v_lshlrev_b64 v[3:4], 2, v[4:5]
	s_waitcnt lgkmcnt(0)
	s_delay_alu instid0(VALU_DEP_1) | instskip(NEXT) | instid1(VALU_DEP_2)
	v_add_co_u32 v3, vcc_lo, s4, v3
	v_add_co_ci_u32_e32 v4, vcc_lo, s5, v4, vcc_lo
	global_load_b32 v3, v[3:4], off
	s_waitcnt vmcnt(0)
	v_subrev_nc_u32_e32 v3, s19, v3
.LBB129_6:
	s_or_b32 exec_lo, exec_lo, s3
	v_cmp_lt_i64_e64 s3, s[6:7], 1
	s_delay_alu instid0(VALU_DEP_1)
	s_and_b32 vcc_lo, exec_lo, s3
	s_cbranch_vccnz .LBB129_34
; %bb.7:
	v_mbcnt_lo_u32_b32 v10, -1, 0
	v_mad_u64_u32 v[7:8], null, v1, s8, 0
	s_mul_i32 s3, s8, s9
	s_mul_hi_u32 s4, s8, s8
	s_delay_alu instid0(VALU_DEP_2)
	v_xor_b32_e32 v9, 2, v10
	v_xor_b32_e32 v12, 1, v10
	s_add_i32 s10, s4, s3
	s_clause 0x1
	s_load_b64 s[4:5], s[0:1], 0x68
	s_load_b64 s[16:17], s[0:1], 0x58
	v_cmp_gt_i32_e32 vcc_lo, 32, v9
	v_dual_mov_b32 v4, v8 :: v_dual_lshlrev_b32 v11, 3, v1
	v_xor_b32_e32 v15, 4, v10
	s_clause 0x2
	s_load_b64 s[12:13], s[0:1], 0x48
	s_load_b64 s[14:15], s[0:1], 0x38
	s_load_b32 s0, s[0:1], 0x0
	v_dual_cndmask_b32 v13, v10, v9 :: v_dual_and_b32 v0, 3, v0
	v_cmp_gt_i32_e32 vcc_lo, 32, v12
	v_mov_b32_e32 v5, 0
	v_lshl_or_b32 v27, v24, 6, v11
	s_delay_alu instid0(VALU_DEP_4)
	v_lshlrev_b32_e32 v28, 2, v13
	s_add_i32 s20, s10, s3
	v_cndmask_b32_e32 v12, v10, v12, vcc_lo
	v_mad_u64_u32 v[8:9], null, v1, s9, v[4:5]
	v_xor_b32_e32 v1, 16, v10
	v_xor_b32_e32 v4, 8, v10
	v_or_b32_e32 v9, 4, v0
	s_mov_b32 s10, 0
	s_waitcnt lgkmcnt(0)
	v_add_co_u32 v25, s1, s16, v11
	v_cmp_gt_i32_e32 vcc_lo, 32, v1
	v_lshlrev_b64 v[7:8], 3, v[7:8]
	v_mad_u64_u32 v[13:14], null, v9, s8, 0
	v_lshl_or_b32 v30, v10, 2, 12
	v_cndmask_b32_e32 v1, v10, v1, vcc_lo
	v_cmp_gt_i32_e32 vcc_lo, 32, v4
	s_mov_b32 s11, s10
	s_cmp_lg_u32 s0, 0
	v_add_co_ci_u32_e64 v26, null, s17, 0, s1
	v_cndmask_b32_e32 v4, v10, v4, vcc_lo
	v_add_co_u32 v31, vcc_lo, s16, v7
	v_add_co_ci_u32_e32 v32, vcc_lo, s17, v8, vcc_lo
	v_cmp_gt_i32_e32 vcc_lo, 32, v15
	v_lshlrev_b32_e32 v29, 2, v12
	v_mad_u64_u32 v[11:12], null, v0, s8, 0
	v_lshlrev_b32_e32 v34, 2, v4
	v_cndmask_b32_e32 v8, v10, v15, vcc_lo
	v_mov_b32_e32 v7, v14
	v_lshlrev_b32_e32 v33, 2, v1
	v_mov_b32_e32 v1, v5
	v_mov_b32_e32 v10, v5
	;; [unrolled: 1-line block ×3, first 2 shown]
	v_or_b32_e32 v12, v27, v0
	v_lshlrev_b32_e32 v35, 2, v8
	v_cmp_gt_u64_e32 vcc_lo, s[8:9], v[0:1]
	v_mov_b32_e32 v1, 0x7c
	v_mad_u64_u32 v[14:15], null, v0, s9, v[4:5]
	v_lshlrev_b32_e32 v36, 3, v12
	v_mad_u64_u32 v[15:16], null, v9, s9, v[7:8]
	v_cmp_gt_u64_e64 s0, s[8:9], v[9:10]
	v_dual_mov_b32 v7, s10 :: v_dual_mov_b32 v8, s11
	v_dual_mov_b32 v12, v14 :: v_dual_mov_b32 v37, 1
	v_mov_b32_e32 v38, 0
	v_dual_mov_b32 v14, v15 :: v_dual_mov_b32 v15, 0
	s_delay_alu instid0(VALU_DEP_3) | instskip(SKIP_2) | instid1(VALU_DEP_3)
	v_lshlrev_b64 v[9:10], 3, v[11:12]
	v_mov_b32_e32 v16, 0
	s_mul_i32 s21, s8, s8
	v_lshlrev_b64 v[11:12], 3, v[13:14]
	s_cselect_b32 s1, -1, 0
	s_and_b32 s22, s2, vcc_lo
	s_and_b32 s11, s2, s0
	s_ashr_i32 s2, s9, 31
	s_sub_i32 s23, 0, s8
	s_branch .LBB129_11
.LBB129_8:                              ;   in Loop: Header=BB129_11 Depth=1
	v_mov_b32_e32 v17, s16
.LBB129_9:                              ;   in Loop: Header=BB129_11 Depth=1
	s_or_b32 exec_lo, exec_lo, s3
.LBB129_10:                             ;   in Loop: Header=BB129_11 Depth=1
	s_delay_alu instid0(SALU_CYCLE_1)
	s_or_b32 exec_lo, exec_lo, s0
	ds_bpermute_b32 v15, v33, v13
	ds_bpermute_b32 v16, v33, v14
	s_waitcnt lgkmcnt(0)
	s_waitcnt_vscnt null, 0x0
	buffer_gl0_inv
	buffer_gl0_inv
	v_cmp_lt_i64_e32 vcc_lo, v[15:16], v[13:14]
	v_dual_cndmask_b32 v14, v14, v16 :: v_dual_cndmask_b32 v13, v13, v15
	ds_bpermute_b32 v16, v34, v14
	ds_bpermute_b32 v15, v34, v13
	s_waitcnt lgkmcnt(0)
	v_cmp_lt_i64_e32 vcc_lo, v[15:16], v[13:14]
	v_dual_cndmask_b32 v14, v14, v16 :: v_dual_cndmask_b32 v13, v13, v15
	ds_bpermute_b32 v16, v35, v14
	ds_bpermute_b32 v15, v35, v13
	s_waitcnt lgkmcnt(0)
	;; [unrolled: 5-line block ×4, first 2 shown]
	v_cmp_lt_i64_e32 vcc_lo, v[15:16], v[13:14]
	v_cndmask_b32_e32 v4, v13, v15, vcc_lo
	ds_bpermute_b32 v15, v1, v4
	s_waitcnt lgkmcnt(0)
	v_dual_mov_b32 v38, v15 :: v_dual_add_nc_u32 v3, v17, v3
	v_ashrrev_i32_e32 v16, 31, v15
	s_delay_alu instid0(VALU_DEP_1) | instskip(SKIP_1) | instid1(SALU_CYCLE_1)
	v_cmp_le_i64_e32 vcc_lo, s[6:7], v[15:16]
	s_or_b32 s10, vcc_lo, s10
	s_and_not1_b32 exec_lo, exec_lo, s10
	s_cbranch_execz .LBB129_34
.LBB129_11:                             ; =>This Loop Header: Depth=1
                                        ;     Child Loop BB129_14 Depth 2
	v_dual_mov_b32 v14, s7 :: v_dual_add_nc_u32 v17, v6, v0
	v_dual_mov_b32 v13, s6 :: v_dual_mov_b32 v6, v2
	s_mov_b32 s24, exec_lo
	ds_store_b8 v24, v5 offset:4096
	ds_store_2addr_b64 v36, v[7:8], v[7:8] offset1:4
	s_waitcnt lgkmcnt(0)
	buffer_gl0_inv
	v_cmpx_lt_i32_e64 v17, v2
	s_cbranch_execz .LBB129_23
; %bb.12:                               ;   in Loop: Header=BB129_11 Depth=1
	v_mad_u64_u32 v[19:20], null, v15, s8, 0
	v_dual_mov_b32 v14, s7 :: v_dual_mov_b32 v13, s6
	v_mov_b32_e32 v4, v2
	s_mov_b32 s25, 0
	s_branch .LBB129_14
.LBB129_13:                             ;   in Loop: Header=BB129_14 Depth=2
	s_or_b32 exec_lo, exec_lo, s3
	s_delay_alu instid0(VALU_DEP_1) | instskip(SKIP_1) | instid1(VALU_DEP_1)
	v_dual_mov_b32 v4, v6 :: v_dual_add_nc_u32 v17, 4, v17
	s_xor_b32 s3, vcc_lo, -1
	v_cmp_ge_i32_e64 s0, v17, v2
	s_delay_alu instid0(VALU_DEP_1) | instskip(NEXT) | instid1(SALU_CYCLE_1)
	s_or_b32 s0, s3, s0
	s_and_b32 s0, exec_lo, s0
	s_delay_alu instid0(SALU_CYCLE_1) | instskip(NEXT) | instid1(SALU_CYCLE_1)
	s_or_b32 s25, s0, s25
	s_and_not1_b32 exec_lo, exec_lo, s25
	s_cbranch_execz .LBB129_22
.LBB129_14:                             ;   Parent Loop BB129_11 Depth=1
                                        ; =>  This Inner Loop Header: Depth=2
	v_ashrrev_i32_e32 v18, 31, v17
	s_mov_b32 s0, exec_lo
	s_delay_alu instid0(VALU_DEP_1) | instskip(NEXT) | instid1(VALU_DEP_1)
	v_lshlrev_b64 v[20:21], 3, v[17:18]
	v_add_co_u32 v22, vcc_lo, s12, v20
	s_delay_alu instid0(VALU_DEP_2) | instskip(SKIP_4) | instid1(VALU_DEP_1)
	v_add_co_ci_u32_e32 v23, vcc_lo, s13, v21, vcc_lo
	global_load_b64 v[22:23], v[22:23], off
	s_waitcnt vmcnt(0)
	v_sub_co_u32 v18, vcc_lo, v22, s18
	v_subrev_co_ci_u32_e32 v39, vcc_lo, 0, v23, vcc_lo
                                        ; implicit-def: $vgpr22_vgpr23
	v_or_b32_e32 v6, s9, v39
	s_delay_alu instid0(VALU_DEP_1)
	v_cmpx_ne_u64_e32 0, v[5:6]
	s_xor_b32 s26, exec_lo, s0
	s_cbranch_execz .LBB129_16
; %bb.15:                               ;   in Loop: Header=BB129_14 Depth=2
	s_add_u32 s16, s8, s2
	s_mov_b32 s3, s2
	s_addc_u32 s17, s9, s2
	s_delay_alu instid0(SALU_CYCLE_1) | instskip(NEXT) | instid1(SALU_CYCLE_1)
	s_xor_b64 s[16:17], s[16:17], s[2:3]
	v_cvt_f32_u32_e32 v6, s16
	v_cvt_f32_u32_e32 v22, s17
	s_sub_u32 s0, 0, s16
	s_subb_u32 s3, 0, s17
	s_delay_alu instid0(VALU_DEP_1) | instskip(NEXT) | instid1(VALU_DEP_1)
	v_fmac_f32_e32 v6, 0x4f800000, v22
	v_rcp_f32_e32 v6, v6
	s_waitcnt_depctr 0xfff
	v_mul_f32_e32 v6, 0x5f7ffffc, v6
	s_delay_alu instid0(VALU_DEP_1) | instskip(NEXT) | instid1(VALU_DEP_1)
	v_mul_f32_e32 v22, 0x2f800000, v6
	v_trunc_f32_e32 v22, v22
	s_delay_alu instid0(VALU_DEP_1) | instskip(SKIP_1) | instid1(VALU_DEP_2)
	v_fmac_f32_e32 v6, 0xcf800000, v22
	v_cvt_u32_f32_e32 v22, v22
	v_cvt_u32_f32_e32 v6, v6
	s_delay_alu instid0(VALU_DEP_2) | instskip(NEXT) | instid1(VALU_DEP_2)
	v_mul_lo_u32 v23, s0, v22
	v_mul_hi_u32 v40, s0, v6
	v_mul_lo_u32 v41, s3, v6
	s_delay_alu instid0(VALU_DEP_2) | instskip(SKIP_1) | instid1(VALU_DEP_2)
	v_add_nc_u32_e32 v23, v40, v23
	v_mul_lo_u32 v40, s0, v6
	v_add_nc_u32_e32 v23, v23, v41
	s_delay_alu instid0(VALU_DEP_2) | instskip(NEXT) | instid1(VALU_DEP_2)
	v_mul_hi_u32 v41, v6, v40
	v_mul_lo_u32 v42, v6, v23
	v_mul_hi_u32 v43, v6, v23
	v_mul_hi_u32 v44, v22, v40
	v_mul_lo_u32 v40, v22, v40
	v_mul_hi_u32 v45, v22, v23
	v_mul_lo_u32 v23, v22, v23
	v_add_co_u32 v41, vcc_lo, v41, v42
	v_add_co_ci_u32_e32 v42, vcc_lo, 0, v43, vcc_lo
	s_delay_alu instid0(VALU_DEP_2) | instskip(NEXT) | instid1(VALU_DEP_2)
	v_add_co_u32 v40, vcc_lo, v41, v40
	v_add_co_ci_u32_e32 v40, vcc_lo, v42, v44, vcc_lo
	v_add_co_ci_u32_e32 v41, vcc_lo, 0, v45, vcc_lo
	v_ashrrev_i32_e32 v44, 31, v39
	s_delay_alu instid0(VALU_DEP_3) | instskip(NEXT) | instid1(VALU_DEP_3)
	v_add_co_u32 v23, vcc_lo, v40, v23
	v_add_co_ci_u32_e32 v40, vcc_lo, 0, v41, vcc_lo
	s_delay_alu instid0(VALU_DEP_2) | instskip(NEXT) | instid1(VALU_DEP_2)
	v_add_co_u32 v6, vcc_lo, v6, v23
	v_add_co_ci_u32_e32 v22, vcc_lo, v22, v40, vcc_lo
	s_delay_alu instid0(VALU_DEP_2) | instskip(SKIP_1) | instid1(VALU_DEP_3)
	v_mul_hi_u32 v23, s0, v6
	v_mul_lo_u32 v41, s3, v6
	v_mul_lo_u32 v40, s0, v22
	s_delay_alu instid0(VALU_DEP_1) | instskip(SKIP_1) | instid1(VALU_DEP_2)
	v_add_nc_u32_e32 v23, v23, v40
	v_mul_lo_u32 v40, s0, v6
	v_add_nc_u32_e32 v23, v23, v41
	s_delay_alu instid0(VALU_DEP_2) | instskip(NEXT) | instid1(VALU_DEP_2)
	v_mul_hi_u32 v41, v6, v40
	v_mul_lo_u32 v42, v6, v23
	v_mul_hi_u32 v43, v6, v23
	v_mul_hi_u32 v45, v22, v40
	v_mul_lo_u32 v40, v22, v40
	v_mul_hi_u32 v46, v22, v23
	v_mul_lo_u32 v23, v22, v23
	v_add_co_u32 v41, vcc_lo, v41, v42
	v_add_co_ci_u32_e32 v42, vcc_lo, 0, v43, vcc_lo
	s_delay_alu instid0(VALU_DEP_2) | instskip(NEXT) | instid1(VALU_DEP_2)
	v_add_co_u32 v40, vcc_lo, v41, v40
	v_add_co_ci_u32_e32 v40, vcc_lo, v42, v45, vcc_lo
	v_add_co_ci_u32_e32 v41, vcc_lo, 0, v46, vcc_lo
	v_add_co_u32 v42, vcc_lo, v18, v44
	v_add_co_ci_u32_e32 v39, vcc_lo, v39, v44, vcc_lo
	s_delay_alu instid0(VALU_DEP_4) | instskip(NEXT) | instid1(VALU_DEP_4)
	v_add_co_u32 v23, vcc_lo, v40, v23
	v_add_co_ci_u32_e32 v40, vcc_lo, 0, v41, vcc_lo
	s_delay_alu instid0(VALU_DEP_4) | instskip(NEXT) | instid1(VALU_DEP_3)
	v_xor_b32_e32 v43, v42, v44
	v_add_co_u32 v6, vcc_lo, v6, v23
	s_delay_alu instid0(VALU_DEP_3) | instskip(SKIP_1) | instid1(VALU_DEP_3)
	v_add_co_ci_u32_e32 v45, vcc_lo, v22, v40, vcc_lo
	v_xor_b32_e32 v46, v39, v44
	v_mul_hi_u32 v47, v43, v6
	s_delay_alu instid0(VALU_DEP_3) | instskip(NEXT) | instid1(VALU_DEP_3)
	v_mad_u64_u32 v[22:23], null, v43, v45, 0
	v_mad_u64_u32 v[39:40], null, v46, v6, 0
	v_mad_u64_u32 v[41:42], null, v46, v45, 0
	s_delay_alu instid0(VALU_DEP_3) | instskip(NEXT) | instid1(VALU_DEP_4)
	v_add_co_u32 v6, vcc_lo, v47, v22
	v_add_co_ci_u32_e32 v22, vcc_lo, 0, v23, vcc_lo
	s_delay_alu instid0(VALU_DEP_2) | instskip(NEXT) | instid1(VALU_DEP_2)
	v_add_co_u32 v6, vcc_lo, v6, v39
	v_add_co_ci_u32_e32 v6, vcc_lo, v22, v40, vcc_lo
	v_add_co_ci_u32_e32 v22, vcc_lo, 0, v42, vcc_lo
	s_delay_alu instid0(VALU_DEP_2) | instskip(NEXT) | instid1(VALU_DEP_2)
	v_add_co_u32 v6, vcc_lo, v6, v41
	v_add_co_ci_u32_e32 v39, vcc_lo, 0, v22, vcc_lo
	s_delay_alu instid0(VALU_DEP_2) | instskip(SKIP_1) | instid1(VALU_DEP_3)
	v_mul_lo_u32 v40, s17, v6
	v_mad_u64_u32 v[22:23], null, s16, v6, 0
	v_mul_lo_u32 v41, s16, v39
	s_delay_alu instid0(VALU_DEP_2) | instskip(NEXT) | instid1(VALU_DEP_2)
	v_sub_co_u32 v22, vcc_lo, v43, v22
	v_add3_u32 v23, v23, v41, v40
	s_delay_alu instid0(VALU_DEP_1) | instskip(NEXT) | instid1(VALU_DEP_1)
	v_sub_nc_u32_e32 v40, v46, v23
	v_subrev_co_ci_u32_e64 v40, s0, s17, v40, vcc_lo
	v_add_co_u32 v41, s0, v6, 2
	s_delay_alu instid0(VALU_DEP_1) | instskip(SKIP_3) | instid1(VALU_DEP_3)
	v_add_co_ci_u32_e64 v42, s0, 0, v39, s0
	v_sub_co_u32 v43, s0, v22, s16
	v_sub_co_ci_u32_e32 v23, vcc_lo, v46, v23, vcc_lo
	v_subrev_co_ci_u32_e64 v40, s0, 0, v40, s0
	v_cmp_le_u32_e32 vcc_lo, s16, v43
	s_delay_alu instid0(VALU_DEP_3) | instskip(SKIP_1) | instid1(VALU_DEP_4)
	v_cmp_eq_u32_e64 s0, s17, v23
	v_cndmask_b32_e64 v43, 0, -1, vcc_lo
	v_cmp_le_u32_e32 vcc_lo, s17, v40
	v_cndmask_b32_e64 v45, 0, -1, vcc_lo
	v_cmp_le_u32_e32 vcc_lo, s16, v22
	;; [unrolled: 2-line block ×3, first 2 shown]
	v_cndmask_b32_e64 v46, 0, -1, vcc_lo
	v_cmp_eq_u32_e32 vcc_lo, s17, v40
	s_delay_alu instid0(VALU_DEP_2) | instskip(SKIP_3) | instid1(VALU_DEP_3)
	v_cndmask_b32_e64 v22, v46, v22, s0
	v_cndmask_b32_e32 v40, v45, v43, vcc_lo
	v_add_co_u32 v43, vcc_lo, v6, 1
	v_add_co_ci_u32_e32 v45, vcc_lo, 0, v39, vcc_lo
	v_cmp_ne_u32_e32 vcc_lo, 0, v40
	s_delay_alu instid0(VALU_DEP_2) | instskip(SKIP_2) | instid1(VALU_DEP_3)
	v_dual_cndmask_b32 v23, v45, v42 :: v_dual_cndmask_b32 v40, v43, v41
	v_cmp_ne_u32_e32 vcc_lo, 0, v22
	v_xor_b32_e32 v41, s2, v44
	v_cndmask_b32_e32 v6, v6, v40, vcc_lo
	s_delay_alu instid0(VALU_DEP_4) | instskip(NEXT) | instid1(VALU_DEP_2)
	v_cndmask_b32_e32 v22, v39, v23, vcc_lo
	v_xor_b32_e32 v6, v6, v41
	s_delay_alu instid0(VALU_DEP_2) | instskip(NEXT) | instid1(VALU_DEP_2)
	v_xor_b32_e32 v23, v22, v41
	v_sub_co_u32 v22, vcc_lo, v6, v41
	s_delay_alu instid0(VALU_DEP_2)
	v_sub_co_ci_u32_e32 v23, vcc_lo, v23, v41, vcc_lo
.LBB129_16:                             ;   in Loop: Header=BB129_14 Depth=2
	s_and_not1_saveexec_b32 s0, s26
	s_cbranch_execz .LBB129_18
; %bb.17:                               ;   in Loop: Header=BB129_14 Depth=2
	v_cvt_f32_u32_e32 v6, s8
	s_delay_alu instid0(VALU_DEP_1) | instskip(SKIP_2) | instid1(VALU_DEP_1)
	v_rcp_iflag_f32_e32 v6, v6
	s_waitcnt_depctr 0xfff
	v_mul_f32_e32 v6, 0x4f7ffffe, v6
	v_cvt_u32_f32_e32 v6, v6
	s_delay_alu instid0(VALU_DEP_1) | instskip(NEXT) | instid1(VALU_DEP_1)
	v_mul_lo_u32 v22, s23, v6
	v_mul_hi_u32 v22, v6, v22
	s_delay_alu instid0(VALU_DEP_1) | instskip(NEXT) | instid1(VALU_DEP_1)
	v_add_nc_u32_e32 v6, v6, v22
	v_mul_hi_u32 v6, v18, v6
	s_delay_alu instid0(VALU_DEP_1) | instskip(NEXT) | instid1(VALU_DEP_1)
	v_mul_lo_u32 v22, v6, s8
	v_sub_nc_u32_e32 v22, v18, v22
	s_delay_alu instid0(VALU_DEP_1) | instskip(SKIP_1) | instid1(VALU_DEP_2)
	v_subrev_nc_u32_e32 v39, s8, v22
	v_cmp_le_u32_e32 vcc_lo, s8, v22
	v_dual_cndmask_b32 v22, v22, v39 :: v_dual_add_nc_u32 v23, 1, v6
	s_delay_alu instid0(VALU_DEP_1) | instskip(NEXT) | instid1(VALU_DEP_2)
	v_cndmask_b32_e32 v6, v6, v23, vcc_lo
	v_cmp_le_u32_e32 vcc_lo, s8, v22
	s_delay_alu instid0(VALU_DEP_2) | instskip(NEXT) | instid1(VALU_DEP_1)
	v_add_nc_u32_e32 v23, 1, v6
	v_dual_cndmask_b32 v22, v6, v23 :: v_dual_mov_b32 v23, v5
.LBB129_18:                             ;   in Loop: Header=BB129_14 Depth=2
	s_or_b32 exec_lo, exec_lo, s0
	s_delay_alu instid0(VALU_DEP_1)
	v_cmp_eq_u64_e32 vcc_lo, v[22:23], v[15:16]
	s_mov_b32 s3, exec_lo
	v_cmpx_ne_u64_e64 v[22:23], v[15:16]
	s_xor_b32 s3, exec_lo, s3
; %bb.19:                               ;   in Loop: Header=BB129_14 Depth=2
	v_cmp_lt_i64_e64 s0, v[22:23], v[13:14]
                                        ; implicit-def: $vgpr20_vgpr21
                                        ; implicit-def: $vgpr18
                                        ; implicit-def: $vgpr4
	s_delay_alu instid0(VALU_DEP_1)
	v_cndmask_b32_e64 v14, v14, v23, s0
	v_cndmask_b32_e64 v13, v13, v22, s0
; %bb.20:                               ;   in Loop: Header=BB129_14 Depth=2
	s_or_saveexec_b32 s3, s3
	v_mov_b32_e32 v6, v17
	s_xor_b32 exec_lo, exec_lo, s3
	s_cbranch_execz .LBB129_13
; %bb.21:                               ;   in Loop: Header=BB129_14 Depth=2
	v_add_co_u32 v20, s0, s14, v20
	s_delay_alu instid0(VALU_DEP_1)
	v_add_co_ci_u32_e64 v21, s0, s15, v21, s0
	v_sub_nc_u32_e32 v6, v18, v19
	global_load_b64 v[20:21], v[20:21], off
	v_add_lshl_u32 v18, v27, v6, 3
	v_mov_b32_e32 v6, v4
	ds_store_b8 v24, v37 offset:4096
	s_waitcnt vmcnt(0)
	ds_store_b64 v18, v[20:21]
	s_branch .LBB129_13
.LBB129_22:                             ;   in Loop: Header=BB129_11 Depth=1
	s_or_b32 exec_lo, exec_lo, s25
.LBB129_23:                             ;   in Loop: Header=BB129_11 Depth=1
	s_delay_alu instid0(SALU_CYCLE_1)
	s_or_b32 exec_lo, exec_lo, s24
	ds_bpermute_b32 v4, v28, v6
	s_waitcnt lgkmcnt(0)
	buffer_gl0_inv
	ds_load_u8 v15, v24 offset:4096
	s_mov_b32 s0, exec_lo
	v_mov_b32_e32 v17, 0
	v_min_i32_e32 v4, v4, v6
	ds_bpermute_b32 v6, v29, v4
	s_waitcnt lgkmcnt(0)
	v_min_i32_e32 v4, v6, v4
	ds_bpermute_b32 v6, v30, v4
	v_and_b32_e32 v4, 1, v15
	s_delay_alu instid0(VALU_DEP_1)
	v_cmpx_eq_u32_e32 1, v4
	s_cbranch_execz .LBB129_10
; %bb.24:                               ;   in Loop: Header=BB129_11 Depth=1
	v_ashrrev_i32_e32 v4, 31, v3
	v_mul_lo_u32 v17, s20, v3
	v_mad_u64_u32 v[15:16], null, s21, v3, 0
	v_add_nc_u32_e32 v19, s19, v38
	s_delay_alu instid0(VALU_DEP_4) | instskip(NEXT) | instid1(VALU_DEP_2)
	v_mul_lo_u32 v18, s21, v4
	v_ashrrev_i32_e32 v20, 31, v19
	s_delay_alu instid0(VALU_DEP_2) | instskip(SKIP_1) | instid1(VALU_DEP_2)
	v_add3_u32 v16, v16, v18, v17
	v_lshlrev_b64 v[17:18], 3, v[3:4]
	v_lshlrev_b64 v[21:22], 3, v[15:16]
	s_delay_alu instid0(VALU_DEP_2) | instskip(NEXT) | instid1(VALU_DEP_3)
	v_add_co_u32 v38, vcc_lo, s4, v17
	v_add_co_ci_u32_e32 v39, vcc_lo, s5, v18, vcc_lo
	s_delay_alu instid0(VALU_DEP_3) | instskip(NEXT) | instid1(VALU_DEP_4)
	v_add_co_u32 v16, vcc_lo, v25, v21
	v_add_co_ci_u32_e32 v18, vcc_lo, v26, v22, vcc_lo
	v_add_co_u32 v4, vcc_lo, v31, v21
	v_add_co_ci_u32_e32 v15, vcc_lo, v32, v22, vcc_lo
	global_store_b64 v[38:39], v[19:20], off
	s_and_saveexec_b32 s3, s22
	s_cbranch_execz .LBB129_28
; %bb.25:                               ;   in Loop: Header=BB129_11 Depth=1
	s_and_b32 vcc_lo, exec_lo, s1
	s_cbranch_vccz .LBB129_31
; %bb.26:                               ;   in Loop: Header=BB129_11 Depth=1
	ds_load_b64 v[19:20], v36
	v_add_co_u32 v21, vcc_lo, v16, v9
	v_add_co_ci_u32_e32 v22, vcc_lo, v18, v10, vcc_lo
	s_waitcnt lgkmcnt(0)
	global_store_b64 v[21:22], v[19:20], off
	s_cbranch_execnz .LBB129_28
.LBB129_27:                             ;   in Loop: Header=BB129_11 Depth=1
	ds_load_b64 v[19:20], v36
	v_lshlrev_b32_e32 v17, 3, v0
	s_delay_alu instid0(VALU_DEP_1)
	v_add_co_u32 v21, vcc_lo, v4, v17
	v_add_co_ci_u32_e32 v22, vcc_lo, 0, v15, vcc_lo
	s_waitcnt lgkmcnt(0)
	global_store_b64 v[21:22], v[19:20], off
.LBB129_28:                             ;   in Loop: Header=BB129_11 Depth=1
	s_or_b32 exec_lo, exec_lo, s3
	v_mov_b32_e32 v17, 1
	s_and_saveexec_b32 s3, s11
	s_cbranch_execz .LBB129_9
; %bb.29:                               ;   in Loop: Header=BB129_11 Depth=1
	s_and_not1_b32 vcc_lo, exec_lo, s1
	s_cbranch_vccnz .LBB129_32
; %bb.30:                               ;   in Loop: Header=BB129_11 Depth=1
	ds_load_b64 v[19:20], v36 offset:32
	v_add_co_u32 v16, vcc_lo, v16, v11
	v_add_co_ci_u32_e32 v17, vcc_lo, v18, v12, vcc_lo
	s_mov_b32 s16, 1
	s_waitcnt lgkmcnt(0)
	global_store_b64 v[16:17], v[19:20], off
	s_cbranch_execnz .LBB129_8
	s_branch .LBB129_33
.LBB129_31:                             ;   in Loop: Header=BB129_11 Depth=1
	s_branch .LBB129_27
.LBB129_32:                             ;   in Loop: Header=BB129_11 Depth=1
                                        ; implicit-def: $sgpr16
.LBB129_33:                             ;   in Loop: Header=BB129_11 Depth=1
	ds_load_b64 v[16:17], v36 offset:32
	v_lshlrev_b32_e32 v18, 3, v0
	s_mov_b32 s16, 1
	s_delay_alu instid0(VALU_DEP_1)
	v_add_co_u32 v18, vcc_lo, v4, v18
	v_add_co_ci_u32_e32 v19, vcc_lo, 0, v15, vcc_lo
	s_waitcnt lgkmcnt(0)
	global_store_b64 v[18:19], v[16:17], off offset:32
	s_branch .LBB129_8
.LBB129_34:
	s_endpgm
	.section	.rodata,"a",@progbits
	.p2align	6, 0x0
	.amdhsa_kernel _ZN9rocsparseL42csr2bsr_wavefront_per_row_multipass_kernelILj256ELj32ELj8EdilEEv20rocsparse_direction_T4_S2_S2_S2_S2_21rocsparse_index_base_PKT2_PKT3_PKS2_S3_PS4_PS7_PS2_
		.amdhsa_group_segment_fixed_size 4104
		.amdhsa_private_segment_fixed_size 0
		.amdhsa_kernarg_size 112
		.amdhsa_user_sgpr_count 15
		.amdhsa_user_sgpr_dispatch_ptr 0
		.amdhsa_user_sgpr_queue_ptr 0
		.amdhsa_user_sgpr_kernarg_segment_ptr 1
		.amdhsa_user_sgpr_dispatch_id 0
		.amdhsa_user_sgpr_private_segment_size 0
		.amdhsa_wavefront_size32 1
		.amdhsa_uses_dynamic_stack 0
		.amdhsa_enable_private_segment 0
		.amdhsa_system_sgpr_workgroup_id_x 1
		.amdhsa_system_sgpr_workgroup_id_y 0
		.amdhsa_system_sgpr_workgroup_id_z 0
		.amdhsa_system_sgpr_workgroup_info 0
		.amdhsa_system_vgpr_workitem_id 0
		.amdhsa_next_free_vgpr 48
		.amdhsa_next_free_sgpr 27
		.amdhsa_reserve_vcc 1
		.amdhsa_float_round_mode_32 0
		.amdhsa_float_round_mode_16_64 0
		.amdhsa_float_denorm_mode_32 3
		.amdhsa_float_denorm_mode_16_64 3
		.amdhsa_dx10_clamp 1
		.amdhsa_ieee_mode 1
		.amdhsa_fp16_overflow 0
		.amdhsa_workgroup_processor_mode 1
		.amdhsa_memory_ordered 1
		.amdhsa_forward_progress 0
		.amdhsa_shared_vgpr_count 0
		.amdhsa_exception_fp_ieee_invalid_op 0
		.amdhsa_exception_fp_denorm_src 0
		.amdhsa_exception_fp_ieee_div_zero 0
		.amdhsa_exception_fp_ieee_overflow 0
		.amdhsa_exception_fp_ieee_underflow 0
		.amdhsa_exception_fp_ieee_inexact 0
		.amdhsa_exception_int_div_zero 0
	.end_amdhsa_kernel
	.section	.text._ZN9rocsparseL42csr2bsr_wavefront_per_row_multipass_kernelILj256ELj32ELj8EdilEEv20rocsparse_direction_T4_S2_S2_S2_S2_21rocsparse_index_base_PKT2_PKT3_PKS2_S3_PS4_PS7_PS2_,"axG",@progbits,_ZN9rocsparseL42csr2bsr_wavefront_per_row_multipass_kernelILj256ELj32ELj8EdilEEv20rocsparse_direction_T4_S2_S2_S2_S2_21rocsparse_index_base_PKT2_PKT3_PKS2_S3_PS4_PS7_PS2_,comdat
.Lfunc_end129:
	.size	_ZN9rocsparseL42csr2bsr_wavefront_per_row_multipass_kernelILj256ELj32ELj8EdilEEv20rocsparse_direction_T4_S2_S2_S2_S2_21rocsparse_index_base_PKT2_PKT3_PKS2_S3_PS4_PS7_PS2_, .Lfunc_end129-_ZN9rocsparseL42csr2bsr_wavefront_per_row_multipass_kernelILj256ELj32ELj8EdilEEv20rocsparse_direction_T4_S2_S2_S2_S2_21rocsparse_index_base_PKT2_PKT3_PKS2_S3_PS4_PS7_PS2_
                                        ; -- End function
	.section	.AMDGPU.csdata,"",@progbits
; Kernel info:
; codeLenInByte = 2772
; NumSgprs: 29
; NumVgprs: 48
; ScratchSize: 0
; MemoryBound: 0
; FloatMode: 240
; IeeeMode: 1
; LDSByteSize: 4104 bytes/workgroup (compile time only)
; SGPRBlocks: 3
; VGPRBlocks: 5
; NumSGPRsForWavesPerEU: 29
; NumVGPRsForWavesPerEU: 48
; Occupancy: 16
; WaveLimiterHint : 0
; COMPUTE_PGM_RSRC2:SCRATCH_EN: 0
; COMPUTE_PGM_RSRC2:USER_SGPR: 15
; COMPUTE_PGM_RSRC2:TRAP_HANDLER: 0
; COMPUTE_PGM_RSRC2:TGID_X_EN: 1
; COMPUTE_PGM_RSRC2:TGID_Y_EN: 0
; COMPUTE_PGM_RSRC2:TGID_Z_EN: 0
; COMPUTE_PGM_RSRC2:TIDIG_COMP_CNT: 0
	.section	.text._ZN9rocsparseL42csr2bsr_wavefront_per_row_multipass_kernelILj256ELj64ELj16EdilEEv20rocsparse_direction_T4_S2_S2_S2_S2_21rocsparse_index_base_PKT2_PKT3_PKS2_S3_PS4_PS7_PS2_,"axG",@progbits,_ZN9rocsparseL42csr2bsr_wavefront_per_row_multipass_kernelILj256ELj64ELj16EdilEEv20rocsparse_direction_T4_S2_S2_S2_S2_21rocsparse_index_base_PKT2_PKT3_PKS2_S3_PS4_PS7_PS2_,comdat
	.globl	_ZN9rocsparseL42csr2bsr_wavefront_per_row_multipass_kernelILj256ELj64ELj16EdilEEv20rocsparse_direction_T4_S2_S2_S2_S2_21rocsparse_index_base_PKT2_PKT3_PKS2_S3_PS4_PS7_PS2_ ; -- Begin function _ZN9rocsparseL42csr2bsr_wavefront_per_row_multipass_kernelILj256ELj64ELj16EdilEEv20rocsparse_direction_T4_S2_S2_S2_S2_21rocsparse_index_base_PKT2_PKT3_PKS2_S3_PS4_PS7_PS2_
	.p2align	8
	.type	_ZN9rocsparseL42csr2bsr_wavefront_per_row_multipass_kernelILj256ELj64ELj16EdilEEv20rocsparse_direction_T4_S2_S2_S2_S2_21rocsparse_index_base_PKT2_PKT3_PKS2_S3_PS4_PS7_PS2_,@function
_ZN9rocsparseL42csr2bsr_wavefront_per_row_multipass_kernelILj256ELj64ELj16EdilEEv20rocsparse_direction_T4_S2_S2_S2_S2_21rocsparse_index_base_PKT2_PKT3_PKS2_S3_PS4_PS7_PS2_: ; @_ZN9rocsparseL42csr2bsr_wavefront_per_row_multipass_kernelILj256ELj64ELj16EdilEEv20rocsparse_direction_T4_S2_S2_S2_S2_21rocsparse_index_base_PKT2_PKT3_PKS2_S3_PS4_PS7_PS2_
; %bb.0:
	s_load_b64 s[8:9], s[0:1], 0x28
	v_lshrrev_b32_e32 v28, 6, v0
	s_mov_b32 s10, s15
	s_ashr_i32 s11, s15, 31
	s_clause 0x1
	s_load_b64 s[14:15], s[0:1], 0x8
	s_load_b128 s[4:7], s[0:1], 0x18
	s_lshl_b64 s[2:3], s[10:11], 2
	v_mov_b32_e32 v2, 0
	v_or_b32_e32 v5, s2, v28
	v_bfe_u32 v1, v0, 2, 4
	s_clause 0x1
	s_load_b32 s18, s[0:1], 0x30
	s_load_b64 s[12:13], s[0:1], 0x40
	s_waitcnt lgkmcnt(0)
	v_mul_lo_u32 v6, v5, s9
	v_mad_u64_u32 v[3:4], null, v5, s8, v[1:2]
	s_mul_i32 s2, s3, s8
	s_delay_alu instid0(VALU_DEP_1) | instid1(SALU_CYCLE_1)
	v_add3_u32 v4, s2, v4, v6
	v_cmp_gt_i64_e64 s2, s[8:9], v[1:2]
	v_mov_b32_e32 v6, v2
	s_delay_alu instid0(VALU_DEP_3) | instskip(NEXT) | instid1(VALU_DEP_3)
	v_cmp_gt_i64_e32 vcc_lo, s[14:15], v[3:4]
	s_and_b32 s3, s2, vcc_lo
	s_delay_alu instid0(SALU_CYCLE_1)
	s_and_saveexec_b32 s11, s3
	s_cbranch_execz .LBB130_2
; %bb.1:
	v_lshlrev_b64 v[5:6], 2, v[3:4]
	s_delay_alu instid0(VALU_DEP_1) | instskip(NEXT) | instid1(VALU_DEP_2)
	v_add_co_u32 v5, vcc_lo, s12, v5
	v_add_co_ci_u32_e32 v6, vcc_lo, s13, v6, vcc_lo
	global_load_b32 v5, v[5:6], off
	s_waitcnt vmcnt(0)
	v_subrev_nc_u32_e32 v6, s18, v5
.LBB130_2:
	s_or_b32 exec_lo, exec_lo, s11
	s_and_saveexec_b32 s11, s3
	s_cbranch_execz .LBB130_4
; %bb.3:
	v_lshlrev_b64 v[2:3], 2, v[3:4]
	s_delay_alu instid0(VALU_DEP_1) | instskip(NEXT) | instid1(VALU_DEP_2)
	v_add_co_u32 v2, vcc_lo, s12, v2
	v_add_co_ci_u32_e32 v3, vcc_lo, s13, v3, vcc_lo
	global_load_b32 v2, v[2:3], off offset:4
	s_waitcnt vmcnt(0)
	v_subrev_nc_u32_e32 v2, s18, v2
.LBB130_4:
	s_or_b32 exec_lo, exec_lo, s11
	s_load_b32 s19, s[0:1], 0x50
	v_mov_b32_e32 v5, 0
	v_lshl_or_b32 v4, s10, 2, v28
	s_mov_b32 s3, exec_lo
	s_delay_alu instid0(VALU_DEP_2) | instskip(NEXT) | instid1(VALU_DEP_2)
	v_mov_b32_e32 v3, v5
	v_cmpx_gt_i64_e64 s[4:5], v[4:5]
	s_cbranch_execz .LBB130_6
; %bb.5:
	s_load_b64 s[4:5], s[0:1], 0x60
	v_lshlrev_b64 v[3:4], 2, v[4:5]
	s_waitcnt lgkmcnt(0)
	s_delay_alu instid0(VALU_DEP_1) | instskip(NEXT) | instid1(VALU_DEP_2)
	v_add_co_u32 v3, vcc_lo, s4, v3
	v_add_co_ci_u32_e32 v4, vcc_lo, s5, v4, vcc_lo
	global_load_b32 v3, v[3:4], off
	s_waitcnt vmcnt(0)
	v_subrev_nc_u32_e32 v3, s19, v3
.LBB130_6:
	s_or_b32 exec_lo, exec_lo, s3
	v_cmp_lt_i64_e64 s3, s[6:7], 1
	s_delay_alu instid0(VALU_DEP_1)
	s_and_b32 vcc_lo, exec_lo, s3
	s_cbranch_vccnz .LBB130_44
; %bb.7:
	v_mbcnt_lo_u32_b32 v11, -1, 0
	v_mad_u64_u32 v[7:8], null, v1, s8, 0
	s_load_b64 s[16:17], s[0:1], 0x58
	v_dual_mov_b32 v5, 0 :: v_dual_lshlrev_b32 v10, 3, v1
	s_delay_alu instid0(VALU_DEP_3)
	v_xor_b32_e32 v12, 2, v11
	v_xor_b32_e32 v13, 1, v11
	s_mul_i32 s3, s8, s9
	s_mul_hi_u32 s4, s8, s8
	v_lshl_or_b32 v34, v11, 2, 12
	v_cmp_gt_i32_e32 vcc_lo, 32, v12
	v_mov_b32_e32 v4, v8
	s_add_i32 s10, s4, s3
	s_clause 0x3
	s_load_b64 s[4:5], s[0:1], 0x68
	s_load_b64 s[12:13], s[0:1], 0x48
	;; [unrolled: 1-line block ×3, first 2 shown]
	s_load_b32 s0, s[0:1], 0x0
	s_add_i32 s20, s10, s3
	v_mad_u64_u32 v[8:9], null, v1, s9, v[4:5]
	v_cndmask_b32_e32 v9, v11, v12, vcc_lo
	v_lshlrev_b32_e32 v4, 8, v28
	v_cmp_gt_i32_e32 vcc_lo, 32, v13
	s_mov_b32 s10, 0
	s_waitcnt lgkmcnt(0)
	v_add_co_u32 v29, s1, s16, v10
	v_lshlrev_b64 v[7:8], 3, v[7:8]
	v_lshl_or_b32 v31, v1, 4, v4
	v_or_b32_e32 v1, 32, v11
	v_cndmask_b32_e32 v10, v11, v13, vcc_lo
	v_xor_b32_e32 v4, 16, v11
	v_lshlrev_b32_e32 v32, 2, v9
	v_add_co_u32 v35, vcc_lo, s16, v7
	v_add_co_ci_u32_e32 v36, vcc_lo, s17, v8, vcc_lo
	v_cmp_gt_i32_e32 vcc_lo, 32, v1
	v_xor_b32_e32 v7, 8, v11
	v_xor_b32_e32 v8, 4, v11
	s_mov_b32 s11, s10
	v_dual_mov_b32 v12, v5 :: v_dual_cndmask_b32 v1, v11, v1
	v_cmp_gt_i32_e32 vcc_lo, 32, v4
	v_mov_b32_e32 v16, v5
	v_add_co_ci_u32_e64 v30, null, s17, 0, s1
	s_delay_alu instid0(VALU_DEP_4)
	v_dual_cndmask_b32 v4, v11, v4 :: v_dual_lshlrev_b32 v37, 2, v1
	v_cmp_gt_i32_e32 vcc_lo, 32, v7
	v_and_b32_e32 v0, 3, v0
	s_cmp_lg_u32 s0, 0
	v_bfrev_b32_e32 v41, 0.5
	s_mul_i32 s21, s8, s8
	v_cndmask_b32_e32 v7, v11, v7, vcc_lo
	v_cmp_gt_i32_e32 vcc_lo, 32, v8
	v_or_b32_e32 v1, v31, v0
	v_or_b32_e32 v15, 12, v0
	s_cselect_b32 s22, -1, 0
	v_lshlrev_b32_e32 v39, 2, v7
	v_or_b32_e32 v7, 4, v0
	v_dual_cndmask_b32 v8, v11, v8 :: v_dual_lshlrev_b32 v33, 2, v10
	v_mad_u64_u32 v[9:10], null, v0, s8, 0
	v_or_b32_e32 v11, 8, v0
	s_delay_alu instid0(VALU_DEP_4) | instskip(SKIP_1) | instid1(VALU_DEP_3)
	v_mad_u64_u32 v[13:14], null, v7, s8, 0
	v_dual_mov_b32 v1, v5 :: v_dual_lshlrev_b32 v42, 3, v1
	v_mad_u64_u32 v[17:18], null, v11, s8, 0
	v_mad_u64_u32 v[21:22], null, v15, s8, 0
	v_lshlrev_b32_e32 v38, 2, v4
	s_delay_alu instid0(VALU_DEP_4) | instskip(SKIP_4) | instid1(VALU_DEP_4)
	v_cmp_gt_u64_e32 vcc_lo, s[8:9], v[0:1]
	v_mov_b32_e32 v1, v10
	v_mov_b32_e32 v4, v14
	v_dual_mov_b32 v43, 0 :: v_dual_lshlrev_b32 v40, 2, v8
	v_mov_b32_e32 v8, v5
	v_mad_u64_u32 v[19:20], null, v0, s9, v[1:2]
	v_mov_b32_e32 v1, v18
	v_mad_u64_u32 v[23:24], null, v7, s9, v[4:5]
	v_mov_b32_e32 v4, v22
	v_cmp_gt_u64_e64 s1, s[8:9], v[11:12]
	s_delay_alu instid0(VALU_DEP_4) | instskip(SKIP_1) | instid1(VALU_DEP_4)
	v_mad_u64_u32 v[24:25], null, v11, s9, v[1:2]
	v_mov_b32_e32 v10, v19
	v_mad_u64_u32 v[25:26], null, v15, s9, v[4:5]
	v_mov_b32_e32 v14, v23
	v_cmp_gt_u64_e64 s3, s[8:9], v[15:16]
	v_dual_mov_b32 v1, 1 :: v_dual_mov_b32 v18, v24
	v_cmp_gt_u64_e64 s0, s[8:9], v[7:8]
	v_dual_mov_b32 v19, 0 :: v_dual_mov_b32 v22, v25
	v_mov_b32_e32 v7, s10
	v_lshlrev_b64 v[9:10], 3, v[9:10]
	v_lshlrev_b64 v[11:12], 3, v[13:14]
	v_lshlrev_b64 v[13:14], 3, v[17:18]
	v_lshlrev_b64 v[15:16], 3, v[21:22]
	v_mov_b32_e32 v20, 0
	v_mov_b32_e32 v8, s11
	s_and_b32 s23, s2, vcc_lo
	s_and_b32 s24, s2, s0
	s_and_b32 s1, s2, s1
	s_and_b32 s11, s2, s3
	s_ashr_i32 s2, s9, 31
	s_sub_i32 s25, 0, s8
	s_branch .LBB130_11
.LBB130_8:                              ;   in Loop: Header=BB130_11 Depth=1
	v_mov_b32_e32 v22, s16
.LBB130_9:                              ;   in Loop: Header=BB130_11 Depth=1
	s_or_b32 exec_lo, exec_lo, s3
.LBB130_10:                             ;   in Loop: Header=BB130_11 Depth=1
	s_delay_alu instid0(SALU_CYCLE_1)
	s_or_b32 exec_lo, exec_lo, s0
	ds_bpermute_b32 v19, v37, v17
	ds_bpermute_b32 v20, v37, v18
	v_add_nc_u32_e32 v3, v22, v3
	s_waitcnt lgkmcnt(0)
	s_waitcnt_vscnt null, 0x0
	buffer_gl0_inv
	buffer_gl0_inv
	v_cmp_lt_i64_e32 vcc_lo, v[19:20], v[17:18]
	v_dual_cndmask_b32 v18, v18, v20 :: v_dual_cndmask_b32 v17, v17, v19
	ds_bpermute_b32 v20, v38, v18
	ds_bpermute_b32 v19, v38, v17
	s_waitcnt lgkmcnt(0)
	v_cmp_lt_i64_e32 vcc_lo, v[19:20], v[17:18]
	v_dual_cndmask_b32 v18, v18, v20 :: v_dual_cndmask_b32 v17, v17, v19
	ds_bpermute_b32 v20, v39, v18
	ds_bpermute_b32 v19, v39, v17
	s_waitcnt lgkmcnt(0)
	;; [unrolled: 5-line block ×5, first 2 shown]
	v_cmp_lt_i64_e32 vcc_lo, v[19:20], v[17:18]
	v_cndmask_b32_e32 v4, v17, v19, vcc_lo
	ds_bpermute_b32 v19, v41, v4
	s_waitcnt lgkmcnt(0)
	v_mov_b32_e32 v43, v19
	v_ashrrev_i32_e32 v20, 31, v19
	s_delay_alu instid0(VALU_DEP_1) | instskip(SKIP_1) | instid1(SALU_CYCLE_1)
	v_cmp_le_i64_e32 vcc_lo, s[6:7], v[19:20]
	s_or_b32 s10, vcc_lo, s10
	s_and_not1_b32 exec_lo, exec_lo, s10
	s_cbranch_execz .LBB130_44
.LBB130_11:                             ; =>This Loop Header: Depth=1
                                        ;     Child Loop BB130_14 Depth 2
	v_dual_mov_b32 v18, s7 :: v_dual_add_nc_u32 v21, v6, v0
	v_dual_mov_b32 v17, s6 :: v_dual_mov_b32 v6, v2
	s_mov_b32 s26, exec_lo
	ds_store_b8 v28, v5 offset:8192
	ds_store_2addr_b64 v42, v[7:8], v[7:8] offset1:4
	ds_store_2addr_b64 v42, v[7:8], v[7:8] offset0:8 offset1:12
	s_waitcnt lgkmcnt(0)
	buffer_gl0_inv
	v_cmpx_lt_i32_e64 v21, v2
	s_cbranch_execz .LBB130_23
; %bb.12:                               ;   in Loop: Header=BB130_11 Depth=1
	v_mad_u64_u32 v[23:24], null, v19, s8, 0
	v_dual_mov_b32 v18, s7 :: v_dual_mov_b32 v17, s6
	v_mov_b32_e32 v4, v2
	s_mov_b32 s27, 0
	s_branch .LBB130_14
.LBB130_13:                             ;   in Loop: Header=BB130_14 Depth=2
	s_or_b32 exec_lo, exec_lo, s3
	s_delay_alu instid0(VALU_DEP_1) | instskip(SKIP_1) | instid1(VALU_DEP_1)
	v_dual_mov_b32 v4, v6 :: v_dual_add_nc_u32 v21, 4, v21
	s_xor_b32 s3, vcc_lo, -1
	v_cmp_ge_i32_e64 s0, v21, v2
	s_delay_alu instid0(VALU_DEP_1) | instskip(NEXT) | instid1(SALU_CYCLE_1)
	s_or_b32 s0, s3, s0
	s_and_b32 s0, exec_lo, s0
	s_delay_alu instid0(SALU_CYCLE_1) | instskip(NEXT) | instid1(SALU_CYCLE_1)
	s_or_b32 s27, s0, s27
	s_and_not1_b32 exec_lo, exec_lo, s27
	s_cbranch_execz .LBB130_22
.LBB130_14:                             ;   Parent Loop BB130_11 Depth=1
                                        ; =>  This Inner Loop Header: Depth=2
	v_ashrrev_i32_e32 v22, 31, v21
	s_mov_b32 s0, exec_lo
	s_delay_alu instid0(VALU_DEP_1) | instskip(NEXT) | instid1(VALU_DEP_1)
	v_lshlrev_b64 v[24:25], 3, v[21:22]
	v_add_co_u32 v26, vcc_lo, s12, v24
	s_delay_alu instid0(VALU_DEP_2) | instskip(SKIP_4) | instid1(VALU_DEP_1)
	v_add_co_ci_u32_e32 v27, vcc_lo, s13, v25, vcc_lo
	global_load_b64 v[26:27], v[26:27], off
	s_waitcnt vmcnt(0)
	v_sub_co_u32 v22, vcc_lo, v26, s18
	v_subrev_co_ci_u32_e32 v44, vcc_lo, 0, v27, vcc_lo
                                        ; implicit-def: $vgpr26_vgpr27
	v_or_b32_e32 v6, s9, v44
	s_delay_alu instid0(VALU_DEP_1)
	v_cmpx_ne_u64_e32 0, v[5:6]
	s_xor_b32 s28, exec_lo, s0
	s_cbranch_execz .LBB130_16
; %bb.15:                               ;   in Loop: Header=BB130_14 Depth=2
	s_add_u32 s16, s8, s2
	s_mov_b32 s3, s2
	s_addc_u32 s17, s9, s2
	s_delay_alu instid0(SALU_CYCLE_1) | instskip(NEXT) | instid1(SALU_CYCLE_1)
	s_xor_b64 s[16:17], s[16:17], s[2:3]
	v_cvt_f32_u32_e32 v6, s16
	v_cvt_f32_u32_e32 v26, s17
	s_sub_u32 s0, 0, s16
	s_subb_u32 s3, 0, s17
	s_delay_alu instid0(VALU_DEP_1) | instskip(NEXT) | instid1(VALU_DEP_1)
	v_fmac_f32_e32 v6, 0x4f800000, v26
	v_rcp_f32_e32 v6, v6
	s_waitcnt_depctr 0xfff
	v_mul_f32_e32 v6, 0x5f7ffffc, v6
	s_delay_alu instid0(VALU_DEP_1) | instskip(NEXT) | instid1(VALU_DEP_1)
	v_mul_f32_e32 v26, 0x2f800000, v6
	v_trunc_f32_e32 v26, v26
	s_delay_alu instid0(VALU_DEP_1) | instskip(SKIP_1) | instid1(VALU_DEP_2)
	v_fmac_f32_e32 v6, 0xcf800000, v26
	v_cvt_u32_f32_e32 v26, v26
	v_cvt_u32_f32_e32 v6, v6
	s_delay_alu instid0(VALU_DEP_2) | instskip(NEXT) | instid1(VALU_DEP_2)
	v_mul_lo_u32 v27, s0, v26
	v_mul_hi_u32 v45, s0, v6
	v_mul_lo_u32 v46, s3, v6
	s_delay_alu instid0(VALU_DEP_2) | instskip(SKIP_1) | instid1(VALU_DEP_2)
	v_add_nc_u32_e32 v27, v45, v27
	v_mul_lo_u32 v45, s0, v6
	v_add_nc_u32_e32 v27, v27, v46
	s_delay_alu instid0(VALU_DEP_2) | instskip(NEXT) | instid1(VALU_DEP_2)
	v_mul_hi_u32 v46, v6, v45
	v_mul_lo_u32 v47, v6, v27
	v_mul_hi_u32 v48, v6, v27
	v_mul_hi_u32 v49, v26, v45
	v_mul_lo_u32 v45, v26, v45
	v_mul_hi_u32 v50, v26, v27
	v_mul_lo_u32 v27, v26, v27
	v_add_co_u32 v46, vcc_lo, v46, v47
	v_add_co_ci_u32_e32 v47, vcc_lo, 0, v48, vcc_lo
	s_delay_alu instid0(VALU_DEP_2) | instskip(NEXT) | instid1(VALU_DEP_2)
	v_add_co_u32 v45, vcc_lo, v46, v45
	v_add_co_ci_u32_e32 v45, vcc_lo, v47, v49, vcc_lo
	v_add_co_ci_u32_e32 v46, vcc_lo, 0, v50, vcc_lo
	v_ashrrev_i32_e32 v49, 31, v44
	s_delay_alu instid0(VALU_DEP_3) | instskip(NEXT) | instid1(VALU_DEP_3)
	v_add_co_u32 v27, vcc_lo, v45, v27
	v_add_co_ci_u32_e32 v45, vcc_lo, 0, v46, vcc_lo
	s_delay_alu instid0(VALU_DEP_2) | instskip(NEXT) | instid1(VALU_DEP_2)
	v_add_co_u32 v6, vcc_lo, v6, v27
	v_add_co_ci_u32_e32 v26, vcc_lo, v26, v45, vcc_lo
	s_delay_alu instid0(VALU_DEP_2) | instskip(SKIP_1) | instid1(VALU_DEP_3)
	v_mul_hi_u32 v27, s0, v6
	v_mul_lo_u32 v46, s3, v6
	v_mul_lo_u32 v45, s0, v26
	s_delay_alu instid0(VALU_DEP_1) | instskip(SKIP_1) | instid1(VALU_DEP_2)
	v_add_nc_u32_e32 v27, v27, v45
	v_mul_lo_u32 v45, s0, v6
	v_add_nc_u32_e32 v27, v27, v46
	s_delay_alu instid0(VALU_DEP_2) | instskip(NEXT) | instid1(VALU_DEP_2)
	v_mul_hi_u32 v46, v6, v45
	v_mul_lo_u32 v47, v6, v27
	v_mul_hi_u32 v48, v6, v27
	v_mul_hi_u32 v50, v26, v45
	v_mul_lo_u32 v45, v26, v45
	v_mul_hi_u32 v51, v26, v27
	v_mul_lo_u32 v27, v26, v27
	v_add_co_u32 v46, vcc_lo, v46, v47
	v_add_co_ci_u32_e32 v47, vcc_lo, 0, v48, vcc_lo
	s_delay_alu instid0(VALU_DEP_2) | instskip(NEXT) | instid1(VALU_DEP_2)
	v_add_co_u32 v45, vcc_lo, v46, v45
	v_add_co_ci_u32_e32 v45, vcc_lo, v47, v50, vcc_lo
	v_add_co_ci_u32_e32 v46, vcc_lo, 0, v51, vcc_lo
	v_add_co_u32 v47, vcc_lo, v22, v49
	v_add_co_ci_u32_e32 v44, vcc_lo, v44, v49, vcc_lo
	s_delay_alu instid0(VALU_DEP_4) | instskip(NEXT) | instid1(VALU_DEP_4)
	v_add_co_u32 v27, vcc_lo, v45, v27
	v_add_co_ci_u32_e32 v45, vcc_lo, 0, v46, vcc_lo
	s_delay_alu instid0(VALU_DEP_4) | instskip(NEXT) | instid1(VALU_DEP_3)
	v_xor_b32_e32 v48, v47, v49
	v_add_co_u32 v6, vcc_lo, v6, v27
	s_delay_alu instid0(VALU_DEP_3) | instskip(SKIP_1) | instid1(VALU_DEP_3)
	v_add_co_ci_u32_e32 v50, vcc_lo, v26, v45, vcc_lo
	v_xor_b32_e32 v51, v44, v49
	v_mul_hi_u32 v52, v48, v6
	s_delay_alu instid0(VALU_DEP_3) | instskip(NEXT) | instid1(VALU_DEP_3)
	v_mad_u64_u32 v[26:27], null, v48, v50, 0
	v_mad_u64_u32 v[44:45], null, v51, v6, 0
	;; [unrolled: 1-line block ×3, first 2 shown]
	s_delay_alu instid0(VALU_DEP_3) | instskip(NEXT) | instid1(VALU_DEP_4)
	v_add_co_u32 v6, vcc_lo, v52, v26
	v_add_co_ci_u32_e32 v26, vcc_lo, 0, v27, vcc_lo
	s_delay_alu instid0(VALU_DEP_2) | instskip(NEXT) | instid1(VALU_DEP_2)
	v_add_co_u32 v6, vcc_lo, v6, v44
	v_add_co_ci_u32_e32 v6, vcc_lo, v26, v45, vcc_lo
	v_add_co_ci_u32_e32 v26, vcc_lo, 0, v47, vcc_lo
	s_delay_alu instid0(VALU_DEP_2) | instskip(NEXT) | instid1(VALU_DEP_2)
	v_add_co_u32 v6, vcc_lo, v6, v46
	v_add_co_ci_u32_e32 v44, vcc_lo, 0, v26, vcc_lo
	s_delay_alu instid0(VALU_DEP_2) | instskip(SKIP_1) | instid1(VALU_DEP_3)
	v_mul_lo_u32 v45, s17, v6
	v_mad_u64_u32 v[26:27], null, s16, v6, 0
	v_mul_lo_u32 v46, s16, v44
	s_delay_alu instid0(VALU_DEP_2) | instskip(NEXT) | instid1(VALU_DEP_2)
	v_sub_co_u32 v26, vcc_lo, v48, v26
	v_add3_u32 v27, v27, v46, v45
	s_delay_alu instid0(VALU_DEP_1) | instskip(NEXT) | instid1(VALU_DEP_1)
	v_sub_nc_u32_e32 v45, v51, v27
	v_subrev_co_ci_u32_e64 v45, s0, s17, v45, vcc_lo
	v_add_co_u32 v46, s0, v6, 2
	s_delay_alu instid0(VALU_DEP_1) | instskip(SKIP_3) | instid1(VALU_DEP_3)
	v_add_co_ci_u32_e64 v47, s0, 0, v44, s0
	v_sub_co_u32 v48, s0, v26, s16
	v_sub_co_ci_u32_e32 v27, vcc_lo, v51, v27, vcc_lo
	v_subrev_co_ci_u32_e64 v45, s0, 0, v45, s0
	v_cmp_le_u32_e32 vcc_lo, s16, v48
	s_delay_alu instid0(VALU_DEP_3) | instskip(SKIP_1) | instid1(VALU_DEP_4)
	v_cmp_eq_u32_e64 s0, s17, v27
	v_cndmask_b32_e64 v48, 0, -1, vcc_lo
	v_cmp_le_u32_e32 vcc_lo, s17, v45
	v_cndmask_b32_e64 v50, 0, -1, vcc_lo
	v_cmp_le_u32_e32 vcc_lo, s16, v26
	;; [unrolled: 2-line block ×3, first 2 shown]
	v_cndmask_b32_e64 v51, 0, -1, vcc_lo
	v_cmp_eq_u32_e32 vcc_lo, s17, v45
	s_delay_alu instid0(VALU_DEP_2) | instskip(SKIP_3) | instid1(VALU_DEP_3)
	v_cndmask_b32_e64 v26, v51, v26, s0
	v_cndmask_b32_e32 v45, v50, v48, vcc_lo
	v_add_co_u32 v48, vcc_lo, v6, 1
	v_add_co_ci_u32_e32 v50, vcc_lo, 0, v44, vcc_lo
	v_cmp_ne_u32_e32 vcc_lo, 0, v45
	s_delay_alu instid0(VALU_DEP_2) | instskip(NEXT) | instid1(VALU_DEP_4)
	v_cndmask_b32_e32 v27, v50, v47, vcc_lo
	v_cndmask_b32_e32 v45, v48, v46, vcc_lo
	v_cmp_ne_u32_e32 vcc_lo, 0, v26
	v_xor_b32_e32 v46, s2, v49
	s_delay_alu instid0(VALU_DEP_3) | instskip(SKIP_1) | instid1(VALU_DEP_2)
	v_cndmask_b32_e32 v6, v6, v45, vcc_lo
	v_cndmask_b32_e32 v26, v44, v27, vcc_lo
	v_xor_b32_e32 v6, v6, v46
	s_delay_alu instid0(VALU_DEP_2) | instskip(NEXT) | instid1(VALU_DEP_2)
	v_xor_b32_e32 v27, v26, v46
	v_sub_co_u32 v26, vcc_lo, v6, v46
	s_delay_alu instid0(VALU_DEP_2)
	v_sub_co_ci_u32_e32 v27, vcc_lo, v27, v46, vcc_lo
.LBB130_16:                             ;   in Loop: Header=BB130_14 Depth=2
	s_and_not1_saveexec_b32 s0, s28
	s_cbranch_execz .LBB130_18
; %bb.17:                               ;   in Loop: Header=BB130_14 Depth=2
	v_cvt_f32_u32_e32 v6, s8
	s_delay_alu instid0(VALU_DEP_1) | instskip(SKIP_2) | instid1(VALU_DEP_1)
	v_rcp_iflag_f32_e32 v6, v6
	s_waitcnt_depctr 0xfff
	v_mul_f32_e32 v6, 0x4f7ffffe, v6
	v_cvt_u32_f32_e32 v6, v6
	s_delay_alu instid0(VALU_DEP_1) | instskip(NEXT) | instid1(VALU_DEP_1)
	v_mul_lo_u32 v26, s25, v6
	v_mul_hi_u32 v26, v6, v26
	s_delay_alu instid0(VALU_DEP_1) | instskip(NEXT) | instid1(VALU_DEP_1)
	v_add_nc_u32_e32 v6, v6, v26
	v_mul_hi_u32 v6, v22, v6
	s_delay_alu instid0(VALU_DEP_1) | instskip(NEXT) | instid1(VALU_DEP_1)
	v_mul_lo_u32 v26, v6, s8
	v_sub_nc_u32_e32 v26, v22, v26
	s_delay_alu instid0(VALU_DEP_1) | instskip(SKIP_1) | instid1(VALU_DEP_2)
	v_subrev_nc_u32_e32 v44, s8, v26
	v_cmp_le_u32_e32 vcc_lo, s8, v26
	v_dual_cndmask_b32 v26, v26, v44 :: v_dual_add_nc_u32 v27, 1, v6
	s_delay_alu instid0(VALU_DEP_1) | instskip(NEXT) | instid1(VALU_DEP_2)
	v_cndmask_b32_e32 v6, v6, v27, vcc_lo
	v_cmp_le_u32_e32 vcc_lo, s8, v26
	s_delay_alu instid0(VALU_DEP_2) | instskip(NEXT) | instid1(VALU_DEP_1)
	v_add_nc_u32_e32 v27, 1, v6
	v_dual_cndmask_b32 v26, v6, v27 :: v_dual_mov_b32 v27, v5
.LBB130_18:                             ;   in Loop: Header=BB130_14 Depth=2
	s_or_b32 exec_lo, exec_lo, s0
	s_delay_alu instid0(VALU_DEP_1)
	v_cmp_eq_u64_e32 vcc_lo, v[26:27], v[19:20]
	s_mov_b32 s3, exec_lo
	v_cmpx_ne_u64_e64 v[26:27], v[19:20]
	s_xor_b32 s3, exec_lo, s3
; %bb.19:                               ;   in Loop: Header=BB130_14 Depth=2
	v_cmp_lt_i64_e64 s0, v[26:27], v[17:18]
                                        ; implicit-def: $vgpr24_vgpr25
                                        ; implicit-def: $vgpr22
                                        ; implicit-def: $vgpr4
	s_delay_alu instid0(VALU_DEP_1)
	v_cndmask_b32_e64 v18, v18, v27, s0
	v_cndmask_b32_e64 v17, v17, v26, s0
; %bb.20:                               ;   in Loop: Header=BB130_14 Depth=2
	s_or_saveexec_b32 s3, s3
	v_mov_b32_e32 v6, v21
	s_xor_b32 exec_lo, exec_lo, s3
	s_cbranch_execz .LBB130_13
; %bb.21:                               ;   in Loop: Header=BB130_14 Depth=2
	v_add_co_u32 v24, s0, s14, v24
	s_delay_alu instid0(VALU_DEP_1)
	v_add_co_ci_u32_e64 v25, s0, s15, v25, s0
	v_sub_nc_u32_e32 v6, v22, v23
	global_load_b64 v[24:25], v[24:25], off
	v_add_lshl_u32 v22, v31, v6, 3
	v_mov_b32_e32 v6, v4
	ds_store_b8 v28, v1 offset:8192
	s_waitcnt vmcnt(0)
	ds_store_b64 v22, v[24:25]
	s_branch .LBB130_13
.LBB130_22:                             ;   in Loop: Header=BB130_11 Depth=1
	s_or_b32 exec_lo, exec_lo, s27
.LBB130_23:                             ;   in Loop: Header=BB130_11 Depth=1
	s_delay_alu instid0(SALU_CYCLE_1)
	s_or_b32 exec_lo, exec_lo, s26
	ds_bpermute_b32 v4, v32, v6
	s_waitcnt lgkmcnt(0)
	buffer_gl0_inv
	ds_load_u8 v19, v28 offset:8192
	v_mov_b32_e32 v22, 0
	s_mov_b32 s0, exec_lo
	v_min_i32_e32 v4, v4, v6
	ds_bpermute_b32 v6, v33, v4
	s_waitcnt lgkmcnt(0)
	v_min_i32_e32 v4, v6, v4
	ds_bpermute_b32 v6, v34, v4
	v_and_b32_e32 v4, 1, v19
	s_delay_alu instid0(VALU_DEP_1)
	v_cmpx_eq_u32_e32 1, v4
	s_cbranch_execz .LBB130_10
; %bb.24:                               ;   in Loop: Header=BB130_11 Depth=1
	v_ashrrev_i32_e32 v4, 31, v3
	v_mul_lo_u32 v21, s20, v3
	v_mad_u64_u32 v[19:20], null, s21, v3, 0
	v_add_nc_u32_e32 v22, s19, v43
	s_delay_alu instid0(VALU_DEP_4) | instskip(SKIP_1) | instid1(VALU_DEP_1)
	v_mul_lo_u32 v23, s21, v4
	v_lshlrev_b64 v[24:25], 3, v[3:4]
	v_add_co_u32 v24, vcc_lo, s4, v24
	s_delay_alu instid0(VALU_DEP_3) | instskip(NEXT) | instid1(VALU_DEP_3)
	v_add3_u32 v20, v20, v23, v21
	v_add_co_ci_u32_e32 v25, vcc_lo, s5, v25, vcc_lo
	v_ashrrev_i32_e32 v23, 31, v22
	s_delay_alu instid0(VALU_DEP_3)
	v_lshlrev_b64 v[26:27], 3, v[19:20]
	global_store_b64 v[24:25], v[22:23], off
	v_add_co_u32 v20, vcc_lo, v29, v26
	v_add_co_ci_u32_e32 v21, vcc_lo, v30, v27, vcc_lo
	v_add_co_u32 v4, vcc_lo, v35, v26
	v_add_co_ci_u32_e32 v19, vcc_lo, v36, v27, vcc_lo
	s_and_saveexec_b32 s3, s23
	s_cbranch_execz .LBB130_28
; %bb.25:                               ;   in Loop: Header=BB130_11 Depth=1
	s_and_b32 vcc_lo, exec_lo, s22
	s_cbranch_vccz .LBB130_39
; %bb.26:                               ;   in Loop: Header=BB130_11 Depth=1
	ds_load_b64 v[22:23], v42
	v_add_co_u32 v24, vcc_lo, v20, v9
	v_add_co_ci_u32_e32 v25, vcc_lo, v21, v10, vcc_lo
	s_waitcnt lgkmcnt(0)
	global_store_b64 v[24:25], v[22:23], off
	s_cbranch_execnz .LBB130_28
.LBB130_27:                             ;   in Loop: Header=BB130_11 Depth=1
	ds_load_b64 v[22:23], v42
	v_lshlrev_b32_e32 v24, 3, v0
	s_delay_alu instid0(VALU_DEP_1)
	v_add_co_u32 v24, vcc_lo, v4, v24
	v_add_co_ci_u32_e32 v25, vcc_lo, 0, v19, vcc_lo
	s_waitcnt lgkmcnt(0)
	global_store_b64 v[24:25], v[22:23], off
.LBB130_28:                             ;   in Loop: Header=BB130_11 Depth=1
	s_or_b32 exec_lo, exec_lo, s3
	s_and_saveexec_b32 s3, s24
	s_cbranch_execz .LBB130_32
; %bb.29:                               ;   in Loop: Header=BB130_11 Depth=1
	s_and_not1_b32 vcc_lo, exec_lo, s22
	s_cbranch_vccnz .LBB130_40
; %bb.30:                               ;   in Loop: Header=BB130_11 Depth=1
	ds_load_b64 v[22:23], v42 offset:32
	v_add_co_u32 v24, vcc_lo, v20, v11
	v_add_co_ci_u32_e32 v25, vcc_lo, v21, v12, vcc_lo
	s_waitcnt lgkmcnt(0)
	global_store_b64 v[24:25], v[22:23], off
	s_cbranch_execnz .LBB130_32
.LBB130_31:                             ;   in Loop: Header=BB130_11 Depth=1
	ds_load_b64 v[22:23], v42 offset:32
	v_lshlrev_b32_e32 v24, 3, v0
	s_delay_alu instid0(VALU_DEP_1)
	v_add_co_u32 v24, vcc_lo, v4, v24
	v_add_co_ci_u32_e32 v25, vcc_lo, 0, v19, vcc_lo
	s_waitcnt lgkmcnt(0)
	global_store_b64 v[24:25], v[22:23], off offset:32
.LBB130_32:                             ;   in Loop: Header=BB130_11 Depth=1
	s_or_b32 exec_lo, exec_lo, s3
	s_and_saveexec_b32 s3, s1
	s_cbranch_execz .LBB130_36
; %bb.33:                               ;   in Loop: Header=BB130_11 Depth=1
	s_and_not1_b32 vcc_lo, exec_lo, s22
	s_cbranch_vccnz .LBB130_41
; %bb.34:                               ;   in Loop: Header=BB130_11 Depth=1
	ds_load_b64 v[22:23], v42 offset:64
	v_add_co_u32 v24, vcc_lo, v20, v13
	v_add_co_ci_u32_e32 v25, vcc_lo, v21, v14, vcc_lo
	s_waitcnt lgkmcnt(0)
	global_store_b64 v[24:25], v[22:23], off
	s_cbranch_execnz .LBB130_36
.LBB130_35:                             ;   in Loop: Header=BB130_11 Depth=1
	ds_load_b64 v[22:23], v42 offset:64
	v_lshlrev_b32_e32 v24, 3, v0
	s_delay_alu instid0(VALU_DEP_1)
	v_add_co_u32 v24, vcc_lo, v4, v24
	v_add_co_ci_u32_e32 v25, vcc_lo, 0, v19, vcc_lo
	s_waitcnt lgkmcnt(0)
	global_store_b64 v[24:25], v[22:23], off offset:64
.LBB130_36:                             ;   in Loop: Header=BB130_11 Depth=1
	s_or_b32 exec_lo, exec_lo, s3
	v_mov_b32_e32 v22, 1
	s_and_saveexec_b32 s3, s11
	s_cbranch_execz .LBB130_9
; %bb.37:                               ;   in Loop: Header=BB130_11 Depth=1
	s_and_not1_b32 vcc_lo, exec_lo, s22
	s_cbranch_vccnz .LBB130_42
; %bb.38:                               ;   in Loop: Header=BB130_11 Depth=1
	ds_load_b64 v[22:23], v42 offset:96
	v_add_co_u32 v20, vcc_lo, v20, v15
	v_add_co_ci_u32_e32 v21, vcc_lo, v21, v16, vcc_lo
	s_mov_b32 s16, 1
	s_waitcnt lgkmcnt(0)
	global_store_b64 v[20:21], v[22:23], off
	s_cbranch_execnz .LBB130_8
	s_branch .LBB130_43
.LBB130_39:                             ;   in Loop: Header=BB130_11 Depth=1
	s_branch .LBB130_27
.LBB130_40:                             ;   in Loop: Header=BB130_11 Depth=1
	s_branch .LBB130_31
.LBB130_41:                             ;   in Loop: Header=BB130_11 Depth=1
	s_branch .LBB130_35
.LBB130_42:                             ;   in Loop: Header=BB130_11 Depth=1
                                        ; implicit-def: $sgpr16
.LBB130_43:                             ;   in Loop: Header=BB130_11 Depth=1
	ds_load_b64 v[20:21], v42 offset:96
	v_lshlrev_b32_e32 v22, 3, v0
	s_mov_b32 s16, 1
	s_delay_alu instid0(VALU_DEP_1)
	v_add_co_u32 v22, vcc_lo, v4, v22
	v_add_co_ci_u32_e32 v23, vcc_lo, 0, v19, vcc_lo
	s_waitcnt lgkmcnt(0)
	global_store_b64 v[22:23], v[20:21], off offset:96
	s_branch .LBB130_8
.LBB130_44:
	s_endpgm
	.section	.rodata,"a",@progbits
	.p2align	6, 0x0
	.amdhsa_kernel _ZN9rocsparseL42csr2bsr_wavefront_per_row_multipass_kernelILj256ELj64ELj16EdilEEv20rocsparse_direction_T4_S2_S2_S2_S2_21rocsparse_index_base_PKT2_PKT3_PKS2_S3_PS4_PS7_PS2_
		.amdhsa_group_segment_fixed_size 8200
		.amdhsa_private_segment_fixed_size 0
		.amdhsa_kernarg_size 112
		.amdhsa_user_sgpr_count 15
		.amdhsa_user_sgpr_dispatch_ptr 0
		.amdhsa_user_sgpr_queue_ptr 0
		.amdhsa_user_sgpr_kernarg_segment_ptr 1
		.amdhsa_user_sgpr_dispatch_id 0
		.amdhsa_user_sgpr_private_segment_size 0
		.amdhsa_wavefront_size32 1
		.amdhsa_uses_dynamic_stack 0
		.amdhsa_enable_private_segment 0
		.amdhsa_system_sgpr_workgroup_id_x 1
		.amdhsa_system_sgpr_workgroup_id_y 0
		.amdhsa_system_sgpr_workgroup_id_z 0
		.amdhsa_system_sgpr_workgroup_info 0
		.amdhsa_system_vgpr_workitem_id 0
		.amdhsa_next_free_vgpr 53
		.amdhsa_next_free_sgpr 29
		.amdhsa_reserve_vcc 1
		.amdhsa_float_round_mode_32 0
		.amdhsa_float_round_mode_16_64 0
		.amdhsa_float_denorm_mode_32 3
		.amdhsa_float_denorm_mode_16_64 3
		.amdhsa_dx10_clamp 1
		.amdhsa_ieee_mode 1
		.amdhsa_fp16_overflow 0
		.amdhsa_workgroup_processor_mode 1
		.amdhsa_memory_ordered 1
		.amdhsa_forward_progress 0
		.amdhsa_shared_vgpr_count 0
		.amdhsa_exception_fp_ieee_invalid_op 0
		.amdhsa_exception_fp_denorm_src 0
		.amdhsa_exception_fp_ieee_div_zero 0
		.amdhsa_exception_fp_ieee_overflow 0
		.amdhsa_exception_fp_ieee_underflow 0
		.amdhsa_exception_fp_ieee_inexact 0
		.amdhsa_exception_int_div_zero 0
	.end_amdhsa_kernel
	.section	.text._ZN9rocsparseL42csr2bsr_wavefront_per_row_multipass_kernelILj256ELj64ELj16EdilEEv20rocsparse_direction_T4_S2_S2_S2_S2_21rocsparse_index_base_PKT2_PKT3_PKS2_S3_PS4_PS7_PS2_,"axG",@progbits,_ZN9rocsparseL42csr2bsr_wavefront_per_row_multipass_kernelILj256ELj64ELj16EdilEEv20rocsparse_direction_T4_S2_S2_S2_S2_21rocsparse_index_base_PKT2_PKT3_PKS2_S3_PS4_PS7_PS2_,comdat
.Lfunc_end130:
	.size	_ZN9rocsparseL42csr2bsr_wavefront_per_row_multipass_kernelILj256ELj64ELj16EdilEEv20rocsparse_direction_T4_S2_S2_S2_S2_21rocsparse_index_base_PKT2_PKT3_PKS2_S3_PS4_PS7_PS2_, .Lfunc_end130-_ZN9rocsparseL42csr2bsr_wavefront_per_row_multipass_kernelILj256ELj64ELj16EdilEEv20rocsparse_direction_T4_S2_S2_S2_S2_21rocsparse_index_base_PKT2_PKT3_PKS2_S3_PS4_PS7_PS2_
                                        ; -- End function
	.section	.AMDGPU.csdata,"",@progbits
; Kernel info:
; codeLenInByte = 3132
; NumSgprs: 31
; NumVgprs: 53
; ScratchSize: 0
; MemoryBound: 0
; FloatMode: 240
; IeeeMode: 1
; LDSByteSize: 8200 bytes/workgroup (compile time only)
; SGPRBlocks: 3
; VGPRBlocks: 6
; NumSGPRsForWavesPerEU: 31
; NumVGPRsForWavesPerEU: 53
; Occupancy: 16
; WaveLimiterHint : 0
; COMPUTE_PGM_RSRC2:SCRATCH_EN: 0
; COMPUTE_PGM_RSRC2:USER_SGPR: 15
; COMPUTE_PGM_RSRC2:TRAP_HANDLER: 0
; COMPUTE_PGM_RSRC2:TGID_X_EN: 1
; COMPUTE_PGM_RSRC2:TGID_Y_EN: 0
; COMPUTE_PGM_RSRC2:TGID_Z_EN: 0
; COMPUTE_PGM_RSRC2:TIDIG_COMP_CNT: 0
	.section	.text._ZN9rocsparseL42csr2bsr_wavefront_per_row_multipass_kernelILj256ELj32ELj16EdilEEv20rocsparse_direction_T4_S2_S2_S2_S2_21rocsparse_index_base_PKT2_PKT3_PKS2_S3_PS4_PS7_PS2_,"axG",@progbits,_ZN9rocsparseL42csr2bsr_wavefront_per_row_multipass_kernelILj256ELj32ELj16EdilEEv20rocsparse_direction_T4_S2_S2_S2_S2_21rocsparse_index_base_PKT2_PKT3_PKS2_S3_PS4_PS7_PS2_,comdat
	.globl	_ZN9rocsparseL42csr2bsr_wavefront_per_row_multipass_kernelILj256ELj32ELj16EdilEEv20rocsparse_direction_T4_S2_S2_S2_S2_21rocsparse_index_base_PKT2_PKT3_PKS2_S3_PS4_PS7_PS2_ ; -- Begin function _ZN9rocsparseL42csr2bsr_wavefront_per_row_multipass_kernelILj256ELj32ELj16EdilEEv20rocsparse_direction_T4_S2_S2_S2_S2_21rocsparse_index_base_PKT2_PKT3_PKS2_S3_PS4_PS7_PS2_
	.p2align	8
	.type	_ZN9rocsparseL42csr2bsr_wavefront_per_row_multipass_kernelILj256ELj32ELj16EdilEEv20rocsparse_direction_T4_S2_S2_S2_S2_21rocsparse_index_base_PKT2_PKT3_PKS2_S3_PS4_PS7_PS2_,@function
_ZN9rocsparseL42csr2bsr_wavefront_per_row_multipass_kernelILj256ELj32ELj16EdilEEv20rocsparse_direction_T4_S2_S2_S2_S2_21rocsparse_index_base_PKT2_PKT3_PKS2_S3_PS4_PS7_PS2_: ; @_ZN9rocsparseL42csr2bsr_wavefront_per_row_multipass_kernelILj256ELj32ELj16EdilEEv20rocsparse_direction_T4_S2_S2_S2_S2_21rocsparse_index_base_PKT2_PKT3_PKS2_S3_PS4_PS7_PS2_
; %bb.0:
	s_load_b64 s[12:13], s[0:1], 0x28
	v_lshrrev_b32_e32 v34, 5, v0
	s_mov_b32 s4, s15
	s_ashr_i32 s5, s15, 31
	s_clause 0x1
	s_load_b64 s[14:15], s[0:1], 0x8
	s_load_b128 s[8:11], s[0:1], 0x18
	s_lshl_b64 s[2:3], s[4:5], 3
	v_mov_b32_e32 v2, 0
	v_or_b32_e32 v5, s2, v34
	v_bfe_u32 v1, v0, 1, 4
	s_clause 0x1
	s_load_b32 s20, s[0:1], 0x30
	s_load_b64 s[6:7], s[0:1], 0x40
	s_waitcnt lgkmcnt(0)
	v_mul_lo_u32 v6, v5, s13
	v_mad_u64_u32 v[3:4], null, v5, s12, v[1:2]
	s_mul_i32 s2, s3, s12
	s_delay_alu instid0(VALU_DEP_1) | instid1(SALU_CYCLE_1)
	v_add3_u32 v4, s2, v4, v6
	v_cmp_gt_i64_e64 s2, s[12:13], v[1:2]
	v_mov_b32_e32 v6, v2
	s_delay_alu instid0(VALU_DEP_3) | instskip(NEXT) | instid1(VALU_DEP_3)
	v_cmp_gt_i64_e32 vcc_lo, s[14:15], v[3:4]
	s_and_b32 s3, s2, vcc_lo
	s_delay_alu instid0(SALU_CYCLE_1)
	s_and_saveexec_b32 s5, s3
	s_cbranch_execz .LBB131_2
; %bb.1:
	v_lshlrev_b64 v[5:6], 2, v[3:4]
	s_delay_alu instid0(VALU_DEP_1) | instskip(NEXT) | instid1(VALU_DEP_2)
	v_add_co_u32 v5, vcc_lo, s6, v5
	v_add_co_ci_u32_e32 v6, vcc_lo, s7, v6, vcc_lo
	global_load_b32 v5, v[5:6], off
	s_waitcnt vmcnt(0)
	v_subrev_nc_u32_e32 v6, s20, v5
.LBB131_2:
	s_or_b32 exec_lo, exec_lo, s5
	s_and_saveexec_b32 s5, s3
	s_cbranch_execz .LBB131_4
; %bb.3:
	v_lshlrev_b64 v[2:3], 2, v[3:4]
	s_delay_alu instid0(VALU_DEP_1) | instskip(NEXT) | instid1(VALU_DEP_2)
	v_add_co_u32 v2, vcc_lo, s6, v2
	v_add_co_ci_u32_e32 v3, vcc_lo, s7, v3, vcc_lo
	global_load_b32 v2, v[2:3], off offset:4
	s_waitcnt vmcnt(0)
	v_subrev_nc_u32_e32 v2, s20, v2
.LBB131_4:
	s_or_b32 exec_lo, exec_lo, s5
	s_load_b32 s21, s[0:1], 0x50
	v_mov_b32_e32 v5, 0
	v_lshl_or_b32 v4, s4, 3, v34
	s_mov_b32 s3, exec_lo
	s_delay_alu instid0(VALU_DEP_2) | instskip(NEXT) | instid1(VALU_DEP_2)
	v_mov_b32_e32 v3, v5
	v_cmpx_gt_i64_e64 s[8:9], v[4:5]
	s_cbranch_execz .LBB131_6
; %bb.5:
	s_load_b64 s[4:5], s[0:1], 0x60
	v_lshlrev_b64 v[3:4], 2, v[4:5]
	s_waitcnt lgkmcnt(0)
	s_delay_alu instid0(VALU_DEP_1) | instskip(NEXT) | instid1(VALU_DEP_2)
	v_add_co_u32 v3, vcc_lo, s4, v3
	v_add_co_ci_u32_e32 v4, vcc_lo, s5, v4, vcc_lo
	global_load_b32 v3, v[3:4], off
	s_waitcnt vmcnt(0)
	v_subrev_nc_u32_e32 v3, s21, v3
.LBB131_6:
	s_or_b32 exec_lo, exec_lo, s3
	v_cmp_lt_i64_e64 s3, s[10:11], 1
	s_delay_alu instid0(VALU_DEP_1)
	s_and_b32 vcc_lo, exec_lo, s3
	s_cbranch_vccnz .LBB131_64
; %bb.7:
	v_mad_u64_u32 v[7:8], null, v1, s12, 0
	s_mul_i32 s3, s12, s13
	s_mul_hi_u32 s4, s12, s12
	v_mbcnt_lo_u32_b32 v10, -1, 0
	s_add_i32 s6, s4, s3
	s_clause 0x4
	s_load_b64 s[4:5], s[0:1], 0x58
	s_load_b64 s[8:9], s[0:1], 0x68
	;; [unrolled: 1-line block ×4, first 2 shown]
	s_load_b32 s0, s[0:1], 0x0
	v_mov_b32_e32 v4, v8
	s_add_i32 s22, s6, s3
	v_lshl_or_b32 v39, v10, 2, 4
	s_mov_b32 s18, 0
	s_mul_i32 s23, s12, s12
	v_mad_u64_u32 v[8:9], null, v1, s13, v[4:5]
	v_lshlrev_b32_e32 v9, 3, v1
	v_xor_b32_e32 v4, 1, v10
	s_mov_b32 s19, s18
	s_mov_b32 s31, s18
	v_mov_b32_e32 v46, 0x7c
	s_delay_alu instid0(VALU_DEP_2)
	v_cmp_gt_i32_e32 vcc_lo, 32, v4
	v_lshlrev_b64 v[7:8], 3, v[7:8]
	v_mov_b32_e32 v5, 0
	s_waitcnt lgkmcnt(0)
	v_add_co_u32 v35, s1, s4, v9
	v_cndmask_b32_e32 v4, v10, v4, vcc_lo
	s_delay_alu instid0(VALU_DEP_4) | instskip(SKIP_2) | instid1(VALU_DEP_4)
	v_add_co_u32 v40, vcc_lo, s4, v7
	v_xor_b32_e32 v7, 4, v10
	v_add_co_ci_u32_e32 v41, vcc_lo, s5, v8, vcc_lo
	v_lshlrev_b32_e32 v38, 2, v4
	v_xor_b32_e32 v4, 8, v10
	v_lshlrev_b32_e32 v11, 8, v34
	v_xor_b32_e32 v8, 2, v10
	s_cmp_lg_u32 s0, 0
	v_add_co_ci_u32_e64 v36, null, s5, 0, s1
	s_delay_alu instid0(VALU_DEP_3)
	v_lshl_or_b32 v37, v1, 4, v11
	v_xor_b32_e32 v1, 16, v10
	v_mov_b32_e32 v14, v5
	v_mov_b32_e32 v26, v5
	s_cselect_b32 s24, -1, 0
	s_sub_i32 s30, 0, s12
	v_cmp_gt_i32_e32 vcc_lo, 32, v1
	v_dual_cndmask_b32 v1, v10, v1 :: v_dual_and_b32 v0, 1, v0
	v_cmp_gt_i32_e32 vcc_lo, 32, v4
	s_delay_alu instid0(VALU_DEP_2)
	v_or_b32_e32 v9, 4, v0
	v_or_b32_e32 v13, 6, v0
	;; [unrolled: 1-line block ×3, first 2 shown]
	v_lshlrev_b32_e32 v42, 2, v1
	v_cndmask_b32_e32 v4, v10, v4, vcc_lo
	v_cmp_gt_i32_e32 vcc_lo, 32, v7
	v_or_b32_e32 v1, v37, v0
	v_mad_u64_u32 v[15:16], null, v9, s12, 0
	v_mad_u64_u32 v[17:18], null, v13, s12, 0
	v_cndmask_b32_e32 v7, v10, v7, vcc_lo
	v_cmp_gt_i32_e32 vcc_lo, 32, v8
	v_lshlrev_b32_e32 v47, 3, v1
	v_mov_b32_e32 v1, v5
	v_lshlrev_b32_e32 v43, 2, v4
	v_lshlrev_b32_e32 v44, 2, v7
	v_or_b32_e32 v7, 2, v0
	v_cndmask_b32_e32 v8, v10, v8, vcc_lo
	v_cmp_gt_u64_e32 vcc_lo, s[12:13], v[0:1]
	v_mov_b32_e32 v4, v16
	v_cmp_gt_u64_e64 s3, s[12:13], v[13:14]
	v_mad_u64_u32 v[11:12], null, v7, s12, 0
	v_dual_mov_b32 v8, v5 :: v_dual_lshlrev_b32 v45, 2, v8
	v_mad_u64_u32 v[29:30], null, v25, s12, 0
	v_mul_lo_u32 v20, v0, s13
	v_mul_lo_u32 v19, v0, s12
	v_mov_b32_e32 v1, v12
	v_cmp_gt_u64_e64 s0, s[12:13], v[7:8]
	v_cmp_gt_u64_e64 s7, s[12:13], v[25:26]
	s_and_b32 s25, s2, vcc_lo
	s_and_b32 s27, s2, s3
	v_mad_u64_u32 v[21:22], null, v7, s13, v[1:2]
	v_mov_b32_e32 v1, v18
	v_mad_u64_u32 v[22:23], null, v9, s13, v[4:5]
	v_or_b32_e32 v7, 8, v0
	s_and_b32 s26, s2, s0
	s_delay_alu instid0(VALU_DEP_3)
	v_mad_u64_u32 v[23:24], null, v13, s13, v[1:2]
	v_mov_b32_e32 v12, v21
	v_or_b32_e32 v13, 12, v0
	v_mov_b32_e32 v16, v22
	v_mad_u64_u32 v[21:22], null, v7, s12, 0
	v_mov_b32_e32 v10, v5
	v_mov_b32_e32 v18, v23
	v_mad_u64_u32 v[27:28], null, v13, s12, 0
	v_cmp_gt_u64_e64 s4, s[12:13], v[7:8]
	s_and_b32 s7, s2, s7
	v_mov_b32_e32 v1, v22
	v_cmp_gt_u64_e64 s1, s[12:13], v[9:10]
	v_or_b32_e32 v9, 10, v0
	s_delay_alu instid0(VALU_DEP_4) | instskip(NEXT) | instid1(VALU_DEP_3)
	s_and_b32 s28, s2, s4
	v_mad_u64_u32 v[31:32], null, v7, s13, v[1:2]
	s_delay_alu instid0(VALU_DEP_2)
	v_mad_u64_u32 v[23:24], null, v9, s12, 0
	v_mov_b32_e32 v1, v28
	v_cmp_gt_u64_e64 s5, s[12:13], v[9:10]
	v_cmp_gt_u64_e64 s6, s[12:13], v[13:14]
	s_and_b32 s1, s2, s1
	v_mov_b32_e32 v22, v31
	v_mad_u64_u32 v[32:33], null, v13, s13, v[1:2]
	v_mov_b32_e32 v4, v24
	v_lshlrev_b64 v[13:14], 3, v[17:18]
	v_mov_b32_e32 v1, 1
	s_and_b32 s29, s2, s5
	s_and_b32 s6, s2, s6
	v_mad_u64_u32 v[7:8], null, v9, s13, v[4:5]
	v_mov_b32_e32 v4, v30
	v_mov_b32_e32 v28, v32
	s_ashr_i32 s2, s13, 31
	s_delay_alu instid0(VALU_DEP_2) | instskip(NEXT) | instid1(VALU_DEP_4)
	v_mad_u64_u32 v[48:49], null, v25, s13, v[4:5]
	v_dual_mov_b32 v24, v7 :: v_dual_mov_b32 v25, 0
	v_lshlrev_b64 v[7:8], 3, v[19:20]
	v_lshlrev_b64 v[9:10], 3, v[11:12]
	;; [unrolled: 1-line block ×4, first 2 shown]
	v_mov_b32_e32 v30, v48
	v_lshlrev_b64 v[17:18], 3, v[23:24]
	v_lshlrev_b64 v[19:20], 3, v[27:28]
	v_mov_b32_e32 v26, 0
	v_mov_b32_e32 v48, 0
	v_lshlrev_b64 v[21:22], 3, v[29:30]
	s_branch .LBB131_11
.LBB131_8:                              ;   in Loop: Header=BB131_11 Depth=1
	v_mov_b32_e32 v28, s4
.LBB131_9:                              ;   in Loop: Header=BB131_11 Depth=1
	s_or_b32 exec_lo, exec_lo, s3
.LBB131_10:                             ;   in Loop: Header=BB131_11 Depth=1
	s_delay_alu instid0(SALU_CYCLE_1)
	s_or_b32 exec_lo, exec_lo, s0
	ds_bpermute_b32 v25, v42, v23
	ds_bpermute_b32 v26, v42, v24
	s_waitcnt lgkmcnt(0)
	s_waitcnt_vscnt null, 0x0
	buffer_gl0_inv
	buffer_gl0_inv
	v_add_nc_u32_e32 v3, v28, v3
	v_cmp_lt_i64_e32 vcc_lo, v[25:26], v[23:24]
	v_dual_cndmask_b32 v24, v24, v26 :: v_dual_cndmask_b32 v23, v23, v25
	ds_bpermute_b32 v26, v43, v24
	ds_bpermute_b32 v25, v43, v23
	s_waitcnt lgkmcnt(0)
	v_cmp_lt_i64_e32 vcc_lo, v[25:26], v[23:24]
	v_dual_cndmask_b32 v24, v24, v26 :: v_dual_cndmask_b32 v23, v23, v25
	ds_bpermute_b32 v26, v44, v24
	ds_bpermute_b32 v25, v44, v23
	s_waitcnt lgkmcnt(0)
	v_cmp_lt_i64_e32 vcc_lo, v[25:26], v[23:24]
	v_dual_cndmask_b32 v24, v24, v26 :: v_dual_cndmask_b32 v23, v23, v25
	ds_bpermute_b32 v26, v45, v24
	ds_bpermute_b32 v25, v45, v23
	s_waitcnt lgkmcnt(0)
	v_cmp_lt_i64_e32 vcc_lo, v[25:26], v[23:24]
	v_dual_cndmask_b32 v24, v24, v26 :: v_dual_cndmask_b32 v23, v23, v25
	ds_bpermute_b32 v26, v38, v24
	ds_bpermute_b32 v25, v38, v23
	s_waitcnt lgkmcnt(0)
	v_cmp_lt_i64_e32 vcc_lo, v[25:26], v[23:24]
	v_cndmask_b32_e32 v4, v23, v25, vcc_lo
	ds_bpermute_b32 v25, v46, v4
	s_waitcnt lgkmcnt(0)
	v_ashrrev_i32_e32 v26, 31, v25
	v_mov_b32_e32 v48, v25
	s_delay_alu instid0(VALU_DEP_2) | instskip(SKIP_1) | instid1(SALU_CYCLE_1)
	v_cmp_le_i64_e32 vcc_lo, s[10:11], v[25:26]
	s_or_b32 s31, vcc_lo, s31
	s_and_not1_b32 exec_lo, exec_lo, s31
	s_cbranch_execz .LBB131_64
.LBB131_11:                             ; =>This Loop Header: Depth=1
                                        ;     Child Loop BB131_14 Depth 2
	v_dual_mov_b32 v24, s11 :: v_dual_add_nc_u32 v27, v6, v0
	v_dual_mov_b32 v29, s19 :: v_dual_mov_b32 v28, s18
	v_dual_mov_b32 v23, s10 :: v_dual_mov_b32 v6, v2
	s_mov_b32 s33, exec_lo
	ds_store_b8 v34, v5 offset:16384
	ds_store_2addr_b64 v47, v[28:29], v[28:29] offset1:2
	ds_store_2addr_b64 v47, v[28:29], v[28:29] offset0:4 offset1:6
	ds_store_2addr_b64 v47, v[28:29], v[28:29] offset0:8 offset1:10
	;; [unrolled: 1-line block ×3, first 2 shown]
	s_waitcnt lgkmcnt(0)
	buffer_gl0_inv
	v_cmpx_lt_i32_e64 v27, v2
	s_cbranch_execz .LBB131_23
; %bb.12:                               ;   in Loop: Header=BB131_11 Depth=1
	v_mad_u64_u32 v[29:30], null, v25, s12, 0
	v_dual_mov_b32 v24, s11 :: v_dual_mov_b32 v23, s10
	v_mov_b32_e32 v4, v2
	s_mov_b32 s34, 0
	s_branch .LBB131_14
.LBB131_13:                             ;   in Loop: Header=BB131_14 Depth=2
	s_or_b32 exec_lo, exec_lo, s3
	s_delay_alu instid0(VALU_DEP_1) | instskip(SKIP_1) | instid1(VALU_DEP_1)
	v_dual_mov_b32 v4, v6 :: v_dual_add_nc_u32 v27, 2, v27
	s_xor_b32 s3, vcc_lo, -1
	v_cmp_ge_i32_e64 s0, v27, v2
	s_delay_alu instid0(VALU_DEP_1) | instskip(NEXT) | instid1(SALU_CYCLE_1)
	s_or_b32 s0, s3, s0
	s_and_b32 s0, exec_lo, s0
	s_delay_alu instid0(SALU_CYCLE_1) | instskip(NEXT) | instid1(SALU_CYCLE_1)
	s_or_b32 s34, s0, s34
	s_and_not1_b32 exec_lo, exec_lo, s34
	s_cbranch_execz .LBB131_22
.LBB131_14:                             ;   Parent Loop BB131_11 Depth=1
                                        ; =>  This Inner Loop Header: Depth=2
	v_ashrrev_i32_e32 v28, 31, v27
	s_mov_b32 s0, exec_lo
	s_delay_alu instid0(VALU_DEP_1) | instskip(NEXT) | instid1(VALU_DEP_1)
	v_lshlrev_b64 v[30:31], 3, v[27:28]
	v_add_co_u32 v32, vcc_lo, s14, v30
	s_delay_alu instid0(VALU_DEP_2) | instskip(SKIP_4) | instid1(VALU_DEP_1)
	v_add_co_ci_u32_e32 v33, vcc_lo, s15, v31, vcc_lo
	global_load_b64 v[32:33], v[32:33], off
	s_waitcnt vmcnt(0)
	v_sub_co_u32 v28, vcc_lo, v32, s20
	v_subrev_co_ci_u32_e32 v49, vcc_lo, 0, v33, vcc_lo
                                        ; implicit-def: $vgpr32_vgpr33
	v_or_b32_e32 v6, s13, v49
	s_delay_alu instid0(VALU_DEP_1)
	v_cmpx_ne_u64_e32 0, v[5:6]
	s_xor_b32 s35, exec_lo, s0
	s_cbranch_execz .LBB131_16
; %bb.15:                               ;   in Loop: Header=BB131_14 Depth=2
	s_add_u32 s4, s12, s2
	s_mov_b32 s3, s2
	s_addc_u32 s5, s13, s2
	s_delay_alu instid0(SALU_CYCLE_1) | instskip(NEXT) | instid1(SALU_CYCLE_1)
	s_xor_b64 s[4:5], s[4:5], s[2:3]
	v_cvt_f32_u32_e32 v6, s4
	v_cvt_f32_u32_e32 v32, s5
	s_sub_u32 s0, 0, s4
	s_subb_u32 s3, 0, s5
	s_delay_alu instid0(VALU_DEP_1) | instskip(NEXT) | instid1(VALU_DEP_1)
	v_fmac_f32_e32 v6, 0x4f800000, v32
	v_rcp_f32_e32 v6, v6
	s_waitcnt_depctr 0xfff
	v_mul_f32_e32 v6, 0x5f7ffffc, v6
	s_delay_alu instid0(VALU_DEP_1) | instskip(NEXT) | instid1(VALU_DEP_1)
	v_mul_f32_e32 v32, 0x2f800000, v6
	v_trunc_f32_e32 v32, v32
	s_delay_alu instid0(VALU_DEP_1) | instskip(SKIP_1) | instid1(VALU_DEP_2)
	v_fmac_f32_e32 v6, 0xcf800000, v32
	v_cvt_u32_f32_e32 v32, v32
	v_cvt_u32_f32_e32 v6, v6
	s_delay_alu instid0(VALU_DEP_2) | instskip(NEXT) | instid1(VALU_DEP_2)
	v_mul_lo_u32 v33, s0, v32
	v_mul_hi_u32 v50, s0, v6
	v_mul_lo_u32 v51, s3, v6
	s_delay_alu instid0(VALU_DEP_2) | instskip(SKIP_1) | instid1(VALU_DEP_2)
	v_add_nc_u32_e32 v33, v50, v33
	v_mul_lo_u32 v50, s0, v6
	v_add_nc_u32_e32 v33, v33, v51
	s_delay_alu instid0(VALU_DEP_2) | instskip(NEXT) | instid1(VALU_DEP_2)
	v_mul_hi_u32 v51, v6, v50
	v_mul_lo_u32 v52, v6, v33
	v_mul_hi_u32 v53, v6, v33
	v_mul_hi_u32 v54, v32, v50
	v_mul_lo_u32 v50, v32, v50
	v_mul_hi_u32 v55, v32, v33
	v_mul_lo_u32 v33, v32, v33
	v_add_co_u32 v51, vcc_lo, v51, v52
	v_add_co_ci_u32_e32 v52, vcc_lo, 0, v53, vcc_lo
	s_delay_alu instid0(VALU_DEP_2) | instskip(NEXT) | instid1(VALU_DEP_2)
	v_add_co_u32 v50, vcc_lo, v51, v50
	v_add_co_ci_u32_e32 v50, vcc_lo, v52, v54, vcc_lo
	v_add_co_ci_u32_e32 v51, vcc_lo, 0, v55, vcc_lo
	v_ashrrev_i32_e32 v54, 31, v49
	s_delay_alu instid0(VALU_DEP_3) | instskip(NEXT) | instid1(VALU_DEP_3)
	v_add_co_u32 v33, vcc_lo, v50, v33
	v_add_co_ci_u32_e32 v50, vcc_lo, 0, v51, vcc_lo
	s_delay_alu instid0(VALU_DEP_2) | instskip(NEXT) | instid1(VALU_DEP_2)
	v_add_co_u32 v6, vcc_lo, v6, v33
	v_add_co_ci_u32_e32 v32, vcc_lo, v32, v50, vcc_lo
	s_delay_alu instid0(VALU_DEP_2) | instskip(SKIP_1) | instid1(VALU_DEP_3)
	v_mul_hi_u32 v33, s0, v6
	v_mul_lo_u32 v51, s3, v6
	v_mul_lo_u32 v50, s0, v32
	s_delay_alu instid0(VALU_DEP_1) | instskip(SKIP_1) | instid1(VALU_DEP_2)
	v_add_nc_u32_e32 v33, v33, v50
	v_mul_lo_u32 v50, s0, v6
	v_add_nc_u32_e32 v33, v33, v51
	s_delay_alu instid0(VALU_DEP_2) | instskip(NEXT) | instid1(VALU_DEP_2)
	v_mul_hi_u32 v51, v6, v50
	v_mul_lo_u32 v52, v6, v33
	v_mul_hi_u32 v53, v6, v33
	v_mul_hi_u32 v55, v32, v50
	v_mul_lo_u32 v50, v32, v50
	v_mul_hi_u32 v56, v32, v33
	v_mul_lo_u32 v33, v32, v33
	v_add_co_u32 v51, vcc_lo, v51, v52
	v_add_co_ci_u32_e32 v52, vcc_lo, 0, v53, vcc_lo
	s_delay_alu instid0(VALU_DEP_2) | instskip(NEXT) | instid1(VALU_DEP_2)
	v_add_co_u32 v50, vcc_lo, v51, v50
	v_add_co_ci_u32_e32 v50, vcc_lo, v52, v55, vcc_lo
	v_add_co_ci_u32_e32 v51, vcc_lo, 0, v56, vcc_lo
	v_add_co_u32 v52, vcc_lo, v28, v54
	v_add_co_ci_u32_e32 v49, vcc_lo, v49, v54, vcc_lo
	s_delay_alu instid0(VALU_DEP_4) | instskip(NEXT) | instid1(VALU_DEP_4)
	v_add_co_u32 v33, vcc_lo, v50, v33
	v_add_co_ci_u32_e32 v50, vcc_lo, 0, v51, vcc_lo
	s_delay_alu instid0(VALU_DEP_4) | instskip(NEXT) | instid1(VALU_DEP_3)
	v_xor_b32_e32 v53, v52, v54
	v_add_co_u32 v6, vcc_lo, v6, v33
	s_delay_alu instid0(VALU_DEP_3) | instskip(SKIP_1) | instid1(VALU_DEP_3)
	v_add_co_ci_u32_e32 v55, vcc_lo, v32, v50, vcc_lo
	v_xor_b32_e32 v56, v49, v54
	v_mul_hi_u32 v57, v53, v6
	s_delay_alu instid0(VALU_DEP_3) | instskip(NEXT) | instid1(VALU_DEP_3)
	v_mad_u64_u32 v[32:33], null, v53, v55, 0
	v_mad_u64_u32 v[49:50], null, v56, v6, 0
	;; [unrolled: 1-line block ×3, first 2 shown]
	s_delay_alu instid0(VALU_DEP_3) | instskip(NEXT) | instid1(VALU_DEP_4)
	v_add_co_u32 v6, vcc_lo, v57, v32
	v_add_co_ci_u32_e32 v32, vcc_lo, 0, v33, vcc_lo
	s_delay_alu instid0(VALU_DEP_2) | instskip(NEXT) | instid1(VALU_DEP_2)
	v_add_co_u32 v6, vcc_lo, v6, v49
	v_add_co_ci_u32_e32 v6, vcc_lo, v32, v50, vcc_lo
	v_add_co_ci_u32_e32 v32, vcc_lo, 0, v52, vcc_lo
	s_delay_alu instid0(VALU_DEP_2) | instskip(NEXT) | instid1(VALU_DEP_2)
	v_add_co_u32 v6, vcc_lo, v6, v51
	v_add_co_ci_u32_e32 v49, vcc_lo, 0, v32, vcc_lo
	s_delay_alu instid0(VALU_DEP_2) | instskip(SKIP_1) | instid1(VALU_DEP_3)
	v_mul_lo_u32 v50, s5, v6
	v_mad_u64_u32 v[32:33], null, s4, v6, 0
	v_mul_lo_u32 v51, s4, v49
	s_delay_alu instid0(VALU_DEP_2) | instskip(NEXT) | instid1(VALU_DEP_2)
	v_sub_co_u32 v32, vcc_lo, v53, v32
	v_add3_u32 v33, v33, v51, v50
	s_delay_alu instid0(VALU_DEP_1) | instskip(NEXT) | instid1(VALU_DEP_1)
	v_sub_nc_u32_e32 v50, v56, v33
	v_subrev_co_ci_u32_e64 v50, s0, s5, v50, vcc_lo
	v_add_co_u32 v51, s0, v6, 2
	s_delay_alu instid0(VALU_DEP_1) | instskip(SKIP_3) | instid1(VALU_DEP_3)
	v_add_co_ci_u32_e64 v52, s0, 0, v49, s0
	v_sub_co_u32 v53, s0, v32, s4
	v_sub_co_ci_u32_e32 v33, vcc_lo, v56, v33, vcc_lo
	v_subrev_co_ci_u32_e64 v50, s0, 0, v50, s0
	v_cmp_le_u32_e32 vcc_lo, s4, v53
	s_delay_alu instid0(VALU_DEP_3) | instskip(SKIP_1) | instid1(VALU_DEP_4)
	v_cmp_eq_u32_e64 s0, s5, v33
	v_cndmask_b32_e64 v53, 0, -1, vcc_lo
	v_cmp_le_u32_e32 vcc_lo, s5, v50
	v_cndmask_b32_e64 v55, 0, -1, vcc_lo
	v_cmp_le_u32_e32 vcc_lo, s4, v32
	;; [unrolled: 2-line block ×3, first 2 shown]
	v_cndmask_b32_e64 v56, 0, -1, vcc_lo
	v_cmp_eq_u32_e32 vcc_lo, s5, v50
	s_delay_alu instid0(VALU_DEP_2) | instskip(SKIP_3) | instid1(VALU_DEP_3)
	v_cndmask_b32_e64 v32, v56, v32, s0
	v_cndmask_b32_e32 v50, v55, v53, vcc_lo
	v_add_co_u32 v53, vcc_lo, v6, 1
	v_add_co_ci_u32_e32 v55, vcc_lo, 0, v49, vcc_lo
	v_cmp_ne_u32_e32 vcc_lo, 0, v50
	s_delay_alu instid0(VALU_DEP_2) | instskip(SKIP_2) | instid1(VALU_DEP_3)
	v_dual_cndmask_b32 v33, v55, v52 :: v_dual_cndmask_b32 v50, v53, v51
	v_cmp_ne_u32_e32 vcc_lo, 0, v32
	v_xor_b32_e32 v51, s2, v54
	v_cndmask_b32_e32 v6, v6, v50, vcc_lo
	s_delay_alu instid0(VALU_DEP_4) | instskip(NEXT) | instid1(VALU_DEP_2)
	v_cndmask_b32_e32 v32, v49, v33, vcc_lo
	v_xor_b32_e32 v6, v6, v51
	s_delay_alu instid0(VALU_DEP_2) | instskip(NEXT) | instid1(VALU_DEP_2)
	v_xor_b32_e32 v33, v32, v51
	v_sub_co_u32 v32, vcc_lo, v6, v51
	s_delay_alu instid0(VALU_DEP_2)
	v_sub_co_ci_u32_e32 v33, vcc_lo, v33, v51, vcc_lo
.LBB131_16:                             ;   in Loop: Header=BB131_14 Depth=2
	s_and_not1_saveexec_b32 s0, s35
	s_cbranch_execz .LBB131_18
; %bb.17:                               ;   in Loop: Header=BB131_14 Depth=2
	v_cvt_f32_u32_e32 v6, s12
	s_delay_alu instid0(VALU_DEP_1) | instskip(SKIP_2) | instid1(VALU_DEP_1)
	v_rcp_iflag_f32_e32 v6, v6
	s_waitcnt_depctr 0xfff
	v_mul_f32_e32 v6, 0x4f7ffffe, v6
	v_cvt_u32_f32_e32 v6, v6
	s_delay_alu instid0(VALU_DEP_1) | instskip(NEXT) | instid1(VALU_DEP_1)
	v_mul_lo_u32 v32, s30, v6
	v_mul_hi_u32 v32, v6, v32
	s_delay_alu instid0(VALU_DEP_1) | instskip(NEXT) | instid1(VALU_DEP_1)
	v_add_nc_u32_e32 v6, v6, v32
	v_mul_hi_u32 v6, v28, v6
	s_delay_alu instid0(VALU_DEP_1) | instskip(NEXT) | instid1(VALU_DEP_1)
	v_mul_lo_u32 v32, v6, s12
	v_sub_nc_u32_e32 v32, v28, v32
	s_delay_alu instid0(VALU_DEP_1) | instskip(SKIP_1) | instid1(VALU_DEP_2)
	v_subrev_nc_u32_e32 v49, s12, v32
	v_cmp_le_u32_e32 vcc_lo, s12, v32
	v_dual_cndmask_b32 v32, v32, v49 :: v_dual_add_nc_u32 v33, 1, v6
	s_delay_alu instid0(VALU_DEP_1) | instskip(NEXT) | instid1(VALU_DEP_2)
	v_cndmask_b32_e32 v6, v6, v33, vcc_lo
	v_cmp_le_u32_e32 vcc_lo, s12, v32
	s_delay_alu instid0(VALU_DEP_2) | instskip(NEXT) | instid1(VALU_DEP_1)
	v_add_nc_u32_e32 v33, 1, v6
	v_dual_cndmask_b32 v32, v6, v33 :: v_dual_mov_b32 v33, v5
.LBB131_18:                             ;   in Loop: Header=BB131_14 Depth=2
	s_or_b32 exec_lo, exec_lo, s0
	s_delay_alu instid0(VALU_DEP_1)
	v_cmp_eq_u64_e32 vcc_lo, v[32:33], v[25:26]
	s_mov_b32 s3, exec_lo
	v_cmpx_ne_u64_e64 v[32:33], v[25:26]
	s_xor_b32 s3, exec_lo, s3
; %bb.19:                               ;   in Loop: Header=BB131_14 Depth=2
	v_cmp_lt_i64_e64 s0, v[32:33], v[23:24]
                                        ; implicit-def: $vgpr30_vgpr31
                                        ; implicit-def: $vgpr28
                                        ; implicit-def: $vgpr4
	s_delay_alu instid0(VALU_DEP_1)
	v_cndmask_b32_e64 v24, v24, v33, s0
	v_cndmask_b32_e64 v23, v23, v32, s0
; %bb.20:                               ;   in Loop: Header=BB131_14 Depth=2
	s_or_saveexec_b32 s3, s3
	v_mov_b32_e32 v6, v27
	s_xor_b32 exec_lo, exec_lo, s3
	s_cbranch_execz .LBB131_13
; %bb.21:                               ;   in Loop: Header=BB131_14 Depth=2
	v_add_co_u32 v30, s0, s16, v30
	s_delay_alu instid0(VALU_DEP_1)
	v_add_co_ci_u32_e64 v31, s0, s17, v31, s0
	v_sub_nc_u32_e32 v6, v28, v29
	global_load_b64 v[30:31], v[30:31], off
	v_add_lshl_u32 v28, v37, v6, 3
	v_mov_b32_e32 v6, v4
	ds_store_b8 v34, v1 offset:16384
	s_waitcnt vmcnt(0)
	ds_store_b64 v28, v[30:31]
	s_branch .LBB131_13
.LBB131_22:                             ;   in Loop: Header=BB131_11 Depth=1
	s_or_b32 exec_lo, exec_lo, s34
.LBB131_23:                             ;   in Loop: Header=BB131_11 Depth=1
	s_delay_alu instid0(SALU_CYCLE_1)
	s_or_b32 exec_lo, exec_lo, s33
	ds_bpermute_b32 v4, v38, v6
	s_waitcnt lgkmcnt(0)
	buffer_gl0_inv
	ds_load_u8 v25, v34 offset:16384
	v_mov_b32_e32 v28, 0
	s_mov_b32 s0, exec_lo
	v_min_i32_e32 v4, v4, v6
	ds_bpermute_b32 v6, v39, v4
	s_waitcnt lgkmcnt(1)
	v_and_b32_e32 v4, 1, v25
	s_delay_alu instid0(VALU_DEP_1)
	v_cmpx_eq_u32_e32 1, v4
	s_cbranch_execz .LBB131_10
; %bb.24:                               ;   in Loop: Header=BB131_11 Depth=1
	v_ashrrev_i32_e32 v4, 31, v3
	v_mul_lo_u32 v27, s22, v3
	v_mad_u64_u32 v[25:26], null, s23, v3, 0
	v_add_nc_u32_e32 v28, s21, v48
	s_delay_alu instid0(VALU_DEP_4) | instskip(SKIP_1) | instid1(VALU_DEP_1)
	v_mul_lo_u32 v29, s23, v4
	v_lshlrev_b64 v[30:31], 3, v[3:4]
	v_add_co_u32 v30, vcc_lo, s8, v30
	s_delay_alu instid0(VALU_DEP_3) | instskip(NEXT) | instid1(VALU_DEP_3)
	v_add3_u32 v26, v26, v29, v27
	v_add_co_ci_u32_e32 v31, vcc_lo, s9, v31, vcc_lo
	v_ashrrev_i32_e32 v29, 31, v28
	s_delay_alu instid0(VALU_DEP_3)
	v_lshlrev_b64 v[32:33], 3, v[25:26]
	global_store_b64 v[30:31], v[28:29], off
	v_add_co_u32 v26, vcc_lo, v35, v32
	v_add_co_ci_u32_e32 v27, vcc_lo, v36, v33, vcc_lo
	v_add_co_u32 v4, vcc_lo, v40, v32
	v_add_co_ci_u32_e32 v25, vcc_lo, v41, v33, vcc_lo
	s_and_saveexec_b32 s3, s25
	s_cbranch_execz .LBB131_28
; %bb.25:                               ;   in Loop: Header=BB131_11 Depth=1
	s_and_b32 vcc_lo, exec_lo, s24
	s_cbranch_vccz .LBB131_55
; %bb.26:                               ;   in Loop: Header=BB131_11 Depth=1
	ds_load_b64 v[28:29], v47
	v_add_co_u32 v30, vcc_lo, v26, v7
	v_add_co_ci_u32_e32 v31, vcc_lo, v27, v8, vcc_lo
	s_waitcnt lgkmcnt(0)
	global_store_b64 v[30:31], v[28:29], off
	s_cbranch_execnz .LBB131_28
.LBB131_27:                             ;   in Loop: Header=BB131_11 Depth=1
	ds_load_b64 v[28:29], v47
	v_lshlrev_b32_e32 v30, 3, v0
	s_delay_alu instid0(VALU_DEP_1)
	v_add_co_u32 v30, vcc_lo, v4, v30
	v_add_co_ci_u32_e32 v31, vcc_lo, 0, v25, vcc_lo
	s_waitcnt lgkmcnt(0)
	global_store_b64 v[30:31], v[28:29], off
.LBB131_28:                             ;   in Loop: Header=BB131_11 Depth=1
	s_or_b32 exec_lo, exec_lo, s3
	s_and_saveexec_b32 s3, s26
	s_cbranch_execz .LBB131_32
; %bb.29:                               ;   in Loop: Header=BB131_11 Depth=1
	s_and_not1_b32 vcc_lo, exec_lo, s24
	s_cbranch_vccnz .LBB131_56
; %bb.30:                               ;   in Loop: Header=BB131_11 Depth=1
	ds_load_b64 v[28:29], v47 offset:16
	v_add_co_u32 v30, vcc_lo, v26, v9
	v_add_co_ci_u32_e32 v31, vcc_lo, v27, v10, vcc_lo
	s_waitcnt lgkmcnt(0)
	global_store_b64 v[30:31], v[28:29], off
	s_cbranch_execnz .LBB131_32
.LBB131_31:                             ;   in Loop: Header=BB131_11 Depth=1
	ds_load_b64 v[28:29], v47 offset:16
	v_lshlrev_b32_e32 v30, 3, v0
	s_delay_alu instid0(VALU_DEP_1)
	v_add_co_u32 v30, vcc_lo, v4, v30
	v_add_co_ci_u32_e32 v31, vcc_lo, 0, v25, vcc_lo
	s_waitcnt lgkmcnt(0)
	global_store_b64 v[30:31], v[28:29], off offset:16
.LBB131_32:                             ;   in Loop: Header=BB131_11 Depth=1
	s_or_b32 exec_lo, exec_lo, s3
	s_and_saveexec_b32 s3, s1
	s_cbranch_execz .LBB131_36
; %bb.33:                               ;   in Loop: Header=BB131_11 Depth=1
	s_and_not1_b32 vcc_lo, exec_lo, s24
	s_cbranch_vccnz .LBB131_57
; %bb.34:                               ;   in Loop: Header=BB131_11 Depth=1
	ds_load_b64 v[28:29], v47 offset:32
	v_add_co_u32 v30, vcc_lo, v26, v11
	v_add_co_ci_u32_e32 v31, vcc_lo, v27, v12, vcc_lo
	s_waitcnt lgkmcnt(0)
	global_store_b64 v[30:31], v[28:29], off
	s_cbranch_execnz .LBB131_36
.LBB131_35:                             ;   in Loop: Header=BB131_11 Depth=1
	ds_load_b64 v[28:29], v47 offset:32
	v_lshlrev_b32_e32 v30, 3, v0
	s_delay_alu instid0(VALU_DEP_1)
	v_add_co_u32 v30, vcc_lo, v4, v30
	v_add_co_ci_u32_e32 v31, vcc_lo, 0, v25, vcc_lo
	s_waitcnt lgkmcnt(0)
	global_store_b64 v[30:31], v[28:29], off offset:32
.LBB131_36:                             ;   in Loop: Header=BB131_11 Depth=1
	s_or_b32 exec_lo, exec_lo, s3
	s_and_saveexec_b32 s3, s27
	s_cbranch_execz .LBB131_40
; %bb.37:                               ;   in Loop: Header=BB131_11 Depth=1
	s_and_not1_b32 vcc_lo, exec_lo, s24
	s_cbranch_vccnz .LBB131_58
; %bb.38:                               ;   in Loop: Header=BB131_11 Depth=1
	ds_load_b64 v[28:29], v47 offset:48
	v_add_co_u32 v30, vcc_lo, v26, v13
	v_add_co_ci_u32_e32 v31, vcc_lo, v27, v14, vcc_lo
	s_waitcnt lgkmcnt(0)
	global_store_b64 v[30:31], v[28:29], off
	s_cbranch_execnz .LBB131_40
.LBB131_39:                             ;   in Loop: Header=BB131_11 Depth=1
	ds_load_b64 v[28:29], v47 offset:48
	v_lshlrev_b32_e32 v30, 3, v0
	s_delay_alu instid0(VALU_DEP_1)
	v_add_co_u32 v30, vcc_lo, v4, v30
	v_add_co_ci_u32_e32 v31, vcc_lo, 0, v25, vcc_lo
	s_waitcnt lgkmcnt(0)
	global_store_b64 v[30:31], v[28:29], off offset:48
.LBB131_40:                             ;   in Loop: Header=BB131_11 Depth=1
	s_or_b32 exec_lo, exec_lo, s3
	s_and_saveexec_b32 s3, s28
	s_cbranch_execz .LBB131_44
; %bb.41:                               ;   in Loop: Header=BB131_11 Depth=1
	s_and_not1_b32 vcc_lo, exec_lo, s24
	s_cbranch_vccnz .LBB131_59
; %bb.42:                               ;   in Loop: Header=BB131_11 Depth=1
	ds_load_b64 v[28:29], v47 offset:64
	v_add_co_u32 v30, vcc_lo, v26, v15
	v_add_co_ci_u32_e32 v31, vcc_lo, v27, v16, vcc_lo
	s_waitcnt lgkmcnt(0)
	global_store_b64 v[30:31], v[28:29], off
	s_cbranch_execnz .LBB131_44
.LBB131_43:                             ;   in Loop: Header=BB131_11 Depth=1
	ds_load_b64 v[28:29], v47 offset:64
	v_lshlrev_b32_e32 v30, 3, v0
	s_delay_alu instid0(VALU_DEP_1)
	v_add_co_u32 v30, vcc_lo, v4, v30
	v_add_co_ci_u32_e32 v31, vcc_lo, 0, v25, vcc_lo
	s_waitcnt lgkmcnt(0)
	global_store_b64 v[30:31], v[28:29], off offset:64
.LBB131_44:                             ;   in Loop: Header=BB131_11 Depth=1
	s_or_b32 exec_lo, exec_lo, s3
	s_and_saveexec_b32 s3, s29
	s_cbranch_execz .LBB131_48
; %bb.45:                               ;   in Loop: Header=BB131_11 Depth=1
	s_and_not1_b32 vcc_lo, exec_lo, s24
	s_cbranch_vccnz .LBB131_60
; %bb.46:                               ;   in Loop: Header=BB131_11 Depth=1
	ds_load_b64 v[28:29], v47 offset:80
	v_add_co_u32 v30, vcc_lo, v26, v17
	v_add_co_ci_u32_e32 v31, vcc_lo, v27, v18, vcc_lo
	s_waitcnt lgkmcnt(0)
	global_store_b64 v[30:31], v[28:29], off
	s_cbranch_execnz .LBB131_48
.LBB131_47:                             ;   in Loop: Header=BB131_11 Depth=1
	ds_load_b64 v[28:29], v47 offset:80
	v_lshlrev_b32_e32 v30, 3, v0
	s_delay_alu instid0(VALU_DEP_1)
	v_add_co_u32 v30, vcc_lo, v4, v30
	v_add_co_ci_u32_e32 v31, vcc_lo, 0, v25, vcc_lo
	s_waitcnt lgkmcnt(0)
	global_store_b64 v[30:31], v[28:29], off offset:80
.LBB131_48:                             ;   in Loop: Header=BB131_11 Depth=1
	s_or_b32 exec_lo, exec_lo, s3
	s_and_saveexec_b32 s3, s6
	s_cbranch_execz .LBB131_52
; %bb.49:                               ;   in Loop: Header=BB131_11 Depth=1
	s_and_not1_b32 vcc_lo, exec_lo, s24
	s_cbranch_vccnz .LBB131_61
; %bb.50:                               ;   in Loop: Header=BB131_11 Depth=1
	ds_load_b64 v[28:29], v47 offset:96
	v_add_co_u32 v30, vcc_lo, v26, v19
	v_add_co_ci_u32_e32 v31, vcc_lo, v27, v20, vcc_lo
	s_waitcnt lgkmcnt(0)
	global_store_b64 v[30:31], v[28:29], off
	s_cbranch_execnz .LBB131_52
.LBB131_51:                             ;   in Loop: Header=BB131_11 Depth=1
	ds_load_b64 v[28:29], v47 offset:96
	v_lshlrev_b32_e32 v30, 3, v0
	s_delay_alu instid0(VALU_DEP_1)
	v_add_co_u32 v30, vcc_lo, v4, v30
	v_add_co_ci_u32_e32 v31, vcc_lo, 0, v25, vcc_lo
	s_waitcnt lgkmcnt(0)
	global_store_b64 v[30:31], v[28:29], off offset:96
.LBB131_52:                             ;   in Loop: Header=BB131_11 Depth=1
	s_or_b32 exec_lo, exec_lo, s3
	v_mov_b32_e32 v28, 1
	s_and_saveexec_b32 s3, s7
	s_cbranch_execz .LBB131_9
; %bb.53:                               ;   in Loop: Header=BB131_11 Depth=1
	s_and_not1_b32 vcc_lo, exec_lo, s24
	s_cbranch_vccnz .LBB131_62
; %bb.54:                               ;   in Loop: Header=BB131_11 Depth=1
	ds_load_b64 v[28:29], v47 offset:112
	v_add_co_u32 v26, vcc_lo, v26, v21
	v_add_co_ci_u32_e32 v27, vcc_lo, v27, v22, vcc_lo
	s_mov_b32 s4, 1
	s_waitcnt lgkmcnt(0)
	global_store_b64 v[26:27], v[28:29], off
	s_cbranch_execnz .LBB131_8
	s_branch .LBB131_63
.LBB131_55:                             ;   in Loop: Header=BB131_11 Depth=1
	s_branch .LBB131_27
.LBB131_56:                             ;   in Loop: Header=BB131_11 Depth=1
	s_branch .LBB131_31
.LBB131_57:                             ;   in Loop: Header=BB131_11 Depth=1
	s_branch .LBB131_35
.LBB131_58:                             ;   in Loop: Header=BB131_11 Depth=1
	s_branch .LBB131_39
.LBB131_59:                             ;   in Loop: Header=BB131_11 Depth=1
	s_branch .LBB131_43
.LBB131_60:                             ;   in Loop: Header=BB131_11 Depth=1
	s_branch .LBB131_47
.LBB131_61:                             ;   in Loop: Header=BB131_11 Depth=1
	s_branch .LBB131_51
.LBB131_62:                             ;   in Loop: Header=BB131_11 Depth=1
                                        ; implicit-def: $sgpr4
.LBB131_63:                             ;   in Loop: Header=BB131_11 Depth=1
	ds_load_b64 v[26:27], v47 offset:112
	v_lshlrev_b32_e32 v28, 3, v0
	s_mov_b32 s4, 1
	s_delay_alu instid0(VALU_DEP_1)
	v_add_co_u32 v28, vcc_lo, v4, v28
	v_add_co_ci_u32_e32 v29, vcc_lo, 0, v25, vcc_lo
	s_waitcnt lgkmcnt(0)
	global_store_b64 v[28:29], v[26:27], off offset:112
	s_branch .LBB131_8
.LBB131_64:
	s_endpgm
	.section	.rodata,"a",@progbits
	.p2align	6, 0x0
	.amdhsa_kernel _ZN9rocsparseL42csr2bsr_wavefront_per_row_multipass_kernelILj256ELj32ELj16EdilEEv20rocsparse_direction_T4_S2_S2_S2_S2_21rocsparse_index_base_PKT2_PKT3_PKS2_S3_PS4_PS7_PS2_
		.amdhsa_group_segment_fixed_size 16392
		.amdhsa_private_segment_fixed_size 0
		.amdhsa_kernarg_size 112
		.amdhsa_user_sgpr_count 15
		.amdhsa_user_sgpr_dispatch_ptr 0
		.amdhsa_user_sgpr_queue_ptr 0
		.amdhsa_user_sgpr_kernarg_segment_ptr 1
		.amdhsa_user_sgpr_dispatch_id 0
		.amdhsa_user_sgpr_private_segment_size 0
		.amdhsa_wavefront_size32 1
		.amdhsa_uses_dynamic_stack 0
		.amdhsa_enable_private_segment 0
		.amdhsa_system_sgpr_workgroup_id_x 1
		.amdhsa_system_sgpr_workgroup_id_y 0
		.amdhsa_system_sgpr_workgroup_id_z 0
		.amdhsa_system_sgpr_workgroup_info 0
		.amdhsa_system_vgpr_workitem_id 0
		.amdhsa_next_free_vgpr 58
		.amdhsa_next_free_sgpr 36
		.amdhsa_reserve_vcc 1
		.amdhsa_float_round_mode_32 0
		.amdhsa_float_round_mode_16_64 0
		.amdhsa_float_denorm_mode_32 3
		.amdhsa_float_denorm_mode_16_64 3
		.amdhsa_dx10_clamp 1
		.amdhsa_ieee_mode 1
		.amdhsa_fp16_overflow 0
		.amdhsa_workgroup_processor_mode 1
		.amdhsa_memory_ordered 1
		.amdhsa_forward_progress 0
		.amdhsa_shared_vgpr_count 0
		.amdhsa_exception_fp_ieee_invalid_op 0
		.amdhsa_exception_fp_denorm_src 0
		.amdhsa_exception_fp_ieee_div_zero 0
		.amdhsa_exception_fp_ieee_overflow 0
		.amdhsa_exception_fp_ieee_underflow 0
		.amdhsa_exception_fp_ieee_inexact 0
		.amdhsa_exception_int_div_zero 0
	.end_amdhsa_kernel
	.section	.text._ZN9rocsparseL42csr2bsr_wavefront_per_row_multipass_kernelILj256ELj32ELj16EdilEEv20rocsparse_direction_T4_S2_S2_S2_S2_21rocsparse_index_base_PKT2_PKT3_PKS2_S3_PS4_PS7_PS2_,"axG",@progbits,_ZN9rocsparseL42csr2bsr_wavefront_per_row_multipass_kernelILj256ELj32ELj16EdilEEv20rocsparse_direction_T4_S2_S2_S2_S2_21rocsparse_index_base_PKT2_PKT3_PKS2_S3_PS4_PS7_PS2_,comdat
.Lfunc_end131:
	.size	_ZN9rocsparseL42csr2bsr_wavefront_per_row_multipass_kernelILj256ELj32ELj16EdilEEv20rocsparse_direction_T4_S2_S2_S2_S2_21rocsparse_index_base_PKT2_PKT3_PKS2_S3_PS4_PS7_PS2_, .Lfunc_end131-_ZN9rocsparseL42csr2bsr_wavefront_per_row_multipass_kernelILj256ELj32ELj16EdilEEv20rocsparse_direction_T4_S2_S2_S2_S2_21rocsparse_index_base_PKT2_PKT3_PKS2_S3_PS4_PS7_PS2_
                                        ; -- End function
	.section	.AMDGPU.csdata,"",@progbits
; Kernel info:
; codeLenInByte = 3696
; NumSgprs: 38
; NumVgprs: 58
; ScratchSize: 0
; MemoryBound: 0
; FloatMode: 240
; IeeeMode: 1
; LDSByteSize: 16392 bytes/workgroup (compile time only)
; SGPRBlocks: 4
; VGPRBlocks: 7
; NumSGPRsForWavesPerEU: 38
; NumVGPRsForWavesPerEU: 58
; Occupancy: 14
; WaveLimiterHint : 0
; COMPUTE_PGM_RSRC2:SCRATCH_EN: 0
; COMPUTE_PGM_RSRC2:USER_SGPR: 15
; COMPUTE_PGM_RSRC2:TRAP_HANDLER: 0
; COMPUTE_PGM_RSRC2:TGID_X_EN: 1
; COMPUTE_PGM_RSRC2:TGID_Y_EN: 0
; COMPUTE_PGM_RSRC2:TGID_Z_EN: 0
; COMPUTE_PGM_RSRC2:TIDIG_COMP_CNT: 0
	.section	.text._ZN9rocsparseL38csr2bsr_block_per_row_multipass_kernelILj256ELj32EdilEEv20rocsparse_direction_T3_S2_S2_S2_S2_21rocsparse_index_base_PKT1_PKT2_PKS2_S3_PS4_PS7_PS2_,"axG",@progbits,_ZN9rocsparseL38csr2bsr_block_per_row_multipass_kernelILj256ELj32EdilEEv20rocsparse_direction_T3_S2_S2_S2_S2_21rocsparse_index_base_PKT1_PKT2_PKS2_S3_PS4_PS7_PS2_,comdat
	.globl	_ZN9rocsparseL38csr2bsr_block_per_row_multipass_kernelILj256ELj32EdilEEv20rocsparse_direction_T3_S2_S2_S2_S2_21rocsparse_index_base_PKT1_PKT2_PKS2_S3_PS4_PS7_PS2_ ; -- Begin function _ZN9rocsparseL38csr2bsr_block_per_row_multipass_kernelILj256ELj32EdilEEv20rocsparse_direction_T3_S2_S2_S2_S2_21rocsparse_index_base_PKT1_PKT2_PKS2_S3_PS4_PS7_PS2_
	.p2align	8
	.type	_ZN9rocsparseL38csr2bsr_block_per_row_multipass_kernelILj256ELj32EdilEEv20rocsparse_direction_T3_S2_S2_S2_S2_21rocsparse_index_base_PKT1_PKT2_PKS2_S3_PS4_PS7_PS2_,@function
_ZN9rocsparseL38csr2bsr_block_per_row_multipass_kernelILj256ELj32EdilEEv20rocsparse_direction_T3_S2_S2_S2_S2_21rocsparse_index_base_PKT1_PKT2_PKS2_S3_PS4_PS7_PS2_: ; @_ZN9rocsparseL38csr2bsr_block_per_row_multipass_kernelILj256ELj32EdilEEv20rocsparse_direction_T3_S2_S2_S2_S2_21rocsparse_index_base_PKT1_PKT2_PKS2_S3_PS4_PS7_PS2_
; %bb.0:
	s_mov_b32 s2, s15
	s_clause 0x1
	s_load_b128 s[12:15], s[0:1], 0x20
	s_load_b64 s[6:7], s[0:1], 0x8
	v_mov_b32_e32 v2, 0
	v_lshrrev_b32_e32 v1, 3, v0
	s_clause 0x1
	s_load_b32 s28, s[0:1], 0x30
	s_load_b64 s[4:5], s[0:1], 0x40
	s_ashr_i32 s3, s2, 31
	v_mov_b32_e32 v18, v2
	s_waitcnt lgkmcnt(0)
	v_mad_u64_u32 v[3:4], null, s2, s14, v[1:2]
	s_mul_i32 s8, s2, s15
	s_mul_i32 s9, s3, s14
	s_delay_alu instid0(VALU_DEP_1) | instid1(SALU_CYCLE_1)
	v_add3_u32 v4, s8, s9, v4
	v_cmp_gt_i64_e64 s9, s[14:15], v[1:2]
	s_delay_alu instid0(VALU_DEP_2) | instskip(NEXT) | instid1(VALU_DEP_2)
	v_cmp_gt_i64_e32 vcc_lo, s[6:7], v[3:4]
	s_and_b32 s6, s9, vcc_lo
	s_delay_alu instid0(SALU_CYCLE_1)
	s_and_saveexec_b32 s7, s6
	s_cbranch_execnz .LBB132_3
; %bb.1:
	s_or_b32 exec_lo, exec_lo, s7
	s_and_saveexec_b32 s7, s6
	s_cbranch_execnz .LBB132_4
.LBB132_2:
	s_or_b32 exec_lo, exec_lo, s7
	v_cmp_lt_i64_e64 s4, s[12:13], 1
	s_delay_alu instid0(VALU_DEP_1)
	s_and_b32 vcc_lo, exec_lo, s4
	s_cbranch_vccz .LBB132_5
	s_branch .LBB132_45
.LBB132_3:
	v_lshlrev_b64 v[5:6], 2, v[3:4]
	s_delay_alu instid0(VALU_DEP_1) | instskip(NEXT) | instid1(VALU_DEP_2)
	v_add_co_u32 v5, vcc_lo, s4, v5
	v_add_co_ci_u32_e32 v6, vcc_lo, s5, v6, vcc_lo
	global_load_b32 v5, v[5:6], off
	s_waitcnt vmcnt(0)
	v_subrev_nc_u32_e32 v18, s28, v5
	s_or_b32 exec_lo, exec_lo, s7
	s_and_saveexec_b32 s7, s6
	s_cbranch_execz .LBB132_2
.LBB132_4:
	v_lshlrev_b64 v[2:3], 2, v[3:4]
	s_delay_alu instid0(VALU_DEP_1) | instskip(NEXT) | instid1(VALU_DEP_2)
	v_add_co_u32 v2, vcc_lo, s4, v2
	v_add_co_ci_u32_e32 v3, vcc_lo, s5, v3, vcc_lo
	global_load_b32 v2, v[2:3], off offset:4
	s_waitcnt vmcnt(0)
	v_subrev_nc_u32_e32 v2, s28, v2
	s_or_b32 exec_lo, exec_lo, s7
	v_cmp_lt_i64_e64 s4, s[12:13], 1
	s_delay_alu instid0(VALU_DEP_1)
	s_and_b32 vcc_lo, exec_lo, s4
	s_cbranch_vccnz .LBB132_45
.LBB132_5:
	v_mbcnt_lo_u32_b32 v10, -1, 0
	v_mad_u64_u32 v[6:7], null, v1, s14, 0
	s_clause 0x1
	s_load_b128 s[4:7], s[0:1], 0x58
	s_load_b64 s[16:17], s[0:1], 0x68
	v_lshlrev_b32_e32 v9, 3, v1
	v_xor_b32_e32 v5, 4, v10
	v_xor_b32_e32 v8, 2, v10
	;; [unrolled: 1-line block ×3, first 2 shown]
	s_mul_i32 s8, s14, s15
	v_mov_b32_e32 v4, v7
	v_cmp_gt_i32_e32 vcc_lo, 32, v5
	v_mov_b32_e32 v3, 0
	s_mul_hi_u32 s10, s14, s14
	s_clause 0x3
	s_load_b32 s30, s[0:1], 0x50
	s_load_b64 s[18:19], s[0:1], 0x48
	s_load_b64 s[20:21], s[0:1], 0x38
	s_load_b32 s11, s[0:1], 0x0
	s_lshl_b64 s[0:1], s[2:3], 2
	v_cndmask_b32_e32 v12, v10, v5, vcc_lo
	v_cmp_gt_i32_e32 vcc_lo, 32, v8
	s_add_i32 s2, s10, s8
	v_lshl_or_b32 v28, v10, 2, 28
	s_add_i32 s31, s2, s8
	v_dual_cndmask_b32 v13, v10, v8 :: v_dual_lshlrev_b32 v22, 5, v1
	v_mad_u64_u32 v[7:8], null, v1, s15, v[4:5]
	v_cmp_gt_i32_e32 vcc_lo, 32, v11
	v_and_b32_e32 v5, 7, v0
	s_waitcnt lgkmcnt(0)
	s_add_u32 s0, s6, s0
	s_addc_u32 s1, s7, s1
	v_dual_cndmask_b32 v4, v10, v11 :: v_dual_lshlrev_b32 v31, 3, v0
	s_delay_alu instid0(VALU_DEP_4) | instskip(SKIP_2) | instid1(VALU_DEP_3)
	v_lshlrev_b64 v[6:7], 3, v[6:7]
	v_dual_mov_b32 v10, v3 :: v_dual_lshlrev_b32 v1, 3, v5
	s_load_b32 s0, s[0:1], 0x0
	v_lshlrev_b32_e32 v25, 2, v4
	v_add_co_u32 v26, s1, s4, v9
	s_delay_alu instid0(VALU_DEP_4) | instskip(SKIP_2) | instid1(VALU_DEP_3)
	v_add_co_u32 v4, vcc_lo, s4, v6
	v_add_co_ci_u32_e32 v7, vcc_lo, s5, v7, vcc_lo
	v_add_co_ci_u32_e64 v27, null, s5, 0, s1
	v_add_co_u32 v29, vcc_lo, v4, v1
	s_delay_alu instid0(VALU_DEP_3)
	v_add_co_ci_u32_e32 v30, vcc_lo, 0, v7, vcc_lo
	v_mad_u64_u32 v[7:8], null, v5, s14, 0
	v_cmp_gt_u32_e64 s1, 0x80, v0
	v_cmp_gt_u32_e64 s2, 64, v0
	;; [unrolled: 1-line block ×5, first 2 shown]
	v_or_b32_e32 v1, v22, v5
	v_cmp_gt_u32_e64 s6, 4, v0
	v_cmp_gt_u32_e64 s7, 2, v0
	v_cmp_eq_u32_e64 s8, 0, v0
	v_mov_b32_e32 v0, v8
	v_or_b32_e32 v9, 8, v5
	v_dual_mov_b32 v6, v3 :: v_dual_lshlrev_b32 v23, 2, v12
	v_lshlrev_b32_e32 v24, 2, v13
	s_delay_alu instid0(VALU_DEP_4) | instskip(SKIP_4) | instid1(VALU_DEP_4)
	v_mad_u64_u32 v[11:12], null, v5, s15, v[0:1]
	v_or_b32_e32 v0, 16, v5
	v_mad_u64_u32 v[12:13], null, v9, s14, 0
	v_or_b32_e32 v14, 24, v5
	v_cmp_gt_i64_e32 vcc_lo, s[14:15], v[5:6]
	v_mad_u64_u32 v[16:17], null, v0, s14, 0
	s_waitcnt lgkmcnt(0)
	s_sub_i32 s22, s0, s30
	v_mad_u64_u32 v[19:20], null, v14, s14, 0
	v_mov_b32_e32 v4, v13
	s_mov_b32 s24, 0
	s_cmp_eq_u32 s11, 0
	v_dual_mov_b32 v15, v3 :: v_dual_lshlrev_b32 v32, 3, v1
	s_cselect_b32 s0, -1, 0
	s_and_b32 s33, s9, vcc_lo
	v_mov_b32_e32 v8, v11
	v_cmp_gt_i64_e32 vcc_lo, s[14:15], v[9:10]
	v_dual_mov_b32 v1, v3 :: v_dual_mov_b32 v6, v17
	v_mad_u64_u32 v[10:11], null, v9, s15, v[4:5]
	s_mov_b32 s25, s24
	v_mov_b32_e32 v4, v20
	s_delay_alu instid0(VALU_DEP_3) | instskip(SKIP_2) | instid1(VALU_DEP_3)
	v_mad_u64_u32 v[20:21], null, v0, s15, v[6:7]
	v_cmp_gt_i64_e64 s10, s[14:15], v[0:1]
	s_and_b32 s34, s9, vcc_lo
	v_mad_u64_u32 v[0:1], null, v14, s15, v[4:5]
	v_mov_b32_e32 v13, v10
	v_cmp_gt_i64_e32 vcc_lo, s[14:15], v[14:15]
	v_mov_b32_e32 v17, v20
	v_lshlrev_b64 v[6:7], 3, v[7:8]
	v_mov_b32_e32 v33, 1
	v_lshlrev_b64 v[8:9], 3, v[12:13]
	v_mov_b32_e32 v20, v0
	v_mov_b32_e32 v0, s24
	v_lshlrev_b64 v[10:11], 3, v[16:17]
	v_dual_mov_b32 v1, s25 :: v_dual_mov_b32 v16, 0
	s_delay_alu instid0(VALU_DEP_4)
	v_lshlrev_b64 v[12:13], 3, v[19:20]
	s_mul_i32 s29, s14, s14
	s_and_b32 s35, s9, s10
	s_and_b32 s36, s9, vcc_lo
	s_mov_b64 s[24:25], 0
	s_ashr_i32 s10, s15, 31
	s_branch .LBB132_7
.LBB132_6:                              ;   in Loop: Header=BB132_7 Depth=1
	s_or_b32 exec_lo, exec_lo, s11
	s_waitcnt lgkmcnt(0)
	s_barrier
	buffer_gl0_inv
	ds_load_b64 v[16:17], v3
	s_add_i32 s22, s9, s22
	s_waitcnt lgkmcnt(0)
	s_barrier
	buffer_gl0_inv
	v_readfirstlane_b32 s24, v16
	v_readfirstlane_b32 s25, v17
	s_delay_alu instid0(VALU_DEP_1) | instskip(NEXT) | instid1(SALU_CYCLE_1)
	s_bfe_i64 s[24:25], s[24:25], 0x200000
	v_cmp_lt_i64_e64 s11, s[24:25], s[12:13]
	s_delay_alu instid0(VALU_DEP_1)
	s_and_b32 vcc_lo, exec_lo, s11
	s_cbranch_vccz .LBB132_45
.LBB132_7:                              ; =>This Loop Header: Depth=1
                                        ;     Child Loop BB132_10 Depth 2
	v_dual_mov_b32 v15, s13 :: v_dual_mov_b32 v4, v2
	v_dual_mov_b32 v14, s12 :: v_dual_add_nc_u32 v17, v18, v5
	s_mov_b32 s23, exec_lo
	ds_store_b8 v3, v3 offset:8192
	ds_store_2addr_b64 v32, v[0:1], v[0:1] offset1:8
	ds_store_2addr_b64 v32, v[0:1], v[0:1] offset0:16 offset1:24
	s_waitcnt lgkmcnt(0)
	s_barrier
	buffer_gl0_inv
	v_cmpx_lt_i32_e64 v17, v2
	s_cbranch_execz .LBB132_19
; %bb.8:                                ;   in Loop: Header=BB132_7 Depth=1
	v_dual_mov_b32 v15, s13 :: v_dual_mov_b32 v14, s12
	v_mov_b32_e32 v34, v2
	s_mul_i32 s38, s24, s14
	s_mov_b32 s37, 0
	s_branch .LBB132_10
.LBB132_9:                              ;   in Loop: Header=BB132_10 Depth=2
	s_or_b32 exec_lo, exec_lo, s11
	s_delay_alu instid0(VALU_DEP_1) | instskip(SKIP_1) | instid1(VALU_DEP_1)
	v_dual_mov_b32 v34, v4 :: v_dual_add_nc_u32 v17, 8, v17
	s_xor_b32 s11, vcc_lo, -1
	v_cmp_ge_i32_e64 s9, v17, v2
	s_delay_alu instid0(VALU_DEP_1) | instskip(NEXT) | instid1(SALU_CYCLE_1)
	s_or_b32 s9, s11, s9
	s_and_b32 s9, exec_lo, s9
	s_delay_alu instid0(SALU_CYCLE_1) | instskip(NEXT) | instid1(SALU_CYCLE_1)
	s_or_b32 s37, s9, s37
	s_and_not1_b32 exec_lo, exec_lo, s37
	s_cbranch_execz .LBB132_18
.LBB132_10:                             ;   Parent Loop BB132_7 Depth=1
                                        ; =>  This Inner Loop Header: Depth=2
	v_ashrrev_i32_e32 v18, 31, v17
	s_mov_b32 s9, exec_lo
	s_delay_alu instid0(VALU_DEP_1) | instskip(NEXT) | instid1(VALU_DEP_1)
	v_lshlrev_b64 v[18:19], 3, v[17:18]
	v_add_co_u32 v20, vcc_lo, s18, v18
	s_delay_alu instid0(VALU_DEP_2) | instskip(SKIP_4) | instid1(VALU_DEP_1)
	v_add_co_ci_u32_e32 v21, vcc_lo, s19, v19, vcc_lo
	global_load_b64 v[20:21], v[20:21], off
	s_waitcnt vmcnt(0)
	v_sub_co_u32 v35, vcc_lo, v20, s28
	v_subrev_co_ci_u32_e32 v36, vcc_lo, 0, v21, vcc_lo
                                        ; implicit-def: $vgpr20_vgpr21
	v_or_b32_e32 v4, s15, v36
	s_delay_alu instid0(VALU_DEP_1)
	v_cmpx_ne_u64_e32 0, v[3:4]
	s_xor_b32 s39, exec_lo, s9
	s_cbranch_execz .LBB132_12
; %bb.11:                               ;   in Loop: Header=BB132_10 Depth=2
	s_add_u32 s26, s14, s10
	s_mov_b32 s11, s10
	s_addc_u32 s27, s15, s10
	s_delay_alu instid0(SALU_CYCLE_1) | instskip(NEXT) | instid1(SALU_CYCLE_1)
	s_xor_b64 s[26:27], s[26:27], s[10:11]
	v_cvt_f32_u32_e32 v4, s26
	v_cvt_f32_u32_e32 v20, s27
	s_sub_u32 s9, 0, s26
	s_subb_u32 s11, 0, s27
	s_delay_alu instid0(VALU_DEP_1) | instskip(NEXT) | instid1(VALU_DEP_1)
	v_fmac_f32_e32 v4, 0x4f800000, v20
	v_rcp_f32_e32 v4, v4
	s_waitcnt_depctr 0xfff
	v_mul_f32_e32 v4, 0x5f7ffffc, v4
	s_delay_alu instid0(VALU_DEP_1) | instskip(NEXT) | instid1(VALU_DEP_1)
	v_mul_f32_e32 v20, 0x2f800000, v4
	v_trunc_f32_e32 v20, v20
	s_delay_alu instid0(VALU_DEP_1) | instskip(SKIP_1) | instid1(VALU_DEP_2)
	v_fmac_f32_e32 v4, 0xcf800000, v20
	v_cvt_u32_f32_e32 v20, v20
	v_cvt_u32_f32_e32 v4, v4
	s_delay_alu instid0(VALU_DEP_2) | instskip(NEXT) | instid1(VALU_DEP_2)
	v_mul_lo_u32 v21, s9, v20
	v_mul_hi_u32 v37, s9, v4
	v_mul_lo_u32 v38, s11, v4
	s_delay_alu instid0(VALU_DEP_2) | instskip(SKIP_1) | instid1(VALU_DEP_2)
	v_add_nc_u32_e32 v21, v37, v21
	v_mul_lo_u32 v37, s9, v4
	v_add_nc_u32_e32 v21, v21, v38
	s_delay_alu instid0(VALU_DEP_2) | instskip(NEXT) | instid1(VALU_DEP_2)
	v_mul_hi_u32 v38, v4, v37
	v_mul_lo_u32 v39, v4, v21
	v_mul_hi_u32 v40, v4, v21
	v_mul_hi_u32 v41, v20, v37
	v_mul_lo_u32 v37, v20, v37
	v_mul_hi_u32 v42, v20, v21
	v_mul_lo_u32 v21, v20, v21
	v_add_co_u32 v38, vcc_lo, v38, v39
	v_add_co_ci_u32_e32 v39, vcc_lo, 0, v40, vcc_lo
	s_delay_alu instid0(VALU_DEP_2) | instskip(NEXT) | instid1(VALU_DEP_2)
	v_add_co_u32 v37, vcc_lo, v38, v37
	v_add_co_ci_u32_e32 v37, vcc_lo, v39, v41, vcc_lo
	v_add_co_ci_u32_e32 v38, vcc_lo, 0, v42, vcc_lo
	v_ashrrev_i32_e32 v41, 31, v36
	s_delay_alu instid0(VALU_DEP_3) | instskip(NEXT) | instid1(VALU_DEP_3)
	v_add_co_u32 v21, vcc_lo, v37, v21
	v_add_co_ci_u32_e32 v37, vcc_lo, 0, v38, vcc_lo
	s_delay_alu instid0(VALU_DEP_2) | instskip(NEXT) | instid1(VALU_DEP_2)
	v_add_co_u32 v4, vcc_lo, v4, v21
	v_add_co_ci_u32_e32 v20, vcc_lo, v20, v37, vcc_lo
	s_delay_alu instid0(VALU_DEP_2) | instskip(SKIP_1) | instid1(VALU_DEP_3)
	v_mul_hi_u32 v21, s9, v4
	v_mul_lo_u32 v38, s11, v4
	v_mul_lo_u32 v37, s9, v20
	s_delay_alu instid0(VALU_DEP_1) | instskip(SKIP_1) | instid1(VALU_DEP_2)
	v_add_nc_u32_e32 v21, v21, v37
	v_mul_lo_u32 v37, s9, v4
	v_add_nc_u32_e32 v21, v21, v38
	s_delay_alu instid0(VALU_DEP_2) | instskip(NEXT) | instid1(VALU_DEP_2)
	v_mul_hi_u32 v38, v4, v37
	v_mul_lo_u32 v39, v4, v21
	v_mul_hi_u32 v40, v4, v21
	v_mul_hi_u32 v42, v20, v37
	v_mul_lo_u32 v37, v20, v37
	v_mul_hi_u32 v43, v20, v21
	v_mul_lo_u32 v21, v20, v21
	v_add_co_u32 v38, vcc_lo, v38, v39
	v_add_co_ci_u32_e32 v39, vcc_lo, 0, v40, vcc_lo
	s_delay_alu instid0(VALU_DEP_2) | instskip(NEXT) | instid1(VALU_DEP_2)
	v_add_co_u32 v37, vcc_lo, v38, v37
	v_add_co_ci_u32_e32 v37, vcc_lo, v39, v42, vcc_lo
	v_add_co_ci_u32_e32 v38, vcc_lo, 0, v43, vcc_lo
	v_add_co_u32 v39, vcc_lo, v35, v41
	v_add_co_ci_u32_e32 v36, vcc_lo, v36, v41, vcc_lo
	s_delay_alu instid0(VALU_DEP_4) | instskip(NEXT) | instid1(VALU_DEP_4)
	v_add_co_u32 v21, vcc_lo, v37, v21
	v_add_co_ci_u32_e32 v37, vcc_lo, 0, v38, vcc_lo
	s_delay_alu instid0(VALU_DEP_4) | instskip(NEXT) | instid1(VALU_DEP_3)
	v_xor_b32_e32 v40, v39, v41
	v_add_co_u32 v4, vcc_lo, v4, v21
	s_delay_alu instid0(VALU_DEP_3) | instskip(SKIP_1) | instid1(VALU_DEP_3)
	v_add_co_ci_u32_e32 v42, vcc_lo, v20, v37, vcc_lo
	v_xor_b32_e32 v43, v36, v41
	v_mul_hi_u32 v44, v40, v4
	s_delay_alu instid0(VALU_DEP_3) | instskip(NEXT) | instid1(VALU_DEP_3)
	v_mad_u64_u32 v[20:21], null, v40, v42, 0
	v_mad_u64_u32 v[36:37], null, v43, v4, 0
	v_mad_u64_u32 v[38:39], null, v43, v42, 0
	s_delay_alu instid0(VALU_DEP_3) | instskip(NEXT) | instid1(VALU_DEP_4)
	v_add_co_u32 v4, vcc_lo, v44, v20
	v_add_co_ci_u32_e32 v20, vcc_lo, 0, v21, vcc_lo
	s_delay_alu instid0(VALU_DEP_2) | instskip(NEXT) | instid1(VALU_DEP_2)
	v_add_co_u32 v4, vcc_lo, v4, v36
	v_add_co_ci_u32_e32 v4, vcc_lo, v20, v37, vcc_lo
	v_add_co_ci_u32_e32 v20, vcc_lo, 0, v39, vcc_lo
	s_delay_alu instid0(VALU_DEP_2) | instskip(NEXT) | instid1(VALU_DEP_2)
	v_add_co_u32 v4, vcc_lo, v4, v38
	v_add_co_ci_u32_e32 v36, vcc_lo, 0, v20, vcc_lo
	s_delay_alu instid0(VALU_DEP_2) | instskip(SKIP_1) | instid1(VALU_DEP_3)
	v_mul_lo_u32 v37, s27, v4
	v_mad_u64_u32 v[20:21], null, s26, v4, 0
	v_mul_lo_u32 v38, s26, v36
	s_delay_alu instid0(VALU_DEP_2) | instskip(NEXT) | instid1(VALU_DEP_2)
	v_sub_co_u32 v20, vcc_lo, v40, v20
	v_add3_u32 v21, v21, v38, v37
	s_delay_alu instid0(VALU_DEP_1) | instskip(NEXT) | instid1(VALU_DEP_1)
	v_sub_nc_u32_e32 v37, v43, v21
	v_subrev_co_ci_u32_e64 v37, s9, s27, v37, vcc_lo
	v_add_co_u32 v38, s9, v4, 2
	s_delay_alu instid0(VALU_DEP_1) | instskip(SKIP_3) | instid1(VALU_DEP_3)
	v_add_co_ci_u32_e64 v39, s9, 0, v36, s9
	v_sub_co_u32 v40, s9, v20, s26
	v_sub_co_ci_u32_e32 v21, vcc_lo, v43, v21, vcc_lo
	v_subrev_co_ci_u32_e64 v37, s9, 0, v37, s9
	v_cmp_le_u32_e32 vcc_lo, s26, v40
	s_delay_alu instid0(VALU_DEP_3) | instskip(SKIP_1) | instid1(VALU_DEP_4)
	v_cmp_eq_u32_e64 s9, s27, v21
	v_cndmask_b32_e64 v40, 0, -1, vcc_lo
	v_cmp_le_u32_e32 vcc_lo, s27, v37
	v_cndmask_b32_e64 v42, 0, -1, vcc_lo
	v_cmp_le_u32_e32 vcc_lo, s26, v20
	;; [unrolled: 2-line block ×3, first 2 shown]
	v_cndmask_b32_e64 v43, 0, -1, vcc_lo
	v_cmp_eq_u32_e32 vcc_lo, s27, v37
	s_delay_alu instid0(VALU_DEP_2) | instskip(SKIP_3) | instid1(VALU_DEP_3)
	v_cndmask_b32_e64 v20, v43, v20, s9
	v_cndmask_b32_e32 v37, v42, v40, vcc_lo
	v_add_co_u32 v40, vcc_lo, v4, 1
	v_add_co_ci_u32_e32 v42, vcc_lo, 0, v36, vcc_lo
	v_cmp_ne_u32_e32 vcc_lo, 0, v37
	s_delay_alu instid0(VALU_DEP_3) | instskip(NEXT) | instid1(VALU_DEP_3)
	v_cndmask_b32_e32 v37, v40, v38, vcc_lo
	v_cndmask_b32_e32 v21, v42, v39, vcc_lo
	v_cmp_ne_u32_e32 vcc_lo, 0, v20
	v_xor_b32_e32 v38, s10, v41
	s_delay_alu instid0(VALU_DEP_4) | instskip(NEXT) | instid1(VALU_DEP_4)
	v_cndmask_b32_e32 v4, v4, v37, vcc_lo
	v_cndmask_b32_e32 v20, v36, v21, vcc_lo
	s_delay_alu instid0(VALU_DEP_2) | instskip(NEXT) | instid1(VALU_DEP_2)
	v_xor_b32_e32 v4, v4, v38
	v_xor_b32_e32 v21, v20, v38
	s_delay_alu instid0(VALU_DEP_2) | instskip(NEXT) | instid1(VALU_DEP_2)
	v_sub_co_u32 v20, vcc_lo, v4, v38
	v_sub_co_ci_u32_e32 v21, vcc_lo, v21, v38, vcc_lo
.LBB132_12:                             ;   in Loop: Header=BB132_10 Depth=2
	s_and_not1_saveexec_b32 s9, s39
	s_cbranch_execz .LBB132_14
; %bb.13:                               ;   in Loop: Header=BB132_10 Depth=2
	v_cvt_f32_u32_e32 v4, s14
	s_sub_i32 s11, 0, s14
	s_delay_alu instid0(VALU_DEP_1) | instskip(SKIP_2) | instid1(VALU_DEP_1)
	v_rcp_iflag_f32_e32 v4, v4
	s_waitcnt_depctr 0xfff
	v_mul_f32_e32 v4, 0x4f7ffffe, v4
	v_cvt_u32_f32_e32 v4, v4
	s_delay_alu instid0(VALU_DEP_1) | instskip(NEXT) | instid1(VALU_DEP_1)
	v_mul_lo_u32 v20, s11, v4
	v_mul_hi_u32 v20, v4, v20
	s_delay_alu instid0(VALU_DEP_1) | instskip(NEXT) | instid1(VALU_DEP_1)
	v_add_nc_u32_e32 v4, v4, v20
	v_mul_hi_u32 v4, v35, v4
	s_delay_alu instid0(VALU_DEP_1) | instskip(SKIP_1) | instid1(VALU_DEP_2)
	v_mul_lo_u32 v20, v4, s14
	v_add_nc_u32_e32 v21, 1, v4
	v_sub_nc_u32_e32 v20, v35, v20
	s_delay_alu instid0(VALU_DEP_1) | instskip(SKIP_1) | instid1(VALU_DEP_2)
	v_subrev_nc_u32_e32 v36, s14, v20
	v_cmp_le_u32_e32 vcc_lo, s14, v20
	v_cndmask_b32_e32 v20, v20, v36, vcc_lo
	v_cndmask_b32_e32 v4, v4, v21, vcc_lo
	s_delay_alu instid0(VALU_DEP_2) | instskip(NEXT) | instid1(VALU_DEP_2)
	v_cmp_le_u32_e32 vcc_lo, s14, v20
	v_add_nc_u32_e32 v21, 1, v4
	s_delay_alu instid0(VALU_DEP_1)
	v_dual_cndmask_b32 v20, v4, v21 :: v_dual_mov_b32 v21, v3
.LBB132_14:                             ;   in Loop: Header=BB132_10 Depth=2
	s_or_b32 exec_lo, exec_lo, s9
	s_delay_alu instid0(VALU_DEP_1)
	v_cmp_eq_u64_e32 vcc_lo, s[24:25], v[20:21]
	s_mov_b32 s11, exec_lo
	v_cmpx_ne_u64_e64 s[24:25], v[20:21]
	s_xor_b32 s11, exec_lo, s11
; %bb.15:                               ;   in Loop: Header=BB132_10 Depth=2
	v_cmp_lt_i64_e64 s9, v[20:21], v[14:15]
                                        ; implicit-def: $vgpr18_vgpr19
                                        ; implicit-def: $vgpr35
                                        ; implicit-def: $vgpr34
	s_delay_alu instid0(VALU_DEP_1)
	v_cndmask_b32_e64 v15, v15, v21, s9
	v_cndmask_b32_e64 v14, v14, v20, s9
; %bb.16:                               ;   in Loop: Header=BB132_10 Depth=2
	s_or_saveexec_b32 s11, s11
	v_mov_b32_e32 v4, v17
	s_xor_b32 exec_lo, exec_lo, s11
	s_cbranch_execz .LBB132_9
; %bb.17:                               ;   in Loop: Header=BB132_10 Depth=2
	v_add_co_u32 v18, s9, s20, v18
	s_delay_alu instid0(VALU_DEP_1)
	v_add_co_ci_u32_e64 v19, s9, s21, v19, s9
	v_subrev_nc_u32_e32 v4, s38, v35
	global_load_b64 v[18:19], v[18:19], off
	v_add_lshl_u32 v20, v22, v4, 3
	v_mov_b32_e32 v4, v34
	ds_store_b8 v3, v33 offset:8192
	s_waitcnt vmcnt(0)
	ds_store_b64 v20, v[18:19]
	s_branch .LBB132_9
.LBB132_18:                             ;   in Loop: Header=BB132_7 Depth=1
	s_or_b32 exec_lo, exec_lo, s37
.LBB132_19:                             ;   in Loop: Header=BB132_7 Depth=1
	s_delay_alu instid0(SALU_CYCLE_1)
	s_or_b32 exec_lo, exec_lo, s23
	ds_bpermute_b32 v17, v23, v4
	s_waitcnt lgkmcnt(0)
	s_barrier
	buffer_gl0_inv
	ds_load_u8 v19, v3 offset:8192
	s_mov_b32 s9, 0
	v_min_i32_e32 v4, v17, v4
	s_waitcnt lgkmcnt(0)
	v_cmp_eq_u32_e32 vcc_lo, 0, v19
	ds_bpermute_b32 v17, v24, v4
	s_and_b32 vcc_lo, exec_lo, vcc_lo
	s_waitcnt lgkmcnt(0)
	v_min_i32_e32 v4, v17, v4
	ds_bpermute_b32 v17, v25, v4
	s_waitcnt lgkmcnt(0)
	v_min_i32_e32 v4, v17, v4
	ds_bpermute_b32 v18, v28, v4
	s_cbranch_vccnz .LBB132_26
; %bb.20:                               ;   in Loop: Header=BB132_7 Depth=1
	s_ashr_i32 s23, s22, 31
	s_mul_hi_u32 s9, s29, s22
	s_lshl_b64 s[24:25], s[22:23], 3
	s_mul_i32 s11, s29, s23
	s_add_u32 s24, s16, s24
	s_addc_u32 s25, s17, s25
	s_add_i32 s9, s9, s11
	s_mul_i32 s11, s31, s22
	s_mul_i32 s26, s29, s22
	s_add_i32 s27, s9, s11
	v_add_nc_u32_e32 v20, s30, v16
	s_lshl_b64 s[26:27], s[26:27], 3
	s_delay_alu instid0(SALU_CYCLE_1)
	v_add_co_u32 v4, vcc_lo, v26, s26
	v_add_co_ci_u32_e32 v16, vcc_lo, s27, v27, vcc_lo
	v_add_co_u32 v17, vcc_lo, v29, s26
	v_ashrrev_i32_e32 v21, 31, v20
	v_add_co_ci_u32_e32 v19, vcc_lo, s27, v30, vcc_lo
	global_store_b64 v3, v[20:21], s[24:25]
	s_and_saveexec_b32 s9, s33
	s_cbranch_execnz .LBB132_42
; %bb.21:                               ;   in Loop: Header=BB132_7 Depth=1
	s_or_b32 exec_lo, exec_lo, s9
	s_and_saveexec_b32 s9, s34
	s_cbranch_execnz .LBB132_43
.LBB132_22:                             ;   in Loop: Header=BB132_7 Depth=1
	s_or_b32 exec_lo, exec_lo, s9
	s_and_saveexec_b32 s9, s35
	s_cbranch_execnz .LBB132_44
.LBB132_23:                             ;   in Loop: Header=BB132_7 Depth=1
	s_or_b32 exec_lo, exec_lo, s9
	s_and_saveexec_b32 s9, s36
	s_cbranch_execz .LBB132_25
.LBB132_24:                             ;   in Loop: Header=BB132_7 Depth=1
	ds_load_b64 v[20:21], v32 offset:192
	v_add_co_u32 v34, vcc_lo, 0xc0, v17
	v_add_co_ci_u32_e32 v17, vcc_lo, 0, v19, vcc_lo
	v_add_co_u32 v4, vcc_lo, v4, v12
	v_add_co_ci_u32_e32 v16, vcc_lo, v16, v13, vcc_lo
	s_delay_alu instid0(VALU_DEP_1) | instskip(NEXT) | instid1(VALU_DEP_3)
	v_cndmask_b32_e64 v17, v16, v17, s0
	v_cndmask_b32_e64 v16, v4, v34, s0
	s_waitcnt lgkmcnt(0)
	global_store_b64 v[16:17], v[20:21], off
.LBB132_25:                             ;   in Loop: Header=BB132_7 Depth=1
	s_or_b32 exec_lo, exec_lo, s9
	s_mov_b32 s9, 1
.LBB132_26:                             ;   in Loop: Header=BB132_7 Depth=1
	s_waitcnt lgkmcnt(0)
	s_waitcnt_vscnt null, 0x0
	s_barrier
	buffer_gl0_inv
	ds_store_b64 v31, v[14:15]
	s_waitcnt lgkmcnt(0)
	s_barrier
	buffer_gl0_inv
	s_and_saveexec_b32 s11, s1
	s_cbranch_execz .LBB132_28
; %bb.27:                               ;   in Loop: Header=BB132_7 Depth=1
	ds_load_2addr_stride64_b64 v[14:17], v31 offset1:2
	s_waitcnt lgkmcnt(0)
	v_cmp_lt_i64_e32 vcc_lo, v[16:17], v[14:15]
	v_dual_cndmask_b32 v15, v15, v17 :: v_dual_cndmask_b32 v14, v14, v16
	ds_store_b64 v31, v[14:15]
.LBB132_28:                             ;   in Loop: Header=BB132_7 Depth=1
	s_or_b32 exec_lo, exec_lo, s11
	s_waitcnt lgkmcnt(0)
	s_barrier
	buffer_gl0_inv
	s_and_saveexec_b32 s11, s2
	s_cbranch_execz .LBB132_30
; %bb.29:                               ;   in Loop: Header=BB132_7 Depth=1
	ds_load_2addr_stride64_b64 v[14:17], v31 offset1:1
	s_waitcnt lgkmcnt(0)
	v_cmp_lt_i64_e32 vcc_lo, v[16:17], v[14:15]
	v_dual_cndmask_b32 v15, v15, v17 :: v_dual_cndmask_b32 v14, v14, v16
	ds_store_b64 v31, v[14:15]
.LBB132_30:                             ;   in Loop: Header=BB132_7 Depth=1
	s_or_b32 exec_lo, exec_lo, s11
	s_waitcnt lgkmcnt(0)
	s_barrier
	buffer_gl0_inv
	s_and_saveexec_b32 s11, s3
	s_cbranch_execz .LBB132_32
; %bb.31:                               ;   in Loop: Header=BB132_7 Depth=1
	ds_load_2addr_b64 v[14:17], v31 offset1:32
	s_waitcnt lgkmcnt(0)
	v_cmp_lt_i64_e32 vcc_lo, v[16:17], v[14:15]
	v_dual_cndmask_b32 v15, v15, v17 :: v_dual_cndmask_b32 v14, v14, v16
	ds_store_b64 v31, v[14:15]
.LBB132_32:                             ;   in Loop: Header=BB132_7 Depth=1
	s_or_b32 exec_lo, exec_lo, s11
	s_waitcnt lgkmcnt(0)
	s_barrier
	buffer_gl0_inv
	s_and_saveexec_b32 s11, s4
	s_cbranch_execz .LBB132_34
; %bb.33:                               ;   in Loop: Header=BB132_7 Depth=1
	ds_load_2addr_b64 v[14:17], v31 offset1:16
	s_waitcnt lgkmcnt(0)
	v_cmp_lt_i64_e32 vcc_lo, v[16:17], v[14:15]
	v_dual_cndmask_b32 v15, v15, v17 :: v_dual_cndmask_b32 v14, v14, v16
	ds_store_b64 v31, v[14:15]
.LBB132_34:                             ;   in Loop: Header=BB132_7 Depth=1
	;; [unrolled: 13-line block ×5, first 2 shown]
	s_or_b32 exec_lo, exec_lo, s11
	s_waitcnt lgkmcnt(0)
	s_barrier
	buffer_gl0_inv
	s_and_saveexec_b32 s11, s8
	s_cbranch_execz .LBB132_6
; %bb.41:                               ;   in Loop: Header=BB132_7 Depth=1
	ds_load_b128 v[14:17], v3
	s_waitcnt lgkmcnt(0)
	v_cmp_lt_i64_e32 vcc_lo, v[16:17], v[14:15]
	v_dual_cndmask_b32 v15, v15, v17 :: v_dual_cndmask_b32 v14, v14, v16
	ds_store_b64 v3, v[14:15]
	s_branch .LBB132_6
.LBB132_42:                             ;   in Loop: Header=BB132_7 Depth=1
	ds_load_b64 v[20:21], v32
	v_add_co_u32 v34, vcc_lo, v4, v6
	v_add_co_ci_u32_e32 v35, vcc_lo, v16, v7, vcc_lo
	s_delay_alu instid0(VALU_DEP_2) | instskip(NEXT) | instid1(VALU_DEP_2)
	v_cndmask_b32_e64 v34, v34, v17, s0
	v_cndmask_b32_e64 v35, v35, v19, s0
	s_waitcnt lgkmcnt(0)
	global_store_b64 v[34:35], v[20:21], off
	s_or_b32 exec_lo, exec_lo, s9
	s_and_saveexec_b32 s9, s34
	s_cbranch_execz .LBB132_22
.LBB132_43:                             ;   in Loop: Header=BB132_7 Depth=1
	ds_load_b64 v[20:21], v32 offset:64
	v_add_co_u32 v34, vcc_lo, v17, 64
	v_add_co_ci_u32_e32 v35, vcc_lo, 0, v19, vcc_lo
	v_add_co_u32 v36, vcc_lo, v4, v8
	v_add_co_ci_u32_e32 v37, vcc_lo, v16, v9, vcc_lo
	s_delay_alu instid0(VALU_DEP_2) | instskip(NEXT) | instid1(VALU_DEP_2)
	v_cndmask_b32_e64 v34, v36, v34, s0
	v_cndmask_b32_e64 v35, v37, v35, s0
	s_waitcnt lgkmcnt(0)
	global_store_b64 v[34:35], v[20:21], off
	s_or_b32 exec_lo, exec_lo, s9
	s_and_saveexec_b32 s9, s35
	s_cbranch_execz .LBB132_23
.LBB132_44:                             ;   in Loop: Header=BB132_7 Depth=1
	ds_load_b64 v[20:21], v32 offset:128
	v_add_co_u32 v34, vcc_lo, 0x80, v17
	v_add_co_ci_u32_e32 v35, vcc_lo, 0, v19, vcc_lo
	v_add_co_u32 v36, vcc_lo, v4, v10
	v_add_co_ci_u32_e32 v37, vcc_lo, v16, v11, vcc_lo
	s_delay_alu instid0(VALU_DEP_2) | instskip(NEXT) | instid1(VALU_DEP_2)
	v_cndmask_b32_e64 v34, v36, v34, s0
	v_cndmask_b32_e64 v35, v37, v35, s0
	s_waitcnt lgkmcnt(0)
	global_store_b64 v[34:35], v[20:21], off
	s_or_b32 exec_lo, exec_lo, s9
	s_and_saveexec_b32 s9, s36
	s_cbranch_execnz .LBB132_24
	s_branch .LBB132_25
.LBB132_45:
	s_endpgm
	.section	.rodata,"a",@progbits
	.p2align	6, 0x0
	.amdhsa_kernel _ZN9rocsparseL38csr2bsr_block_per_row_multipass_kernelILj256ELj32EdilEEv20rocsparse_direction_T3_S2_S2_S2_S2_21rocsparse_index_base_PKT1_PKT2_PKS2_S3_PS4_PS7_PS2_
		.amdhsa_group_segment_fixed_size 8200
		.amdhsa_private_segment_fixed_size 0
		.amdhsa_kernarg_size 112
		.amdhsa_user_sgpr_count 15
		.amdhsa_user_sgpr_dispatch_ptr 0
		.amdhsa_user_sgpr_queue_ptr 0
		.amdhsa_user_sgpr_kernarg_segment_ptr 1
		.amdhsa_user_sgpr_dispatch_id 0
		.amdhsa_user_sgpr_private_segment_size 0
		.amdhsa_wavefront_size32 1
		.amdhsa_uses_dynamic_stack 0
		.amdhsa_enable_private_segment 0
		.amdhsa_system_sgpr_workgroup_id_x 1
		.amdhsa_system_sgpr_workgroup_id_y 0
		.amdhsa_system_sgpr_workgroup_id_z 0
		.amdhsa_system_sgpr_workgroup_info 0
		.amdhsa_system_vgpr_workitem_id 0
		.amdhsa_next_free_vgpr 45
		.amdhsa_next_free_sgpr 40
		.amdhsa_reserve_vcc 1
		.amdhsa_float_round_mode_32 0
		.amdhsa_float_round_mode_16_64 0
		.amdhsa_float_denorm_mode_32 3
		.amdhsa_float_denorm_mode_16_64 3
		.amdhsa_dx10_clamp 1
		.amdhsa_ieee_mode 1
		.amdhsa_fp16_overflow 0
		.amdhsa_workgroup_processor_mode 1
		.amdhsa_memory_ordered 1
		.amdhsa_forward_progress 0
		.amdhsa_shared_vgpr_count 0
		.amdhsa_exception_fp_ieee_invalid_op 0
		.amdhsa_exception_fp_denorm_src 0
		.amdhsa_exception_fp_ieee_div_zero 0
		.amdhsa_exception_fp_ieee_overflow 0
		.amdhsa_exception_fp_ieee_underflow 0
		.amdhsa_exception_fp_ieee_inexact 0
		.amdhsa_exception_int_div_zero 0
	.end_amdhsa_kernel
	.section	.text._ZN9rocsparseL38csr2bsr_block_per_row_multipass_kernelILj256ELj32EdilEEv20rocsparse_direction_T3_S2_S2_S2_S2_21rocsparse_index_base_PKT1_PKT2_PKS2_S3_PS4_PS7_PS2_,"axG",@progbits,_ZN9rocsparseL38csr2bsr_block_per_row_multipass_kernelILj256ELj32EdilEEv20rocsparse_direction_T3_S2_S2_S2_S2_21rocsparse_index_base_PKT1_PKT2_PKS2_S3_PS4_PS7_PS2_,comdat
.Lfunc_end132:
	.size	_ZN9rocsparseL38csr2bsr_block_per_row_multipass_kernelILj256ELj32EdilEEv20rocsparse_direction_T3_S2_S2_S2_S2_21rocsparse_index_base_PKT1_PKT2_PKS2_S3_PS4_PS7_PS2_, .Lfunc_end132-_ZN9rocsparseL38csr2bsr_block_per_row_multipass_kernelILj256ELj32EdilEEv20rocsparse_direction_T3_S2_S2_S2_S2_21rocsparse_index_base_PKT1_PKT2_PKS2_S3_PS4_PS7_PS2_
                                        ; -- End function
	.section	.AMDGPU.csdata,"",@progbits
; Kernel info:
; codeLenInByte = 3352
; NumSgprs: 42
; NumVgprs: 45
; ScratchSize: 0
; MemoryBound: 0
; FloatMode: 240
; IeeeMode: 1
; LDSByteSize: 8200 bytes/workgroup (compile time only)
; SGPRBlocks: 5
; VGPRBlocks: 5
; NumSGPRsForWavesPerEU: 42
; NumVGPRsForWavesPerEU: 45
; Occupancy: 16
; WaveLimiterHint : 1
; COMPUTE_PGM_RSRC2:SCRATCH_EN: 0
; COMPUTE_PGM_RSRC2:USER_SGPR: 15
; COMPUTE_PGM_RSRC2:TRAP_HANDLER: 0
; COMPUTE_PGM_RSRC2:TGID_X_EN: 1
; COMPUTE_PGM_RSRC2:TGID_Y_EN: 0
; COMPUTE_PGM_RSRC2:TGID_Z_EN: 0
; COMPUTE_PGM_RSRC2:TIDIG_COMP_CNT: 0
	.section	.text._ZN9rocsparseL38csr2bsr_block_per_row_multipass_kernelILj256ELj64EdilEEv20rocsparse_direction_T3_S2_S2_S2_S2_21rocsparse_index_base_PKT1_PKT2_PKS2_S3_PS4_PS7_PS2_,"axG",@progbits,_ZN9rocsparseL38csr2bsr_block_per_row_multipass_kernelILj256ELj64EdilEEv20rocsparse_direction_T3_S2_S2_S2_S2_21rocsparse_index_base_PKT1_PKT2_PKS2_S3_PS4_PS7_PS2_,comdat
	.globl	_ZN9rocsparseL38csr2bsr_block_per_row_multipass_kernelILj256ELj64EdilEEv20rocsparse_direction_T3_S2_S2_S2_S2_21rocsparse_index_base_PKT1_PKT2_PKS2_S3_PS4_PS7_PS2_ ; -- Begin function _ZN9rocsparseL38csr2bsr_block_per_row_multipass_kernelILj256ELj64EdilEEv20rocsparse_direction_T3_S2_S2_S2_S2_21rocsparse_index_base_PKT1_PKT2_PKS2_S3_PS4_PS7_PS2_
	.p2align	8
	.type	_ZN9rocsparseL38csr2bsr_block_per_row_multipass_kernelILj256ELj64EdilEEv20rocsparse_direction_T3_S2_S2_S2_S2_21rocsparse_index_base_PKT1_PKT2_PKS2_S3_PS4_PS7_PS2_,@function
_ZN9rocsparseL38csr2bsr_block_per_row_multipass_kernelILj256ELj64EdilEEv20rocsparse_direction_T3_S2_S2_S2_S2_21rocsparse_index_base_PKT1_PKT2_PKS2_S3_PS4_PS7_PS2_: ; @_ZN9rocsparseL38csr2bsr_block_per_row_multipass_kernelILj256ELj64EdilEEv20rocsparse_direction_T3_S2_S2_S2_S2_21rocsparse_index_base_PKT1_PKT2_PKS2_S3_PS4_PS7_PS2_
; %bb.0:
	s_mov_b32 s2, s15
	s_clause 0x1
	s_load_b128 s[12:15], s[0:1], 0x20
	s_load_b64 s[6:7], s[0:1], 0x8
	v_mov_b32_e32 v2, 0
	v_lshrrev_b32_e32 v1, 2, v0
	s_clause 0x1
	s_load_b32 s28, s[0:1], 0x30
	s_load_b64 s[4:5], s[0:1], 0x40
	s_ashr_i32 s3, s2, 31
	v_mov_b32_e32 v42, v2
	s_waitcnt lgkmcnt(0)
	v_mad_u64_u32 v[3:4], null, s2, s14, v[1:2]
	s_mul_i32 s8, s2, s15
	s_mul_i32 s9, s3, s14
	s_delay_alu instid0(VALU_DEP_1) | instid1(SALU_CYCLE_1)
	v_add3_u32 v4, s8, s9, v4
	v_cmp_gt_i64_e64 s9, s[14:15], v[1:2]
	s_delay_alu instid0(VALU_DEP_2) | instskip(NEXT) | instid1(VALU_DEP_2)
	v_cmp_gt_i64_e32 vcc_lo, s[6:7], v[3:4]
	s_and_b32 s6, s9, vcc_lo
	s_delay_alu instid0(SALU_CYCLE_1)
	s_and_saveexec_b32 s7, s6
	s_cbranch_execnz .LBB133_3
; %bb.1:
	s_or_b32 exec_lo, exec_lo, s7
	s_and_saveexec_b32 s7, s6
	s_cbranch_execnz .LBB133_4
.LBB133_2:
	s_or_b32 exec_lo, exec_lo, s7
	v_cmp_lt_i64_e64 s4, s[12:13], 1
	s_delay_alu instid0(VALU_DEP_1)
	s_and_b32 vcc_lo, exec_lo, s4
	s_cbranch_vccz .LBB133_5
	s_branch .LBB133_69
.LBB133_3:
	v_lshlrev_b64 v[5:6], 2, v[3:4]
	s_delay_alu instid0(VALU_DEP_1) | instskip(NEXT) | instid1(VALU_DEP_2)
	v_add_co_u32 v5, vcc_lo, s4, v5
	v_add_co_ci_u32_e32 v6, vcc_lo, s5, v6, vcc_lo
	global_load_b32 v5, v[5:6], off
	s_waitcnt vmcnt(0)
	v_subrev_nc_u32_e32 v42, s28, v5
	s_or_b32 exec_lo, exec_lo, s7
	s_and_saveexec_b32 s7, s6
	s_cbranch_execz .LBB133_2
.LBB133_4:
	v_lshlrev_b64 v[2:3], 2, v[3:4]
	s_delay_alu instid0(VALU_DEP_1) | instskip(NEXT) | instid1(VALU_DEP_2)
	v_add_co_u32 v2, vcc_lo, s4, v2
	v_add_co_ci_u32_e32 v3, vcc_lo, s5, v3, vcc_lo
	global_load_b32 v2, v[2:3], off offset:4
	s_waitcnt vmcnt(0)
	v_subrev_nc_u32_e32 v2, s28, v2
	s_or_b32 exec_lo, exec_lo, s7
	v_cmp_lt_i64_e64 s4, s[12:13], 1
	s_delay_alu instid0(VALU_DEP_1)
	s_and_b32 vcc_lo, exec_lo, s4
	s_cbranch_vccnz .LBB133_69
.LBB133_5:
	s_clause 0x1
	s_load_b128 s[4:7], s[0:1], 0x58
	s_load_b64 s[16:17], s[0:1], 0x68
	v_mad_u64_u32 v[6:7], null, v1, s14, 0
	s_mul_i32 s8, s14, s15
	s_mul_hi_u32 s10, s14, s14
	s_clause 0x3
	s_load_b32 s30, s[0:1], 0x50
	s_load_b64 s[18:19], s[0:1], 0x48
	s_load_b64 s[20:21], s[0:1], 0x38
	s_load_b32 s11, s[0:1], 0x0
	s_add_i32 s10, s10, s8
	s_lshl_b64 s[0:1], s[2:3], 2
	v_mbcnt_lo_u32_b32 v10, -1, 0
	s_add_i32 s31, s10, s8
	v_dual_mov_b32 v4, v7 :: v_dual_lshlrev_b32 v9, 3, v1
	v_dual_mov_b32 v3, 0 :: v_dual_lshlrev_b32 v46, 6, v1
	s_delay_alu instid0(VALU_DEP_3) | instskip(SKIP_1) | instid1(VALU_DEP_4)
	v_xor_b32_e32 v11, 2, v10
	v_lshl_or_b32 v47, v10, 2, 12
	v_mad_u64_u32 v[7:8], null, v1, s15, v[4:5]
	v_xor_b32_e32 v4, 1, v10
	s_waitcnt lgkmcnt(0)
	s_add_u32 s0, s6, s0
	s_addc_u32 s1, s7, s1
	v_cmp_gt_i32_e32 vcc_lo, 32, v11
	s_load_b32 s0, s[0:1], 0x0
	v_and_b32_e32 v5, 3, v0
	v_lshlrev_b64 v[6:7], 3, v[6:7]
	v_dual_cndmask_b32 v1, v10, v11 :: v_dual_lshlrev_b32 v54, 3, v0
	v_cmp_gt_i32_e32 vcc_lo, 32, v4
	v_cmp_gt_u32_e64 s1, 0x80, v0
	v_cmp_gt_u32_e64 s2, 64, v0
	;; [unrolled: 1-line block ×3, first 2 shown]
	v_lshlrev_b32_e32 v48, 2, v1
	v_cndmask_b32_e32 v4, v10, v4, vcc_lo
	v_add_co_u32 v1, vcc_lo, s4, v6
	v_mov_b32_e32 v6, v3
	v_lshlrev_b32_e32 v8, 3, v5
	v_cmp_gt_u32_e64 s6, 4, v0
	v_cmp_gt_u32_e64 s7, 2, v0
	v_cmp_eq_u32_e64 s8, 0, v0
	v_or_b32_e32 v38, 60, v5
	s_mov_b32 s24, 0
	s_waitcnt lgkmcnt(0)
	s_sub_i32 s22, s0, s30
	v_add_co_u32 v50, s0, s4, v9
	v_mad_u64_u32 v[9:10], null, v5, s14, 0
	v_lshlrev_b32_e32 v49, 2, v4
	v_add_co_ci_u32_e32 v4, vcc_lo, s5, v7, vcc_lo
	v_or_b32_e32 v7, 4, v5
	v_add_co_u32 v52, vcc_lo, v1, v8
	v_or_b32_e32 v1, v46, v5
	v_add_co_ci_u32_e64 v51, null, s5, 0, s0
	s_delay_alu instid0(VALU_DEP_4)
	v_mad_u64_u32 v[11:12], null, v7, s14, 0
	v_cmp_gt_u32_e64 s4, 16, v0
	v_cmp_gt_u32_e64 s5, 8, v0
	v_dual_mov_b32 v0, v10 :: v_dual_lshlrev_b32 v55, 3, v1
	v_add_co_ci_u32_e32 v53, vcc_lo, 0, v4, vcc_lo
	v_mov_b32_e32 v1, v12
	v_cmp_gt_i64_e32 vcc_lo, s[14:15], v[5:6]
	v_or_b32_e32 v6, 12, v5
	s_cmp_eq_u32 s11, 0
	v_mad_u64_u32 v[43:44], null, v38, s14, 0
	v_mad_u64_u32 v[12:13], null, v5, s15, v[0:1]
	v_or_b32_e32 v0, 8, v5
	v_mad_u64_u32 v[13:14], null, v7, s15, v[1:2]
	v_mad_u64_u32 v[16:17], null, v6, s14, 0
	s_delay_alu instid0(VALU_DEP_3)
	v_mad_u64_u32 v[14:15], null, v0, s14, 0
	v_mov_b32_e32 v8, v3
	v_mov_b32_e32 v1, v3
	s_cselect_b32 s0, -1, 0
	s_and_b32 s33, s9, vcc_lo
	v_mov_b32_e32 v10, v12
	v_mov_b32_e32 v12, v13
	;; [unrolled: 1-line block ×3, first 2 shown]
	v_cmp_gt_i64_e32 vcc_lo, s[14:15], v[0:1]
	v_mov_b32_e32 v1, v17
	v_cmp_gt_i64_e64 s10, s[14:15], v[7:8]
	v_mov_b32_e32 v7, v3
	v_mad_u64_u32 v[17:18], null, v0, s15, v[4:5]
	v_or_b32_e32 v0, 16, v5
	s_and_b32 s35, s9, vcc_lo
	s_delay_alu instid0(VALU_DEP_4) | instskip(SKIP_2) | instid1(VALU_DEP_4)
	s_and_b32 s34, s9, s10
	v_cmp_gt_i64_e64 s10, s[14:15], v[6:7]
	v_mad_u64_u32 v[7:8], null, v6, s15, v[1:2]
	v_mov_b32_e32 v15, v17
	v_or_b32_e32 v6, 20, v5
	v_mad_u64_u32 v[18:19], null, v0, s14, 0
	v_mov_b32_e32 v1, v3
	s_and_b32 s36, s9, s10
	s_delay_alu instid0(VALU_DEP_3)
	v_mad_u64_u32 v[20:21], null, v6, s14, 0
	v_mov_b32_e32 v17, v7
	v_mov_b32_e32 v7, v3
	;; [unrolled: 1-line block ×3, first 2 shown]
	v_cmp_gt_i64_e32 vcc_lo, s[14:15], v[0:1]
	s_mov_b32 s25, s24
	v_mov_b32_e32 v39, v3
	v_mov_b32_e32 v1, v21
	v_mad_u64_u32 v[21:22], null, v0, s15, v[4:5]
	v_or_b32_e32 v0, 24, v5
	v_cmp_gt_i64_e64 s10, s[14:15], v[6:7]
	s_delay_alu instid0(VALU_DEP_4) | instskip(SKIP_1) | instid1(VALU_DEP_4)
	v_mad_u64_u32 v[7:8], null, v6, s15, v[1:2]
	v_or_b32_e32 v6, 28, v5
	v_mad_u64_u32 v[22:23], null, v0, s14, 0
	v_mov_b32_e32 v19, v21
	v_mov_b32_e32 v1, v3
	s_delay_alu instid0(VALU_DEP_4)
	v_mad_u64_u32 v[24:25], null, v6, s14, 0
	s_and_b32 s37, s9, vcc_lo
	v_mov_b32_e32 v21, v7
	v_mov_b32_e32 v4, v23
	v_cmp_gt_i64_e32 vcc_lo, s[14:15], v[0:1]
	v_mov_b32_e32 v7, v3
	s_and_b32 s38, s9, s10
	v_mov_b32_e32 v1, v25
	v_mad_u64_u32 v[25:26], null, v0, s15, v[4:5]
	v_or_b32_e32 v0, 32, v5
	v_cmp_gt_i64_e64 s10, s[14:15], v[6:7]
	s_and_b32 s39, s9, vcc_lo
	s_mul_i32 s29, s14, s14
	s_delay_alu instid0(VALU_DEP_2) | instskip(NEXT) | instid1(VALU_DEP_2)
	v_mad_u64_u32 v[26:27], null, v0, s14, 0
	s_and_b32 s40, s9, s10
	s_delay_alu instid0(VALU_DEP_1) | instskip(SKIP_3) | instid1(VALU_DEP_2)
	v_mov_b32_e32 v4, v27
	v_mad_u64_u32 v[7:8], null, v6, s15, v[1:2]
	v_or_b32_e32 v6, 36, v5
	v_mov_b32_e32 v1, v3
	v_mad_u64_u32 v[28:29], null, v6, s14, 0
	s_delay_alu instid0(VALU_DEP_2) | instskip(NEXT) | instid1(VALU_DEP_2)
	v_cmp_gt_i64_e32 vcc_lo, s[14:15], v[0:1]
	v_mov_b32_e32 v1, v29
	v_mad_u64_u32 v[29:30], null, v0, s15, v[4:5]
	v_or_b32_e32 v0, 40, v5
	s_and_b32 s41, s9, vcc_lo
	s_delay_alu instid0(VALU_DEP_1) | instskip(SKIP_3) | instid1(VALU_DEP_4)
	v_mad_u64_u32 v[30:31], null, v0, s14, 0
	v_mov_b32_e32 v23, v25
	v_mov_b32_e32 v25, v7
	;; [unrolled: 1-line block ×4, first 2 shown]
	s_delay_alu instid0(VALU_DEP_2)
	v_cmp_gt_i64_e64 s10, s[14:15], v[6:7]
	v_mad_u64_u32 v[7:8], null, v6, s15, v[1:2]
	v_or_b32_e32 v6, 44, v5
	v_mov_b32_e32 v1, v3
	v_mad_u64_u32 v[34:35], null, v0, s15, v[4:5]
	s_and_b32 s42, s9, s10
	s_delay_alu instid0(VALU_DEP_3) | instskip(NEXT) | instid1(VALU_DEP_3)
	v_mad_u64_u32 v[32:33], null, v6, s14, 0
	v_cmp_gt_i64_e32 vcc_lo, s[14:15], v[0:1]
	s_delay_alu instid0(VALU_DEP_3) | instskip(NEXT) | instid1(VALU_DEP_3)
	v_dual_mov_b32 v8, v3 :: v_dual_mov_b32 v31, v34
	v_mov_b32_e32 v0, v33
	s_and_b32 s43, s9, vcc_lo
	s_delay_alu instid0(VALU_DEP_1) | instskip(SKIP_1) | instid1(VALU_DEP_2)
	v_mad_u64_u32 v[35:36], null, v6, s15, v[0:1]
	v_or_b32_e32 v0, 52, v5
	v_mov_b32_e32 v33, v35
	s_delay_alu instid0(VALU_DEP_2) | instskip(SKIP_3) | instid1(VALU_DEP_1)
	v_mad_u64_u32 v[34:35], null, v0, s14, 0
	v_mov_b32_e32 v27, v29
	v_mov_b32_e32 v29, v7
	v_mov_b32_e32 v7, v3
	v_cmp_gt_i64_e64 s10, s[14:15], v[6:7]
	v_or_b32_e32 v7, 48, v5
	v_or_b32_e32 v6, 56, v5
	s_delay_alu instid0(VALU_DEP_2) | instskip(NEXT) | instid1(VALU_DEP_2)
	v_mad_u64_u32 v[36:37], null, v7, s14, 0
	v_mad_u64_u32 v[40:41], null, v6, s14, 0
	v_cmp_gt_i64_e32 vcc_lo, s[14:15], v[7:8]
	v_mov_b32_e32 v8, v35
	s_and_b32 s44, s9, s10
	v_cmp_gt_i64_e64 s10, s[14:15], v[38:39]
	v_mov_b32_e32 v4, v37
	s_and_b32 s45, s9, vcc_lo
	v_cmp_gt_i64_e32 vcc_lo, s[14:15], v[0:1]
	v_mov_b32_e32 v1, v41
	s_delay_alu instid0(VALU_DEP_3) | instskip(SKIP_4) | instid1(VALU_DEP_4)
	v_mad_u64_u32 v[56:57], null, v7, s15, v[4:5]
	v_cvt_f32_u32_e32 v4, s14
	v_mad_u64_u32 v[57:58], null, v0, s15, v[8:9]
	v_mov_b32_e32 v0, v44
	v_mad_u64_u32 v[44:45], null, v6, s15, v[1:2]
	v_rcp_iflag_f32_e32 v4, v4
	v_mov_b32_e32 v7, v3
	s_delay_alu instid0(VALU_DEP_3)
	v_mad_u64_u32 v[58:59], null, v38, s15, v[0:1]
	v_mov_b32_e32 v37, v56
	v_mov_b32_e32 v35, v57
	;; [unrolled: 1-line block ×3, first 2 shown]
	s_and_b32 s46, s9, vcc_lo
	v_cmp_gt_i64_e32 vcc_lo, s[14:15], v[6:7]
	v_mov_b32_e32 v0, s24
	v_mov_b32_e32 v44, v58
	v_mul_f32_e32 v4, 0x4f7ffffe, v4
	v_lshlrev_b64 v[6:7], 3, v[9:10]
	v_lshlrev_b64 v[8:9], 3, v[11:12]
	;; [unrolled: 1-line block ×16, first 2 shown]
	v_mov_b32_e32 v1, s25
	v_cvt_u32_f32_e32 v56, v4
	v_dual_mov_b32 v57, 1 :: v_dual_mov_b32 v40, 0
	s_and_b32 s47, s9, vcc_lo
	s_and_b32 s48, s9, s10
	s_mov_b64 s[10:11], 0
	s_branch .LBB133_7
.LBB133_6:                              ;   in Loop: Header=BB133_7 Depth=1
	s_or_b32 exec_lo, exec_lo, s10
	s_waitcnt lgkmcnt(0)
	s_barrier
	buffer_gl0_inv
	ds_load_b64 v[40:41], v3
	s_add_i32 s22, s9, s22
	s_waitcnt lgkmcnt(0)
	s_barrier
	buffer_gl0_inv
	v_readfirstlane_b32 s10, v40
	v_readfirstlane_b32 s11, v41
	s_delay_alu instid0(VALU_DEP_1) | instskip(NEXT) | instid1(SALU_CYCLE_1)
	s_bfe_i64 s[10:11], s[10:11], 0x200000
	v_cmp_lt_i64_e64 s23, s[10:11], s[12:13]
	s_delay_alu instid0(VALU_DEP_1)
	s_and_b32 vcc_lo, exec_lo, s23
	s_cbranch_vccz .LBB133_69
.LBB133_7:                              ; =>This Loop Header: Depth=1
                                        ;     Child Loop BB133_10 Depth 2
	v_dual_mov_b32 v39, s13 :: v_dual_mov_b32 v4, v2
	v_dual_mov_b32 v38, s12 :: v_dual_add_nc_u32 v41, v42, v5
	s_mov_b32 s23, exec_lo
	ds_store_b8 v3, v3 offset:32768
	ds_store_2addr_b64 v55, v[0:1], v[0:1] offset1:4
	ds_store_2addr_b64 v55, v[0:1], v[0:1] offset0:8 offset1:12
	ds_store_2addr_b64 v55, v[0:1], v[0:1] offset0:16 offset1:20
	;; [unrolled: 1-line block ×7, first 2 shown]
	s_waitcnt lgkmcnt(0)
	s_barrier
	buffer_gl0_inv
	v_cmpx_lt_i32_e64 v41, v2
	s_cbranch_execz .LBB133_19
; %bb.8:                                ;   in Loop: Header=BB133_7 Depth=1
	v_dual_mov_b32 v39, s13 :: v_dual_mov_b32 v38, s12
	v_mov_b32_e32 v58, v2
	s_mul_i32 s50, s10, s14
	s_mov_b32 s49, 0
	s_branch .LBB133_10
.LBB133_9:                              ;   in Loop: Header=BB133_10 Depth=2
	s_or_b32 exec_lo, exec_lo, s24
	s_delay_alu instid0(VALU_DEP_1) | instskip(SKIP_1) | instid1(VALU_DEP_1)
	v_dual_mov_b32 v58, v4 :: v_dual_add_nc_u32 v41, 4, v41
	s_xor_b32 s24, vcc_lo, -1
	v_cmp_ge_i32_e64 s9, v41, v2
	s_delay_alu instid0(VALU_DEP_1) | instskip(NEXT) | instid1(SALU_CYCLE_1)
	s_or_b32 s9, s24, s9
	s_and_b32 s9, exec_lo, s9
	s_delay_alu instid0(SALU_CYCLE_1) | instskip(NEXT) | instid1(SALU_CYCLE_1)
	s_or_b32 s49, s9, s49
	s_and_not1_b32 exec_lo, exec_lo, s49
	s_cbranch_execz .LBB133_18
.LBB133_10:                             ;   Parent Loop BB133_7 Depth=1
                                        ; =>  This Inner Loop Header: Depth=2
	v_ashrrev_i32_e32 v42, 31, v41
	s_mov_b32 s9, exec_lo
	s_delay_alu instid0(VALU_DEP_1) | instskip(NEXT) | instid1(VALU_DEP_1)
	v_lshlrev_b64 v[42:43], 3, v[41:42]
	v_add_co_u32 v44, vcc_lo, s18, v42
	s_delay_alu instid0(VALU_DEP_2) | instskip(SKIP_4) | instid1(VALU_DEP_1)
	v_add_co_ci_u32_e32 v45, vcc_lo, s19, v43, vcc_lo
	global_load_b64 v[44:45], v[44:45], off
	s_waitcnt vmcnt(0)
	v_sub_co_u32 v59, vcc_lo, v44, s28
	v_subrev_co_ci_u32_e32 v60, vcc_lo, 0, v45, vcc_lo
                                        ; implicit-def: $vgpr44_vgpr45
	v_or_b32_e32 v4, s15, v60
	s_delay_alu instid0(VALU_DEP_1)
	v_cmpx_ne_u64_e32 0, v[3:4]
	s_xor_b32 s51, exec_lo, s9
	s_cbranch_execz .LBB133_12
; %bb.11:                               ;   in Loop: Header=BB133_10 Depth=2
	s_ashr_i32 s24, s15, 31
	s_delay_alu instid0(SALU_CYCLE_1) | instskip(SKIP_2) | instid1(SALU_CYCLE_1)
	s_add_u32 s26, s14, s24
	s_mov_b32 s25, s24
	s_addc_u32 s27, s15, s24
	s_xor_b64 s[26:27], s[26:27], s[24:25]
	s_delay_alu instid0(SALU_CYCLE_1) | instskip(SKIP_3) | instid1(VALU_DEP_1)
	v_cvt_f32_u32_e32 v4, s26
	v_cvt_f32_u32_e32 v44, s27
	s_sub_u32 s9, 0, s26
	s_subb_u32 s25, 0, s27
	v_fmac_f32_e32 v4, 0x4f800000, v44
	s_delay_alu instid0(VALU_DEP_1) | instskip(SKIP_2) | instid1(VALU_DEP_1)
	v_rcp_f32_e32 v4, v4
	s_waitcnt_depctr 0xfff
	v_mul_f32_e32 v4, 0x5f7ffffc, v4
	v_mul_f32_e32 v44, 0x2f800000, v4
	s_delay_alu instid0(VALU_DEP_1) | instskip(NEXT) | instid1(VALU_DEP_1)
	v_trunc_f32_e32 v44, v44
	v_fmac_f32_e32 v4, 0xcf800000, v44
	v_cvt_u32_f32_e32 v44, v44
	s_delay_alu instid0(VALU_DEP_2) | instskip(NEXT) | instid1(VALU_DEP_2)
	v_cvt_u32_f32_e32 v4, v4
	v_mul_lo_u32 v45, s9, v44
	s_delay_alu instid0(VALU_DEP_2) | instskip(SKIP_1) | instid1(VALU_DEP_2)
	v_mul_hi_u32 v61, s9, v4
	v_mul_lo_u32 v62, s25, v4
	v_add_nc_u32_e32 v45, v61, v45
	v_mul_lo_u32 v61, s9, v4
	s_delay_alu instid0(VALU_DEP_2) | instskip(NEXT) | instid1(VALU_DEP_2)
	v_add_nc_u32_e32 v45, v45, v62
	v_mul_hi_u32 v62, v4, v61
	s_delay_alu instid0(VALU_DEP_2)
	v_mul_lo_u32 v63, v4, v45
	v_mul_hi_u32 v64, v4, v45
	v_mul_hi_u32 v65, v44, v61
	v_mul_lo_u32 v61, v44, v61
	v_mul_hi_u32 v66, v44, v45
	v_mul_lo_u32 v45, v44, v45
	v_add_co_u32 v62, vcc_lo, v62, v63
	v_add_co_ci_u32_e32 v63, vcc_lo, 0, v64, vcc_lo
	s_delay_alu instid0(VALU_DEP_2) | instskip(NEXT) | instid1(VALU_DEP_2)
	v_add_co_u32 v61, vcc_lo, v62, v61
	v_add_co_ci_u32_e32 v61, vcc_lo, v63, v65, vcc_lo
	v_add_co_ci_u32_e32 v62, vcc_lo, 0, v66, vcc_lo
	v_ashrrev_i32_e32 v65, 31, v60
	s_delay_alu instid0(VALU_DEP_3) | instskip(NEXT) | instid1(VALU_DEP_3)
	v_add_co_u32 v45, vcc_lo, v61, v45
	v_add_co_ci_u32_e32 v61, vcc_lo, 0, v62, vcc_lo
	s_delay_alu instid0(VALU_DEP_2) | instskip(NEXT) | instid1(VALU_DEP_2)
	v_add_co_u32 v4, vcc_lo, v4, v45
	v_add_co_ci_u32_e32 v44, vcc_lo, v44, v61, vcc_lo
	s_delay_alu instid0(VALU_DEP_2) | instskip(SKIP_1) | instid1(VALU_DEP_3)
	v_mul_hi_u32 v45, s9, v4
	v_mul_lo_u32 v62, s25, v4
	v_mul_lo_u32 v61, s9, v44
	s_delay_alu instid0(VALU_DEP_1) | instskip(SKIP_1) | instid1(VALU_DEP_2)
	v_add_nc_u32_e32 v45, v45, v61
	v_mul_lo_u32 v61, s9, v4
	v_add_nc_u32_e32 v45, v45, v62
	s_delay_alu instid0(VALU_DEP_2) | instskip(NEXT) | instid1(VALU_DEP_2)
	v_mul_hi_u32 v62, v4, v61
	v_mul_lo_u32 v63, v4, v45
	v_mul_hi_u32 v64, v4, v45
	v_mul_hi_u32 v66, v44, v61
	v_mul_lo_u32 v61, v44, v61
	v_mul_hi_u32 v67, v44, v45
	v_mul_lo_u32 v45, v44, v45
	v_add_co_u32 v62, vcc_lo, v62, v63
	v_add_co_ci_u32_e32 v63, vcc_lo, 0, v64, vcc_lo
	s_delay_alu instid0(VALU_DEP_2) | instskip(NEXT) | instid1(VALU_DEP_2)
	v_add_co_u32 v61, vcc_lo, v62, v61
	v_add_co_ci_u32_e32 v61, vcc_lo, v63, v66, vcc_lo
	v_add_co_ci_u32_e32 v62, vcc_lo, 0, v67, vcc_lo
	v_add_co_u32 v63, vcc_lo, v59, v65
	v_add_co_ci_u32_e32 v60, vcc_lo, v60, v65, vcc_lo
	s_delay_alu instid0(VALU_DEP_4) | instskip(NEXT) | instid1(VALU_DEP_4)
	v_add_co_u32 v45, vcc_lo, v61, v45
	v_add_co_ci_u32_e32 v61, vcc_lo, 0, v62, vcc_lo
	s_delay_alu instid0(VALU_DEP_4) | instskip(NEXT) | instid1(VALU_DEP_3)
	v_xor_b32_e32 v64, v63, v65
	v_add_co_u32 v4, vcc_lo, v4, v45
	s_delay_alu instid0(VALU_DEP_3) | instskip(SKIP_1) | instid1(VALU_DEP_3)
	v_add_co_ci_u32_e32 v66, vcc_lo, v44, v61, vcc_lo
	v_xor_b32_e32 v67, v60, v65
	v_mul_hi_u32 v68, v64, v4
	s_delay_alu instid0(VALU_DEP_3) | instskip(NEXT) | instid1(VALU_DEP_3)
	v_mad_u64_u32 v[44:45], null, v64, v66, 0
	v_mad_u64_u32 v[60:61], null, v67, v4, 0
	;; [unrolled: 1-line block ×3, first 2 shown]
	s_delay_alu instid0(VALU_DEP_3) | instskip(NEXT) | instid1(VALU_DEP_4)
	v_add_co_u32 v4, vcc_lo, v68, v44
	v_add_co_ci_u32_e32 v44, vcc_lo, 0, v45, vcc_lo
	s_delay_alu instid0(VALU_DEP_2) | instskip(NEXT) | instid1(VALU_DEP_2)
	v_add_co_u32 v4, vcc_lo, v4, v60
	v_add_co_ci_u32_e32 v4, vcc_lo, v44, v61, vcc_lo
	v_add_co_ci_u32_e32 v44, vcc_lo, 0, v63, vcc_lo
	s_delay_alu instid0(VALU_DEP_2) | instskip(NEXT) | instid1(VALU_DEP_2)
	v_add_co_u32 v4, vcc_lo, v4, v62
	v_add_co_ci_u32_e32 v60, vcc_lo, 0, v44, vcc_lo
	s_delay_alu instid0(VALU_DEP_2) | instskip(SKIP_1) | instid1(VALU_DEP_3)
	v_mul_lo_u32 v61, s27, v4
	v_mad_u64_u32 v[44:45], null, s26, v4, 0
	v_mul_lo_u32 v62, s26, v60
	s_delay_alu instid0(VALU_DEP_2) | instskip(NEXT) | instid1(VALU_DEP_2)
	v_sub_co_u32 v44, vcc_lo, v64, v44
	v_add3_u32 v45, v45, v62, v61
	s_delay_alu instid0(VALU_DEP_1) | instskip(NEXT) | instid1(VALU_DEP_1)
	v_sub_nc_u32_e32 v61, v67, v45
	v_subrev_co_ci_u32_e64 v61, s9, s27, v61, vcc_lo
	v_add_co_u32 v62, s9, v4, 2
	s_delay_alu instid0(VALU_DEP_1) | instskip(SKIP_3) | instid1(VALU_DEP_3)
	v_add_co_ci_u32_e64 v63, s9, 0, v60, s9
	v_sub_co_u32 v64, s9, v44, s26
	v_sub_co_ci_u32_e32 v45, vcc_lo, v67, v45, vcc_lo
	v_subrev_co_ci_u32_e64 v61, s9, 0, v61, s9
	v_cmp_le_u32_e32 vcc_lo, s26, v64
	s_delay_alu instid0(VALU_DEP_3) | instskip(SKIP_1) | instid1(VALU_DEP_4)
	v_cmp_eq_u32_e64 s9, s27, v45
	v_cndmask_b32_e64 v64, 0, -1, vcc_lo
	v_cmp_le_u32_e32 vcc_lo, s27, v61
	v_cndmask_b32_e64 v66, 0, -1, vcc_lo
	v_cmp_le_u32_e32 vcc_lo, s26, v44
	;; [unrolled: 2-line block ×3, first 2 shown]
	v_cndmask_b32_e64 v67, 0, -1, vcc_lo
	v_cmp_eq_u32_e32 vcc_lo, s27, v61
	s_delay_alu instid0(VALU_DEP_2) | instskip(SKIP_3) | instid1(VALU_DEP_3)
	v_cndmask_b32_e64 v44, v67, v44, s9
	v_cndmask_b32_e32 v61, v66, v64, vcc_lo
	v_add_co_u32 v64, vcc_lo, v4, 1
	v_add_co_ci_u32_e32 v66, vcc_lo, 0, v60, vcc_lo
	v_cmp_ne_u32_e32 vcc_lo, 0, v61
	s_delay_alu instid0(VALU_DEP_3) | instskip(NEXT) | instid1(VALU_DEP_3)
	v_cndmask_b32_e32 v61, v64, v62, vcc_lo
	v_cndmask_b32_e32 v45, v66, v63, vcc_lo
	v_cmp_ne_u32_e32 vcc_lo, 0, v44
	v_xor_b32_e32 v62, s24, v65
	s_delay_alu instid0(VALU_DEP_4) | instskip(NEXT) | instid1(VALU_DEP_4)
	v_cndmask_b32_e32 v4, v4, v61, vcc_lo
	v_cndmask_b32_e32 v44, v60, v45, vcc_lo
	s_delay_alu instid0(VALU_DEP_2) | instskip(NEXT) | instid1(VALU_DEP_2)
	v_xor_b32_e32 v4, v4, v62
	v_xor_b32_e32 v45, v44, v62
	s_delay_alu instid0(VALU_DEP_2) | instskip(NEXT) | instid1(VALU_DEP_2)
	v_sub_co_u32 v44, vcc_lo, v4, v62
	v_sub_co_ci_u32_e32 v45, vcc_lo, v45, v62, vcc_lo
.LBB133_12:                             ;   in Loop: Header=BB133_10 Depth=2
	s_and_not1_saveexec_b32 s9, s51
	s_cbranch_execz .LBB133_14
; %bb.13:                               ;   in Loop: Header=BB133_10 Depth=2
	s_sub_i32 s24, 0, s14
	s_delay_alu instid0(SALU_CYCLE_1) | instskip(NEXT) | instid1(VALU_DEP_1)
	v_mul_lo_u32 v4, s24, v56
	v_mul_hi_u32 v4, v56, v4
	s_delay_alu instid0(VALU_DEP_1) | instskip(NEXT) | instid1(VALU_DEP_1)
	v_add_nc_u32_e32 v4, v56, v4
	v_mul_hi_u32 v4, v59, v4
	s_delay_alu instid0(VALU_DEP_1) | instskip(SKIP_1) | instid1(VALU_DEP_2)
	v_mul_lo_u32 v44, v4, s14
	v_add_nc_u32_e32 v45, 1, v4
	v_sub_nc_u32_e32 v44, v59, v44
	s_delay_alu instid0(VALU_DEP_1) | instskip(SKIP_1) | instid1(VALU_DEP_2)
	v_subrev_nc_u32_e32 v60, s14, v44
	v_cmp_le_u32_e32 vcc_lo, s14, v44
	v_cndmask_b32_e32 v44, v44, v60, vcc_lo
	v_cndmask_b32_e32 v4, v4, v45, vcc_lo
	s_delay_alu instid0(VALU_DEP_2) | instskip(NEXT) | instid1(VALU_DEP_2)
	v_cmp_le_u32_e32 vcc_lo, s14, v44
	v_add_nc_u32_e32 v45, 1, v4
	s_delay_alu instid0(VALU_DEP_1)
	v_dual_cndmask_b32 v44, v4, v45 :: v_dual_mov_b32 v45, v3
.LBB133_14:                             ;   in Loop: Header=BB133_10 Depth=2
	s_or_b32 exec_lo, exec_lo, s9
	s_delay_alu instid0(VALU_DEP_1)
	v_cmp_eq_u64_e32 vcc_lo, s[10:11], v[44:45]
	s_mov_b32 s24, exec_lo
	v_cmpx_ne_u64_e64 s[10:11], v[44:45]
	s_xor_b32 s24, exec_lo, s24
; %bb.15:                               ;   in Loop: Header=BB133_10 Depth=2
	v_cmp_lt_i64_e64 s9, v[44:45], v[38:39]
                                        ; implicit-def: $vgpr42_vgpr43
                                        ; implicit-def: $vgpr59
                                        ; implicit-def: $vgpr58
	s_delay_alu instid0(VALU_DEP_1)
	v_cndmask_b32_e64 v39, v39, v45, s9
	v_cndmask_b32_e64 v38, v38, v44, s9
; %bb.16:                               ;   in Loop: Header=BB133_10 Depth=2
	s_or_saveexec_b32 s24, s24
	v_mov_b32_e32 v4, v41
	s_xor_b32 exec_lo, exec_lo, s24
	s_cbranch_execz .LBB133_9
; %bb.17:                               ;   in Loop: Header=BB133_10 Depth=2
	v_add_co_u32 v42, s9, s20, v42
	s_delay_alu instid0(VALU_DEP_1)
	v_add_co_ci_u32_e64 v43, s9, s21, v43, s9
	v_subrev_nc_u32_e32 v4, s50, v59
	global_load_b64 v[42:43], v[42:43], off
	v_add_lshl_u32 v44, v46, v4, 3
	v_mov_b32_e32 v4, v58
	ds_store_b8 v3, v57 offset:32768
	s_waitcnt vmcnt(0)
	ds_store_b64 v44, v[42:43]
	s_branch .LBB133_9
.LBB133_18:                             ;   in Loop: Header=BB133_7 Depth=1
	s_or_b32 exec_lo, exec_lo, s49
.LBB133_19:                             ;   in Loop: Header=BB133_7 Depth=1
	s_delay_alu instid0(SALU_CYCLE_1)
	s_or_b32 exec_lo, exec_lo, s23
	ds_bpermute_b32 v41, v48, v4
	s_waitcnt lgkmcnt(0)
	s_barrier
	buffer_gl0_inv
	ds_load_u8 v43, v3 offset:32768
	s_mov_b32 s9, 0
	v_min_i32_e32 v4, v41, v4
	s_waitcnt lgkmcnt(0)
	v_cmp_eq_u32_e32 vcc_lo, 0, v43
	ds_bpermute_b32 v41, v49, v4
	s_waitcnt lgkmcnt(0)
	v_min_i32_e32 v4, v41, v4
	ds_bpermute_b32 v42, v47, v4
	s_cbranch_vccnz .LBB133_38
; %bb.20:                               ;   in Loop: Header=BB133_7 Depth=1
	s_ashr_i32 s23, s22, 31
	s_mul_hi_u32 s9, s29, s22
	s_lshl_b64 s[10:11], s[22:23], 3
	s_mul_i32 s23, s29, s23
	s_add_u32 s10, s16, s10
	s_addc_u32 s11, s17, s11
	s_add_i32 s9, s9, s23
	s_mul_i32 s23, s31, s22
	s_mul_i32 s24, s29, s22
	s_add_i32 s25, s9, s23
	v_add_nc_u32_e32 v44, s30, v40
	s_lshl_b64 s[24:25], s[24:25], 3
	s_delay_alu instid0(SALU_CYCLE_1)
	v_add_co_u32 v4, vcc_lo, v50, s24
	v_add_co_ci_u32_e32 v40, vcc_lo, s25, v51, vcc_lo
	v_add_co_u32 v41, vcc_lo, v52, s24
	v_ashrrev_i32_e32 v45, 31, v44
	v_add_co_ci_u32_e32 v43, vcc_lo, s25, v53, vcc_lo
	global_store_b64 v3, v[44:45], s[10:11]
	s_and_saveexec_b32 s9, s33
	s_cbranch_execnz .LBB133_54
; %bb.21:                               ;   in Loop: Header=BB133_7 Depth=1
	s_or_b32 exec_lo, exec_lo, s9
	s_and_saveexec_b32 s9, s34
	s_cbranch_execnz .LBB133_55
.LBB133_22:                             ;   in Loop: Header=BB133_7 Depth=1
	s_or_b32 exec_lo, exec_lo, s9
	s_and_saveexec_b32 s9, s35
	s_cbranch_execnz .LBB133_56
.LBB133_23:                             ;   in Loop: Header=BB133_7 Depth=1
	s_or_b32 exec_lo, exec_lo, s9
	s_and_saveexec_b32 s9, s36
	s_cbranch_execnz .LBB133_57
.LBB133_24:                             ;   in Loop: Header=BB133_7 Depth=1
	s_or_b32 exec_lo, exec_lo, s9
	s_and_saveexec_b32 s9, s37
	s_cbranch_execnz .LBB133_58
.LBB133_25:                             ;   in Loop: Header=BB133_7 Depth=1
	s_or_b32 exec_lo, exec_lo, s9
	s_and_saveexec_b32 s9, s38
	s_cbranch_execnz .LBB133_59
.LBB133_26:                             ;   in Loop: Header=BB133_7 Depth=1
	s_or_b32 exec_lo, exec_lo, s9
	s_and_saveexec_b32 s9, s39
	s_cbranch_execnz .LBB133_60
.LBB133_27:                             ;   in Loop: Header=BB133_7 Depth=1
	s_or_b32 exec_lo, exec_lo, s9
	s_and_saveexec_b32 s9, s40
	s_cbranch_execnz .LBB133_61
.LBB133_28:                             ;   in Loop: Header=BB133_7 Depth=1
	s_or_b32 exec_lo, exec_lo, s9
	s_and_saveexec_b32 s9, s41
	s_cbranch_execnz .LBB133_62
.LBB133_29:                             ;   in Loop: Header=BB133_7 Depth=1
	s_or_b32 exec_lo, exec_lo, s9
	s_and_saveexec_b32 s9, s42
	s_cbranch_execnz .LBB133_63
.LBB133_30:                             ;   in Loop: Header=BB133_7 Depth=1
	s_or_b32 exec_lo, exec_lo, s9
	s_and_saveexec_b32 s9, s43
	s_cbranch_execnz .LBB133_64
.LBB133_31:                             ;   in Loop: Header=BB133_7 Depth=1
	s_or_b32 exec_lo, exec_lo, s9
	s_and_saveexec_b32 s9, s44
	s_cbranch_execnz .LBB133_65
.LBB133_32:                             ;   in Loop: Header=BB133_7 Depth=1
	s_or_b32 exec_lo, exec_lo, s9
	s_and_saveexec_b32 s9, s45
	s_cbranch_execnz .LBB133_66
.LBB133_33:                             ;   in Loop: Header=BB133_7 Depth=1
	s_or_b32 exec_lo, exec_lo, s9
	s_and_saveexec_b32 s9, s46
	s_cbranch_execnz .LBB133_67
.LBB133_34:                             ;   in Loop: Header=BB133_7 Depth=1
	s_or_b32 exec_lo, exec_lo, s9
	s_and_saveexec_b32 s9, s47
	s_cbranch_execnz .LBB133_68
.LBB133_35:                             ;   in Loop: Header=BB133_7 Depth=1
	s_or_b32 exec_lo, exec_lo, s9
	s_and_saveexec_b32 s9, s48
	s_cbranch_execz .LBB133_37
.LBB133_36:                             ;   in Loop: Header=BB133_7 Depth=1
	ds_load_b64 v[44:45], v55 offset:480
	v_add_co_u32 v58, vcc_lo, 0x1e0, v41
	v_add_co_ci_u32_e32 v41, vcc_lo, 0, v43, vcc_lo
	v_add_co_u32 v4, vcc_lo, v4, v36
	v_add_co_ci_u32_e32 v40, vcc_lo, v40, v37, vcc_lo
	s_delay_alu instid0(VALU_DEP_1) | instskip(NEXT) | instid1(VALU_DEP_3)
	v_cndmask_b32_e64 v41, v40, v41, s0
	v_cndmask_b32_e64 v40, v4, v58, s0
	s_waitcnt lgkmcnt(0)
	global_store_b64 v[40:41], v[44:45], off
.LBB133_37:                             ;   in Loop: Header=BB133_7 Depth=1
	s_or_b32 exec_lo, exec_lo, s9
	s_mov_b32 s9, 1
.LBB133_38:                             ;   in Loop: Header=BB133_7 Depth=1
	s_waitcnt lgkmcnt(0)
	s_waitcnt_vscnt null, 0x0
	s_barrier
	buffer_gl0_inv
	ds_store_b64 v54, v[38:39]
	s_waitcnt lgkmcnt(0)
	s_barrier
	buffer_gl0_inv
	s_and_saveexec_b32 s10, s1
	s_cbranch_execz .LBB133_40
; %bb.39:                               ;   in Loop: Header=BB133_7 Depth=1
	ds_load_2addr_stride64_b64 v[38:41], v54 offset1:2
	s_waitcnt lgkmcnt(0)
	v_cmp_lt_i64_e32 vcc_lo, v[40:41], v[38:39]
	v_dual_cndmask_b32 v39, v39, v41 :: v_dual_cndmask_b32 v38, v38, v40
	ds_store_b64 v54, v[38:39]
.LBB133_40:                             ;   in Loop: Header=BB133_7 Depth=1
	s_or_b32 exec_lo, exec_lo, s10
	s_waitcnt lgkmcnt(0)
	s_barrier
	buffer_gl0_inv
	s_and_saveexec_b32 s10, s2
	s_cbranch_execz .LBB133_42
; %bb.41:                               ;   in Loop: Header=BB133_7 Depth=1
	ds_load_2addr_stride64_b64 v[38:41], v54 offset1:1
	s_waitcnt lgkmcnt(0)
	v_cmp_lt_i64_e32 vcc_lo, v[40:41], v[38:39]
	v_dual_cndmask_b32 v39, v39, v41 :: v_dual_cndmask_b32 v38, v38, v40
	ds_store_b64 v54, v[38:39]
.LBB133_42:                             ;   in Loop: Header=BB133_7 Depth=1
	s_or_b32 exec_lo, exec_lo, s10
	s_waitcnt lgkmcnt(0)
	s_barrier
	buffer_gl0_inv
	s_and_saveexec_b32 s10, s3
	s_cbranch_execz .LBB133_44
; %bb.43:                               ;   in Loop: Header=BB133_7 Depth=1
	ds_load_2addr_b64 v[38:41], v54 offset1:32
	s_waitcnt lgkmcnt(0)
	v_cmp_lt_i64_e32 vcc_lo, v[40:41], v[38:39]
	v_dual_cndmask_b32 v39, v39, v41 :: v_dual_cndmask_b32 v38, v38, v40
	ds_store_b64 v54, v[38:39]
.LBB133_44:                             ;   in Loop: Header=BB133_7 Depth=1
	s_or_b32 exec_lo, exec_lo, s10
	s_waitcnt lgkmcnt(0)
	s_barrier
	buffer_gl0_inv
	s_and_saveexec_b32 s10, s4
	s_cbranch_execz .LBB133_46
; %bb.45:                               ;   in Loop: Header=BB133_7 Depth=1
	ds_load_2addr_b64 v[38:41], v54 offset1:16
	s_waitcnt lgkmcnt(0)
	v_cmp_lt_i64_e32 vcc_lo, v[40:41], v[38:39]
	v_dual_cndmask_b32 v39, v39, v41 :: v_dual_cndmask_b32 v38, v38, v40
	ds_store_b64 v54, v[38:39]
.LBB133_46:                             ;   in Loop: Header=BB133_7 Depth=1
	;; [unrolled: 13-line block ×5, first 2 shown]
	s_or_b32 exec_lo, exec_lo, s10
	s_waitcnt lgkmcnt(0)
	s_barrier
	buffer_gl0_inv
	s_and_saveexec_b32 s10, s8
	s_cbranch_execz .LBB133_6
; %bb.53:                               ;   in Loop: Header=BB133_7 Depth=1
	ds_load_b128 v[38:41], v3
	s_waitcnt lgkmcnt(0)
	v_cmp_lt_i64_e32 vcc_lo, v[40:41], v[38:39]
	v_dual_cndmask_b32 v39, v39, v41 :: v_dual_cndmask_b32 v38, v38, v40
	ds_store_b64 v3, v[38:39]
	s_branch .LBB133_6
.LBB133_54:                             ;   in Loop: Header=BB133_7 Depth=1
	ds_load_b64 v[44:45], v55
	v_add_co_u32 v58, vcc_lo, v4, v6
	v_add_co_ci_u32_e32 v59, vcc_lo, v40, v7, vcc_lo
	s_delay_alu instid0(VALU_DEP_2) | instskip(NEXT) | instid1(VALU_DEP_2)
	v_cndmask_b32_e64 v58, v58, v41, s0
	v_cndmask_b32_e64 v59, v59, v43, s0
	s_waitcnt lgkmcnt(0)
	global_store_b64 v[58:59], v[44:45], off
	s_or_b32 exec_lo, exec_lo, s9
	s_and_saveexec_b32 s9, s34
	s_cbranch_execz .LBB133_22
.LBB133_55:                             ;   in Loop: Header=BB133_7 Depth=1
	ds_load_b64 v[44:45], v55 offset:32
	v_add_co_u32 v58, vcc_lo, v41, 32
	v_add_co_ci_u32_e32 v59, vcc_lo, 0, v43, vcc_lo
	v_add_co_u32 v60, vcc_lo, v4, v8
	v_add_co_ci_u32_e32 v61, vcc_lo, v40, v9, vcc_lo
	s_delay_alu instid0(VALU_DEP_2) | instskip(NEXT) | instid1(VALU_DEP_2)
	v_cndmask_b32_e64 v58, v60, v58, s0
	v_cndmask_b32_e64 v59, v61, v59, s0
	s_waitcnt lgkmcnt(0)
	global_store_b64 v[58:59], v[44:45], off
	s_or_b32 exec_lo, exec_lo, s9
	s_and_saveexec_b32 s9, s35
	s_cbranch_execz .LBB133_23
.LBB133_56:                             ;   in Loop: Header=BB133_7 Depth=1
	ds_load_b64 v[44:45], v55 offset:64
	v_add_co_u32 v58, vcc_lo, v41, 64
	v_add_co_ci_u32_e32 v59, vcc_lo, 0, v43, vcc_lo
	v_add_co_u32 v60, vcc_lo, v4, v10
	v_add_co_ci_u32_e32 v61, vcc_lo, v40, v11, vcc_lo
	s_delay_alu instid0(VALU_DEP_2) | instskip(NEXT) | instid1(VALU_DEP_2)
	v_cndmask_b32_e64 v58, v60, v58, s0
	v_cndmask_b32_e64 v59, v61, v59, s0
	s_waitcnt lgkmcnt(0)
	global_store_b64 v[58:59], v[44:45], off
	s_or_b32 exec_lo, exec_lo, s9
	s_and_saveexec_b32 s9, s36
	s_cbranch_execz .LBB133_24
.LBB133_57:                             ;   in Loop: Header=BB133_7 Depth=1
	ds_load_b64 v[44:45], v55 offset:96
	v_add_co_u32 v58, vcc_lo, 0x60, v41
	v_add_co_ci_u32_e32 v59, vcc_lo, 0, v43, vcc_lo
	v_add_co_u32 v60, vcc_lo, v4, v12
	v_add_co_ci_u32_e32 v61, vcc_lo, v40, v13, vcc_lo
	s_delay_alu instid0(VALU_DEP_2) | instskip(NEXT) | instid1(VALU_DEP_2)
	v_cndmask_b32_e64 v58, v60, v58, s0
	v_cndmask_b32_e64 v59, v61, v59, s0
	s_waitcnt lgkmcnt(0)
	global_store_b64 v[58:59], v[44:45], off
	s_or_b32 exec_lo, exec_lo, s9
	s_and_saveexec_b32 s9, s37
	s_cbranch_execz .LBB133_25
.LBB133_58:                             ;   in Loop: Header=BB133_7 Depth=1
	ds_load_b64 v[44:45], v55 offset:128
	v_add_co_u32 v58, vcc_lo, 0x80, v41
	v_add_co_ci_u32_e32 v59, vcc_lo, 0, v43, vcc_lo
	v_add_co_u32 v60, vcc_lo, v4, v14
	v_add_co_ci_u32_e32 v61, vcc_lo, v40, v15, vcc_lo
	s_delay_alu instid0(VALU_DEP_2) | instskip(NEXT) | instid1(VALU_DEP_2)
	v_cndmask_b32_e64 v58, v60, v58, s0
	v_cndmask_b32_e64 v59, v61, v59, s0
	s_waitcnt lgkmcnt(0)
	global_store_b64 v[58:59], v[44:45], off
	s_or_b32 exec_lo, exec_lo, s9
	s_and_saveexec_b32 s9, s38
	s_cbranch_execz .LBB133_26
.LBB133_59:                             ;   in Loop: Header=BB133_7 Depth=1
	ds_load_b64 v[44:45], v55 offset:160
	v_add_co_u32 v58, vcc_lo, 0xa0, v41
	v_add_co_ci_u32_e32 v59, vcc_lo, 0, v43, vcc_lo
	v_add_co_u32 v60, vcc_lo, v4, v16
	v_add_co_ci_u32_e32 v61, vcc_lo, v40, v17, vcc_lo
	s_delay_alu instid0(VALU_DEP_2) | instskip(NEXT) | instid1(VALU_DEP_2)
	v_cndmask_b32_e64 v58, v60, v58, s0
	v_cndmask_b32_e64 v59, v61, v59, s0
	s_waitcnt lgkmcnt(0)
	global_store_b64 v[58:59], v[44:45], off
	s_or_b32 exec_lo, exec_lo, s9
	s_and_saveexec_b32 s9, s39
	s_cbranch_execz .LBB133_27
.LBB133_60:                             ;   in Loop: Header=BB133_7 Depth=1
	ds_load_b64 v[44:45], v55 offset:192
	v_add_co_u32 v58, vcc_lo, 0xc0, v41
	v_add_co_ci_u32_e32 v59, vcc_lo, 0, v43, vcc_lo
	v_add_co_u32 v60, vcc_lo, v4, v18
	v_add_co_ci_u32_e32 v61, vcc_lo, v40, v19, vcc_lo
	s_delay_alu instid0(VALU_DEP_2) | instskip(NEXT) | instid1(VALU_DEP_2)
	v_cndmask_b32_e64 v58, v60, v58, s0
	v_cndmask_b32_e64 v59, v61, v59, s0
	s_waitcnt lgkmcnt(0)
	global_store_b64 v[58:59], v[44:45], off
	s_or_b32 exec_lo, exec_lo, s9
	s_and_saveexec_b32 s9, s40
	s_cbranch_execz .LBB133_28
.LBB133_61:                             ;   in Loop: Header=BB133_7 Depth=1
	ds_load_b64 v[44:45], v55 offset:224
	v_add_co_u32 v58, vcc_lo, 0xe0, v41
	v_add_co_ci_u32_e32 v59, vcc_lo, 0, v43, vcc_lo
	v_add_co_u32 v60, vcc_lo, v4, v20
	v_add_co_ci_u32_e32 v61, vcc_lo, v40, v21, vcc_lo
	s_delay_alu instid0(VALU_DEP_2) | instskip(NEXT) | instid1(VALU_DEP_2)
	v_cndmask_b32_e64 v58, v60, v58, s0
	v_cndmask_b32_e64 v59, v61, v59, s0
	s_waitcnt lgkmcnt(0)
	global_store_b64 v[58:59], v[44:45], off
	s_or_b32 exec_lo, exec_lo, s9
	s_and_saveexec_b32 s9, s41
	s_cbranch_execz .LBB133_29
.LBB133_62:                             ;   in Loop: Header=BB133_7 Depth=1
	ds_load_b64 v[44:45], v55 offset:256
	v_add_co_u32 v58, vcc_lo, 0x100, v41
	v_add_co_ci_u32_e32 v59, vcc_lo, 0, v43, vcc_lo
	v_add_co_u32 v60, vcc_lo, v4, v22
	v_add_co_ci_u32_e32 v61, vcc_lo, v40, v23, vcc_lo
	s_delay_alu instid0(VALU_DEP_2) | instskip(NEXT) | instid1(VALU_DEP_2)
	v_cndmask_b32_e64 v58, v60, v58, s0
	v_cndmask_b32_e64 v59, v61, v59, s0
	s_waitcnt lgkmcnt(0)
	global_store_b64 v[58:59], v[44:45], off
	s_or_b32 exec_lo, exec_lo, s9
	s_and_saveexec_b32 s9, s42
	s_cbranch_execz .LBB133_30
.LBB133_63:                             ;   in Loop: Header=BB133_7 Depth=1
	ds_load_b64 v[44:45], v55 offset:288
	v_add_co_u32 v58, vcc_lo, 0x120, v41
	v_add_co_ci_u32_e32 v59, vcc_lo, 0, v43, vcc_lo
	v_add_co_u32 v60, vcc_lo, v4, v24
	v_add_co_ci_u32_e32 v61, vcc_lo, v40, v25, vcc_lo
	s_delay_alu instid0(VALU_DEP_2) | instskip(NEXT) | instid1(VALU_DEP_2)
	v_cndmask_b32_e64 v58, v60, v58, s0
	v_cndmask_b32_e64 v59, v61, v59, s0
	s_waitcnt lgkmcnt(0)
	global_store_b64 v[58:59], v[44:45], off
	s_or_b32 exec_lo, exec_lo, s9
	s_and_saveexec_b32 s9, s43
	s_cbranch_execz .LBB133_31
.LBB133_64:                             ;   in Loop: Header=BB133_7 Depth=1
	ds_load_b64 v[44:45], v55 offset:320
	v_add_co_u32 v58, vcc_lo, 0x140, v41
	v_add_co_ci_u32_e32 v59, vcc_lo, 0, v43, vcc_lo
	v_add_co_u32 v60, vcc_lo, v4, v26
	v_add_co_ci_u32_e32 v61, vcc_lo, v40, v27, vcc_lo
	s_delay_alu instid0(VALU_DEP_2) | instskip(NEXT) | instid1(VALU_DEP_2)
	v_cndmask_b32_e64 v58, v60, v58, s0
	v_cndmask_b32_e64 v59, v61, v59, s0
	s_waitcnt lgkmcnt(0)
	global_store_b64 v[58:59], v[44:45], off
	s_or_b32 exec_lo, exec_lo, s9
	s_and_saveexec_b32 s9, s44
	s_cbranch_execz .LBB133_32
.LBB133_65:                             ;   in Loop: Header=BB133_7 Depth=1
	ds_load_b64 v[44:45], v55 offset:352
	v_add_co_u32 v58, vcc_lo, 0x160, v41
	v_add_co_ci_u32_e32 v59, vcc_lo, 0, v43, vcc_lo
	v_add_co_u32 v60, vcc_lo, v4, v28
	v_add_co_ci_u32_e32 v61, vcc_lo, v40, v29, vcc_lo
	s_delay_alu instid0(VALU_DEP_2) | instskip(NEXT) | instid1(VALU_DEP_2)
	v_cndmask_b32_e64 v58, v60, v58, s0
	v_cndmask_b32_e64 v59, v61, v59, s0
	s_waitcnt lgkmcnt(0)
	global_store_b64 v[58:59], v[44:45], off
	s_or_b32 exec_lo, exec_lo, s9
	s_and_saveexec_b32 s9, s45
	s_cbranch_execz .LBB133_33
.LBB133_66:                             ;   in Loop: Header=BB133_7 Depth=1
	ds_load_b64 v[44:45], v55 offset:384
	v_add_co_u32 v58, vcc_lo, 0x180, v41
	v_add_co_ci_u32_e32 v59, vcc_lo, 0, v43, vcc_lo
	v_add_co_u32 v60, vcc_lo, v4, v30
	v_add_co_ci_u32_e32 v61, vcc_lo, v40, v31, vcc_lo
	s_delay_alu instid0(VALU_DEP_2) | instskip(NEXT) | instid1(VALU_DEP_2)
	v_cndmask_b32_e64 v58, v60, v58, s0
	v_cndmask_b32_e64 v59, v61, v59, s0
	s_waitcnt lgkmcnt(0)
	global_store_b64 v[58:59], v[44:45], off
	s_or_b32 exec_lo, exec_lo, s9
	s_and_saveexec_b32 s9, s46
	s_cbranch_execz .LBB133_34
.LBB133_67:                             ;   in Loop: Header=BB133_7 Depth=1
	ds_load_b64 v[44:45], v55 offset:416
	v_add_co_u32 v58, vcc_lo, 0x1a0, v41
	v_add_co_ci_u32_e32 v59, vcc_lo, 0, v43, vcc_lo
	v_add_co_u32 v60, vcc_lo, v4, v32
	v_add_co_ci_u32_e32 v61, vcc_lo, v40, v33, vcc_lo
	s_delay_alu instid0(VALU_DEP_2) | instskip(NEXT) | instid1(VALU_DEP_2)
	v_cndmask_b32_e64 v58, v60, v58, s0
	v_cndmask_b32_e64 v59, v61, v59, s0
	s_waitcnt lgkmcnt(0)
	global_store_b64 v[58:59], v[44:45], off
	s_or_b32 exec_lo, exec_lo, s9
	s_and_saveexec_b32 s9, s47
	s_cbranch_execz .LBB133_35
.LBB133_68:                             ;   in Loop: Header=BB133_7 Depth=1
	ds_load_b64 v[44:45], v55 offset:448
	v_add_co_u32 v58, vcc_lo, 0x1c0, v41
	v_add_co_ci_u32_e32 v59, vcc_lo, 0, v43, vcc_lo
	v_add_co_u32 v60, vcc_lo, v4, v34
	v_add_co_ci_u32_e32 v61, vcc_lo, v40, v35, vcc_lo
	s_delay_alu instid0(VALU_DEP_2) | instskip(NEXT) | instid1(VALU_DEP_2)
	v_cndmask_b32_e64 v58, v60, v58, s0
	v_cndmask_b32_e64 v59, v61, v59, s0
	s_waitcnt lgkmcnt(0)
	global_store_b64 v[58:59], v[44:45], off
	s_or_b32 exec_lo, exec_lo, s9
	s_and_saveexec_b32 s9, s48
	s_cbranch_execnz .LBB133_36
	s_branch .LBB133_37
.LBB133_69:
	s_endpgm
	.section	.rodata,"a",@progbits
	.p2align	6, 0x0
	.amdhsa_kernel _ZN9rocsparseL38csr2bsr_block_per_row_multipass_kernelILj256ELj64EdilEEv20rocsparse_direction_T3_S2_S2_S2_S2_21rocsparse_index_base_PKT1_PKT2_PKS2_S3_PS4_PS7_PS2_
		.amdhsa_group_segment_fixed_size 32776
		.amdhsa_private_segment_fixed_size 0
		.amdhsa_kernarg_size 112
		.amdhsa_user_sgpr_count 15
		.amdhsa_user_sgpr_dispatch_ptr 0
		.amdhsa_user_sgpr_queue_ptr 0
		.amdhsa_user_sgpr_kernarg_segment_ptr 1
		.amdhsa_user_sgpr_dispatch_id 0
		.amdhsa_user_sgpr_private_segment_size 0
		.amdhsa_wavefront_size32 1
		.amdhsa_uses_dynamic_stack 0
		.amdhsa_enable_private_segment 0
		.amdhsa_system_sgpr_workgroup_id_x 1
		.amdhsa_system_sgpr_workgroup_id_y 0
		.amdhsa_system_sgpr_workgroup_id_z 0
		.amdhsa_system_sgpr_workgroup_info 0
		.amdhsa_system_vgpr_workitem_id 0
		.amdhsa_next_free_vgpr 69
		.amdhsa_next_free_sgpr 52
		.amdhsa_reserve_vcc 1
		.amdhsa_float_round_mode_32 0
		.amdhsa_float_round_mode_16_64 0
		.amdhsa_float_denorm_mode_32 3
		.amdhsa_float_denorm_mode_16_64 3
		.amdhsa_dx10_clamp 1
		.amdhsa_ieee_mode 1
		.amdhsa_fp16_overflow 0
		.amdhsa_workgroup_processor_mode 1
		.amdhsa_memory_ordered 1
		.amdhsa_forward_progress 0
		.amdhsa_shared_vgpr_count 0
		.amdhsa_exception_fp_ieee_invalid_op 0
		.amdhsa_exception_fp_denorm_src 0
		.amdhsa_exception_fp_ieee_div_zero 0
		.amdhsa_exception_fp_ieee_overflow 0
		.amdhsa_exception_fp_ieee_underflow 0
		.amdhsa_exception_fp_ieee_inexact 0
		.amdhsa_exception_int_div_zero 0
	.end_amdhsa_kernel
	.section	.text._ZN9rocsparseL38csr2bsr_block_per_row_multipass_kernelILj256ELj64EdilEEv20rocsparse_direction_T3_S2_S2_S2_S2_21rocsparse_index_base_PKT1_PKT2_PKS2_S3_PS4_PS7_PS2_,"axG",@progbits,_ZN9rocsparseL38csr2bsr_block_per_row_multipass_kernelILj256ELj64EdilEEv20rocsparse_direction_T3_S2_S2_S2_S2_21rocsparse_index_base_PKT1_PKT2_PKS2_S3_PS4_PS7_PS2_,comdat
.Lfunc_end133:
	.size	_ZN9rocsparseL38csr2bsr_block_per_row_multipass_kernelILj256ELj64EdilEEv20rocsparse_direction_T3_S2_S2_S2_S2_21rocsparse_index_base_PKT1_PKT2_PKS2_S3_PS4_PS7_PS2_, .Lfunc_end133-_ZN9rocsparseL38csr2bsr_block_per_row_multipass_kernelILj256ELj64EdilEEv20rocsparse_direction_T3_S2_S2_S2_S2_21rocsparse_index_base_PKT1_PKT2_PKS2_S3_PS4_PS7_PS2_
                                        ; -- End function
	.section	.AMDGPU.csdata,"",@progbits
; Kernel info:
; codeLenInByte = 5108
; NumSgprs: 54
; NumVgprs: 69
; ScratchSize: 0
; MemoryBound: 0
; FloatMode: 240
; IeeeMode: 1
; LDSByteSize: 32776 bytes/workgroup (compile time only)
; SGPRBlocks: 6
; VGPRBlocks: 8
; NumSGPRsForWavesPerEU: 54
; NumVGPRsForWavesPerEU: 69
; Occupancy: 6
; WaveLimiterHint : 1
; COMPUTE_PGM_RSRC2:SCRATCH_EN: 0
; COMPUTE_PGM_RSRC2:USER_SGPR: 15
; COMPUTE_PGM_RSRC2:TRAP_HANDLER: 0
; COMPUTE_PGM_RSRC2:TGID_X_EN: 1
; COMPUTE_PGM_RSRC2:TGID_Y_EN: 0
; COMPUTE_PGM_RSRC2:TGID_Z_EN: 0
; COMPUTE_PGM_RSRC2:TIDIG_COMP_CNT: 0
	.section	.text._ZN9rocsparseL21csr2bsr_65_inf_kernelILj32EdilEEv20rocsparse_direction_T2_S2_S2_S2_S2_S2_21rocsparse_index_base_PKT0_PKT1_PKS2_S3_PS4_PS7_PS2_SD_SE_SC_,"axG",@progbits,_ZN9rocsparseL21csr2bsr_65_inf_kernelILj32EdilEEv20rocsparse_direction_T2_S2_S2_S2_S2_S2_21rocsparse_index_base_PKT0_PKT1_PKS2_S3_PS4_PS7_PS2_SD_SE_SC_,comdat
	.globl	_ZN9rocsparseL21csr2bsr_65_inf_kernelILj32EdilEEv20rocsparse_direction_T2_S2_S2_S2_S2_S2_21rocsparse_index_base_PKT0_PKT1_PKS2_S3_PS4_PS7_PS2_SD_SE_SC_ ; -- Begin function _ZN9rocsparseL21csr2bsr_65_inf_kernelILj32EdilEEv20rocsparse_direction_T2_S2_S2_S2_S2_S2_21rocsparse_index_base_PKT0_PKT1_PKS2_S3_PS4_PS7_PS2_SD_SE_SC_
	.p2align	8
	.type	_ZN9rocsparseL21csr2bsr_65_inf_kernelILj32EdilEEv20rocsparse_direction_T2_S2_S2_S2_S2_S2_21rocsparse_index_base_PKT0_PKT1_PKS2_S3_PS4_PS7_PS2_SD_SE_SC_,@function
_ZN9rocsparseL21csr2bsr_65_inf_kernelILj32EdilEEv20rocsparse_direction_T2_S2_S2_S2_S2_S2_21rocsparse_index_base_PKT0_PKT1_PKS2_S3_PS4_PS7_PS2_SD_SE_SC_: ; @_ZN9rocsparseL21csr2bsr_65_inf_kernelILj32EdilEEv20rocsparse_direction_T2_S2_S2_S2_S2_S2_21rocsparse_index_base_PKT0_PKT1_PKS2_S3_PS4_PS7_PS2_SD_SE_SC_
; %bb.0:
	s_clause 0x3
	s_load_b64 s[8:9], s[0:1], 0x18
	s_load_b128 s[4:7], s[0:1], 0x8
	s_load_b64 s[2:3], s[0:1], 0x78
	s_load_b32 s24, s[0:1], 0x58
	s_mov_b32 s12, s15
	s_mov_b32 s13, 0
	s_mov_b64 s[14:15], 0
	s_waitcnt lgkmcnt(0)
	v_cmp_ge_i64_e64 s8, s[12:13], s[8:9]
	s_delay_alu instid0(VALU_DEP_1)
	s_and_b32 vcc_lo, exec_lo, s8
	s_cbranch_vccnz .LBB134_2
; %bb.1:
	s_load_b64 s[8:9], s[0:1], 0x68
	s_lshl_b64 s[10:11], s[12:13], 2
	s_waitcnt lgkmcnt(0)
	s_add_u32 s8, s8, s10
	s_addc_u32 s9, s9, s11
	s_load_b32 s8, s[8:9], 0x0
	s_waitcnt lgkmcnt(0)
	s_sub_i32 s14, s8, s24
	s_delay_alu instid0(SALU_CYCLE_1)
	s_ashr_i32 s15, s14, 31
.LBB134_2:
	s_clause 0x1
	s_load_b128 s[8:11], s[0:1], 0x28
	s_load_b32 s25, s[0:1], 0x38
	s_waitcnt lgkmcnt(0)
	v_mad_u64_u32 v[6:7], null, v0, s10, 0
	s_mul_i32 s13, s12, s11
	s_mul_hi_u32 s17, s12, s10
	s_mul_i32 s16, s12, s10
	s_add_i32 s17, s17, s13
	v_cmp_gt_i64_e64 s26, s[10:11], 0
	s_lshl_b64 s[16:17], s[16:17], 8
	s_delay_alu instid0(VALU_DEP_2)
	v_mov_b32_e32 v1, v7
	s_add_u32 s13, s2, s16
	s_addc_u32 s16, s3, s17
	s_lshl_b64 s[2:3], s[10:11], 7
	v_cmp_lt_i64_e64 s17, s[10:11], 1
	v_mad_u64_u32 v[2:3], null, v0, s11, v[1:2]
	s_add_u32 s2, s13, s2
	s_addc_u32 s3, s16, s3
	v_mov_b32_e32 v1, 0
	s_delay_alu instid0(VALU_DEP_2) | instskip(NEXT) | instid1(VALU_DEP_1)
	v_mov_b32_e32 v7, v2
	v_lshlrev_b64 v[4:5], 2, v[6:7]
	s_delay_alu instid0(VALU_DEP_1) | instskip(NEXT) | instid1(VALU_DEP_2)
	v_add_co_u32 v2, vcc_lo, s13, v4
	v_add_co_ci_u32_e32 v3, vcc_lo, s16, v5, vcc_lo
	v_add_co_u32 v4, vcc_lo, s2, v4
	v_add_co_ci_u32_e32 v5, vcc_lo, s3, v5, vcc_lo
	s_and_b32 vcc_lo, exec_lo, s17
	s_cbranch_vccnz .LBB134_7
; %bb.3:
	s_load_b64 s[16:17], s[0:1], 0x48
	s_mul_i32 s2, s12, s9
	s_mul_hi_u32 s13, s12, s8
	s_mul_i32 s3, s12, s8
	s_add_i32 s13, s13, s2
	v_add_co_u32 v8, s2, s3, v0
	s_delay_alu instid0(VALU_DEP_1) | instskip(SKIP_1) | instid1(VALU_DEP_2)
	v_add_co_ci_u32_e64 v9, null, s13, 0, s2
	v_dual_mov_b32 v15, v1 :: v_dual_mov_b32 v14, v0
	v_lshlrev_b64 v[10:11], 2, v[8:9]
	v_dual_mov_b32 v9, v5 :: v_dual_mov_b32 v8, v4
	s_waitcnt lgkmcnt(0)
	s_delay_alu instid0(VALU_DEP_2) | instskip(NEXT) | instid1(VALU_DEP_3)
	v_add_co_u32 v12, vcc_lo, v10, s16
	v_add_co_ci_u32_e32 v13, vcc_lo, s17, v11, vcc_lo
	v_dual_mov_b32 v11, v3 :: v_dual_mov_b32 v10, v2
	s_delay_alu instid0(VALU_DEP_3) | instskip(NEXT) | instid1(VALU_DEP_3)
	v_add_co_u32 v12, vcc_lo, v12, 4
	v_add_co_ci_u32_e32 v13, vcc_lo, 0, v13, vcc_lo
	s_mov_b64 s[16:17], s[10:11]
	s_set_inst_prefetch_distance 0x1
	s_branch .LBB134_5
	.p2align	6
.LBB134_4:                              ;   in Loop: Header=BB134_5 Depth=1
	s_or_b32 exec_lo, exec_lo, s2
	v_add_co_u32 v14, vcc_lo, v14, 32
	v_add_co_ci_u32_e32 v15, vcc_lo, 0, v15, vcc_lo
	v_add_co_u32 v10, vcc_lo, v10, 4
	v_add_co_ci_u32_e32 v11, vcc_lo, 0, v11, vcc_lo
	;; [unrolled: 2-line block ×3, first 2 shown]
	v_add_co_u32 v8, vcc_lo, v8, 4
	s_add_u32 s16, s16, -1
	v_add_co_ci_u32_e32 v9, vcc_lo, 0, v9, vcc_lo
	s_addc_u32 s17, s17, -1
	s_delay_alu instid0(SALU_CYCLE_1)
	s_cmp_eq_u64 s[16:17], 0
	s_cbranch_scc1 .LBB134_7
.LBB134_5:                              ; =>This Inner Loop Header: Depth=1
	v_add_co_u32 v16, vcc_lo, s3, v14
	v_add_co_ci_u32_e32 v17, vcc_lo, s13, v15, vcc_lo
	v_cmp_gt_i64_e64 s2, s[8:9], v[14:15]
	global_store_b32 v[10:11], v1, off
	global_store_b32 v[8:9], v1, off
	v_cmp_gt_i64_e32 vcc_lo, s[4:5], v[16:17]
	s_and_b32 s18, vcc_lo, s2
	s_delay_alu instid0(SALU_CYCLE_1)
	s_and_saveexec_b32 s2, s18
	s_cbranch_execz .LBB134_4
; %bb.6:                                ;   in Loop: Header=BB134_5 Depth=1
	global_load_b64 v[16:17], v[12:13], off offset:-4
	s_waitcnt vmcnt(0)
	v_subrev_nc_u32_e32 v16, s25, v16
	v_subrev_nc_u32_e32 v17, s25, v17
	global_store_b32 v[10:11], v16, off
	global_store_b32 v[8:9], v17, off
	s_branch .LBB134_4
.LBB134_7:
	s_set_inst_prefetch_distance 0x2
	v_cmp_lt_i64_e64 s2, s[6:7], 1
	s_delay_alu instid0(VALU_DEP_1)
	s_and_b32 vcc_lo, exec_lo, s2
	s_cbranch_vccnz .LBB134_52
; %bb.8:
	s_clause 0x1
	s_load_b128 s[16:19], s[0:1], 0x80
	s_load_b64 s[20:21], s[0:1], 0x70
	s_lshl_b64 s[2:3], s[10:11], 5
	v_lshlrev_b64 v[8:9], 3, v[6:7]
	s_mul_i32 s3, s3, s12
	s_mul_hi_u32 s4, s2, s12
	s_mul_i32 s2, s2, s12
	s_add_i32 s3, s4, s3
	v_mbcnt_lo_u32_b32 v10, -1, 0
	s_lshl_b64 s[2:3], s[2:3], 3
	v_mov_b32_e32 v18, 0
	s_mov_b32 s27, 0
	v_mov_b32_e32 v41, 0x7c
	v_xor_b32_e32 v11, 16, v10
	v_xor_b32_e32 v12, 8, v10
	;; [unrolled: 1-line block ×5, first 2 shown]
	v_mov_b32_e32 v19, 0
	v_mov_b32_e32 v16, v18
	s_waitcnt lgkmcnt(0)
	s_add_u32 s4, s16, s2
	s_addc_u32 s5, s17, s3
	v_add_co_u32 v6, vcc_lo, s4, v8
	s_add_u32 s2, s18, s2
	v_add_co_ci_u32_e32 v7, vcc_lo, s5, v9, vcc_lo
	s_addc_u32 s3, s19, s3
	v_add_co_u32 v8, vcc_lo, s2, v8
	v_add_co_ci_u32_e32 v9, vcc_lo, s3, v9, vcc_lo
	v_cmp_gt_i32_e32 vcc_lo, 32, v11
	s_clause 0x3
	s_load_b64 s[2:3], s[0:1], 0x60
	s_load_b64 s[4:5], s[0:1], 0x50
	;; [unrolled: 1-line block ×3, first 2 shown]
	s_load_b32 s1, s[0:1], 0x0
	s_lshl_b64 s[16:17], s[14:15], 3
	v_cmp_eq_u32_e64 s0, 31, v0
	s_add_u32 s28, s20, s16
	v_cndmask_b32_e32 v11, v10, v11, vcc_lo
	v_cmp_gt_i32_e32 vcc_lo, 32, v12
	s_addc_u32 s29, s21, s17
	v_dual_mov_b32 v17, v19 :: v_dual_cndmask_b32 v12, v10, v12
	v_cmp_gt_i32_e32 vcc_lo, 32, v13
	v_cndmask_b32_e32 v13, v10, v13, vcc_lo
	v_cmp_gt_i32_e32 vcc_lo, 32, v14
	s_waitcnt lgkmcnt(0)
	s_cmp_lg_u32 s1, 0
	s_delay_alu instid0(VALU_DEP_2)
	v_lshlrev_b32_e32 v38, 2, v13
	v_lshlrev_b32_e32 v36, 2, v11
	v_cndmask_b32_e32 v14, v10, v14, vcc_lo
	v_cmp_gt_i32_e32 vcc_lo, 32, v15
	s_cselect_b32 s30, -1, 0
	s_add_u32 s31, s14, -1
	s_addc_u32 s33, s15, -1
	v_lshlrev_b32_e32 v39, 2, v14
	v_dual_cndmask_b32 v10, v10, v15 :: v_dual_lshlrev_b32 v37, 2, v12
	v_mov_b32_e32 v14, v18
	v_dual_mov_b32 v12, 0 :: v_dual_mov_b32 v15, v19
	s_lshl_b64 s[14:15], s[8:9], 3
	s_delay_alu instid0(VALU_DEP_3) | instskip(SKIP_3) | instid1(VALU_DEP_1)
	v_lshlrev_b32_e32 v40, 2, v10
	v_lshlrev_b32_e32 v10, 3, v0
	s_lshl_b64 s[16:17], s[8:9], 8
	s_ashr_i32 s18, s9, 31
	v_add_co_u32 v10, s1, s2, v10
	s_delay_alu instid0(VALU_DEP_1)
	v_add_co_ci_u32_e64 v11, null, s3, 0, s1
	s_branch .LBB134_10
.LBB134_9:                              ;   in Loop: Header=BB134_10 Depth=1
	s_waitcnt lgkmcnt(3)
	v_add_co_u32 v18, vcc_lo, v34, 1
	s_waitcnt lgkmcnt(2)
	v_add_co_ci_u32_e32 v19, vcc_lo, 0, v35, vcc_lo
	s_delay_alu instid0(VALU_DEP_1) | instskip(SKIP_1) | instid1(SALU_CYCLE_1)
	v_cmp_le_i64_e32 vcc_lo, s[6:7], v[18:19]
	s_or_b32 s27, vcc_lo, s27
	s_and_not1_b32 exec_lo, exec_lo, s27
	s_cbranch_execz .LBB134_52
.LBB134_10:                             ; =>This Loop Header: Depth=1
                                        ;     Child Loop BB134_14 Depth 2
                                        ;       Child Loop BB134_17 Depth 3
                                        ;     Child Loop BB134_33 Depth 2
	v_dual_mov_b32 v21, s7 :: v_dual_mov_b32 v20, s6
	s_and_not1_b32 vcc_lo, exec_lo, s26
	s_cbranch_vccnz .LBB134_23
; %bb.11:                               ;   in Loop: Header=BB134_10 Depth=1
	v_dual_mov_b32 v21, s7 :: v_dual_mov_b32 v20, s6
	s_mov_b64 s[20:21], 0
	s_branch .LBB134_14
.LBB134_12:                             ;   in Loop: Header=BB134_14 Depth=2
	s_or_b32 exec_lo, exec_lo, s1
.LBB134_13:                             ;   in Loop: Header=BB134_14 Depth=2
	s_delay_alu instid0(SALU_CYCLE_1) | instskip(SKIP_2) | instid1(SALU_CYCLE_1)
	s_or_b32 exec_lo, exec_lo, s19
	s_add_u32 s20, s20, 1
	s_addc_u32 s21, s21, 0
	s_cmp_eq_u64 s[20:21], s[10:11]
	s_cbranch_scc1 .LBB134_23
.LBB134_14:                             ;   Parent Loop BB134_10 Depth=1
                                        ; =>  This Loop Header: Depth=2
                                        ;       Child Loop BB134_17 Depth 3
	s_lshl_b64 s[22:23], s[20:21], 2
	v_mov_b32_e32 v13, v12
	v_add_co_u32 v22, vcc_lo, v2, s22
	v_add_co_ci_u32_e32 v23, vcc_lo, s23, v3, vcc_lo
	v_add_co_u32 v24, vcc_lo, v4, s22
	v_add_co_ci_u32_e32 v25, vcc_lo, s23, v5, vcc_lo
	s_lshl_b64 s[22:23], s[20:21], 3
	s_clause 0x1
	global_load_b32 v32, v[22:23], off
	global_load_b32 v42, v[24:25], off
	v_add_co_u32 v24, vcc_lo, v8, s22
	v_add_co_ci_u32_e32 v25, vcc_lo, s23, v9, vcc_lo
	v_add_co_u32 v26, vcc_lo, v6, s22
	v_add_co_ci_u32_e32 v27, vcc_lo, s23, v7, vcc_lo
	v_dual_mov_b32 v29, s7 :: v_dual_mov_b32 v28, s6
	s_mov_b32 s19, exec_lo
	global_store_b64 v[24:25], v[12:13], off
	global_store_b64 v[26:27], v[28:29], off
	s_waitcnt vmcnt(0)
	v_cmpx_lt_i32_e64 v32, v42
	s_cbranch_execz .LBB134_13
; %bb.15:                               ;   in Loop: Header=BB134_14 Depth=2
	v_ashrrev_i32_e32 v33, 31, v32
	s_mov_b32 s22, 0
                                        ; implicit-def: $sgpr23
                                        ; implicit-def: $sgpr35
                                        ; implicit-def: $sgpr34
	s_delay_alu instid0(VALU_DEP_1) | instskip(NEXT) | instid1(VALU_DEP_1)
	v_lshlrev_b64 v[28:29], 3, v[32:33]
	v_add_co_u32 v34, vcc_lo, s4, v28
	s_delay_alu instid0(VALU_DEP_2)
	v_add_co_ci_u32_e32 v35, vcc_lo, s5, v29, vcc_lo
	s_set_inst_prefetch_distance 0x1
	s_branch .LBB134_17
	.p2align	6
.LBB134_16:                             ;   in Loop: Header=BB134_17 Depth=3
	s_or_b32 exec_lo, exec_lo, s36
	s_delay_alu instid0(SALU_CYCLE_1) | instskip(NEXT) | instid1(SALU_CYCLE_1)
	s_and_b32 s1, exec_lo, s35
	s_or_b32 s22, s1, s22
	s_and_not1_b32 s1, s23, exec_lo
	s_and_b32 s23, s34, exec_lo
	s_delay_alu instid0(SALU_CYCLE_1)
	s_or_b32 s23, s1, s23
	s_and_not1_b32 exec_lo, exec_lo, s22
	s_cbranch_execz .LBB134_19
.LBB134_17:                             ;   Parent Loop BB134_10 Depth=1
                                        ;     Parent Loop BB134_14 Depth=2
                                        ; =>    This Inner Loop Header: Depth=3
	global_load_b64 v[28:29], v[34:35], off
	s_or_b32 s34, s34, exec_lo
	s_or_b32 s35, s35, exec_lo
	s_mov_b32 s36, exec_lo
	s_waitcnt vmcnt(0)
	v_sub_co_u32 v30, vcc_lo, v28, s25
	v_subrev_co_ci_u32_e32 v31, vcc_lo, 0, v29, vcc_lo
	v_dual_mov_b32 v28, v32 :: v_dual_mov_b32 v29, v33
                                        ; implicit-def: $vgpr32_vgpr33
	s_delay_alu instid0(VALU_DEP_2)
	v_cmpx_lt_i64_e64 v[30:31], v[18:19]
	s_cbranch_execz .LBB134_16
; %bb.18:                               ;   in Loop: Header=BB134_17 Depth=3
	s_delay_alu instid0(VALU_DEP_2) | instskip(NEXT) | instid1(VALU_DEP_3)
	v_add_co_u32 v32, vcc_lo, v28, 1
	v_add_co_ci_u32_e32 v33, vcc_lo, 0, v29, vcc_lo
	v_add_co_u32 v34, s1, v34, 8
	s_delay_alu instid0(VALU_DEP_3) | instskip(SKIP_4) | instid1(SALU_CYCLE_1)
	v_cmp_ge_i32_e32 vcc_lo, v32, v42
	v_add_co_ci_u32_e64 v35, s1, 0, v35, s1
	s_and_not1_b32 s1, s35, exec_lo
	s_and_not1_b32 s34, s34, exec_lo
	s_and_b32 s35, vcc_lo, exec_lo
	s_or_b32 s35, s1, s35
	s_branch .LBB134_16
.LBB134_19:                             ;   in Loop: Header=BB134_14 Depth=2
	s_set_inst_prefetch_distance 0x2
	s_or_b32 exec_lo, exec_lo, s22
	v_lshlrev_b64 v[32:33], 3, v[28:29]
	s_xor_b32 s1, s23, -1
	s_delay_alu instid0(SALU_CYCLE_1) | instskip(NEXT) | instid1(SALU_CYCLE_1)
	s_and_saveexec_b32 s22, s1
	s_xor_b32 s1, exec_lo, s22
	s_cbranch_execz .LBB134_21
; %bb.20:                               ;   in Loop: Header=BB134_14 Depth=2
	s_delay_alu instid0(VALU_DEP_1)
	v_add_co_u32 v22, vcc_lo, s12, v32
	v_add_co_ci_u32_e32 v23, vcc_lo, s13, v33, vcc_lo
                                        ; implicit-def: $vgpr32_vgpr33
	global_load_b64 v[22:23], v[22:23], off
	s_waitcnt vmcnt(0)
	global_store_b64 v[24:25], v[22:23], off
	global_store_b64 v[26:27], v[30:31], off
                                        ; implicit-def: $vgpr24_vgpr25
                                        ; implicit-def: $vgpr26_vgpr27
                                        ; implicit-def: $vgpr22_vgpr23
.LBB134_21:                             ;   in Loop: Header=BB134_14 Depth=2
	s_and_not1_saveexec_b32 s1, s1
	s_cbranch_execz .LBB134_12
; %bb.22:                               ;   in Loop: Header=BB134_14 Depth=2
	v_add_co_u32 v32, vcc_lo, s12, v32
	v_add_co_ci_u32_e32 v33, vcc_lo, s13, v33, vcc_lo
	v_cmp_lt_i64_e32 vcc_lo, v[30:31], v[20:21]
	global_load_b64 v[32:33], v[32:33], off
	global_store_b64 v[26:27], v[30:31], off
	s_waitcnt vmcnt(0)
	global_store_b64 v[24:25], v[32:33], off
	global_store_b32 v[22:23], v28, off
	v_dual_cndmask_b32 v21, v21, v31 :: v_dual_cndmask_b32 v20, v20, v30
	s_branch .LBB134_12
.LBB134_23:                             ;   in Loop: Header=BB134_10 Depth=1
	ds_bpermute_b32 v18, v36, v20
	ds_bpermute_b32 v19, v36, v21
	s_waitcnt lgkmcnt(0)
	v_cmp_lt_i64_e32 vcc_lo, v[18:19], v[20:21]
	v_dual_cndmask_b32 v19, v21, v19 :: v_dual_cndmask_b32 v18, v20, v18
	ds_bpermute_b32 v21, v37, v19
	ds_bpermute_b32 v20, v37, v18
	s_waitcnt lgkmcnt(0)
	v_cmp_lt_i64_e32 vcc_lo, v[20:21], v[18:19]
	v_dual_cndmask_b32 v19, v19, v21 :: v_dual_cndmask_b32 v18, v18, v20
	;; [unrolled: 5-line block ×5, first 2 shown]
	s_delay_alu instid0(VALU_DEP_1) | instskip(SKIP_1) | instid1(SALU_CYCLE_1)
	v_cmp_gt_i64_e32 vcc_lo, s[6:7], v[18:19]
	s_and_b32 s1, s0, vcc_lo
	s_and_saveexec_b32 s22, s1
	s_cbranch_execz .LBB134_29
; %bb.24:                               ;   in Loop: Header=BB134_10 Depth=1
	v_or_b32_e32 v13, s9, v19
                                        ; implicit-def: $vgpr20_vgpr21
	s_mov_b32 s1, exec_lo
	s_delay_alu instid0(VALU_DEP_1)
	v_cmpx_ne_u64_e32 0, v[12:13]
	s_xor_b32 s23, exec_lo, s1
	s_cbranch_execnz .LBB134_50
; %bb.25:                               ;   in Loop: Header=BB134_10 Depth=1
	s_and_not1_saveexec_b32 s1, s23
	s_cbranch_execnz .LBB134_51
.LBB134_26:                             ;   in Loop: Header=BB134_10 Depth=1
	s_or_b32 exec_lo, exec_lo, s1
	s_delay_alu instid0(SALU_CYCLE_1)
	s_mov_b32 s1, exec_lo
	v_cmpx_ge_i64_e64 v[20:21], v[16:17]
	s_cbranch_execz .LBB134_28
.LBB134_27:                             ;   in Loop: Header=BB134_10 Depth=1
	v_lshlrev_b64 v[16:17], 3, v[14:15]
	v_add_co_u32 v22, vcc_lo, v20, s24
	v_add_co_ci_u32_e32 v23, vcc_lo, 0, v21, vcc_lo
	s_delay_alu instid0(VALU_DEP_3) | instskip(NEXT) | instid1(VALU_DEP_4)
	v_add_co_u32 v24, vcc_lo, s28, v16
	v_add_co_ci_u32_e32 v25, vcc_lo, s29, v17, vcc_lo
	v_add_co_u32 v14, vcc_lo, v14, 1
	v_add_co_ci_u32_e32 v15, vcc_lo, 0, v15, vcc_lo
	;; [unrolled: 2-line block ×3, first 2 shown]
	global_store_b64 v[24:25], v[22:23], off
.LBB134_28:                             ;   in Loop: Header=BB134_10 Depth=1
	s_or_b32 exec_lo, exec_lo, s1
.LBB134_29:                             ;   in Loop: Header=BB134_10 Depth=1
	s_delay_alu instid0(SALU_CYCLE_1)
	s_or_b32 exec_lo, exec_lo, s22
	ds_bpermute_b32 v34, v41, v18
	ds_bpermute_b32 v35, v41, v19
	;; [unrolled: 1-line block ×4, first 2 shown]
	s_and_not1_b32 vcc_lo, exec_lo, s26
	s_cbranch_vccnz .LBB134_9
; %bb.30:                               ;   in Loop: Header=BB134_10 Depth=1
	v_add_co_u32 v13, vcc_lo, s31, 0
	s_waitcnt lgkmcnt(0)
	v_add_co_ci_u32_e32 v18, vcc_lo, s33, v15, vcc_lo
	v_dual_mov_b32 v25, v9 :: v_dual_mov_b32 v24, v8
	s_delay_alu instid0(VALU_DEP_3) | instskip(NEXT) | instid1(VALU_DEP_3)
	v_add_co_u32 v13, vcc_lo, v13, v14
	v_add_co_ci_u32_e32 v18, vcc_lo, 0, v18, vcc_lo
	s_mov_b64 s[20:21], s[10:11]
	s_delay_alu instid0(VALU_DEP_2) | instskip(SKIP_1) | instid1(VALU_DEP_3)
	v_mul_lo_u32 v19, s9, v13
	v_mad_u64_u32 v[22:23], null, s8, v13, v[0:1]
	v_mul_lo_u32 v18, s8, v18
	v_add_co_u32 v13, vcc_lo, s31, v14
	v_add_co_ci_u32_e32 v20, vcc_lo, s33, v15, vcc_lo
	s_delay_alu instid0(VALU_DEP_2) | instskip(NEXT) | instid1(VALU_DEP_4)
	v_mul_lo_u32 v27, v13, s9
	v_add3_u32 v23, v19, v23, v18
	s_delay_alu instid0(VALU_DEP_3)
	v_mul_lo_u32 v26, v20, s8
	v_mad_u64_u32 v[18:19], null, v13, s8, 0
	v_mul_lo_u32 v13, s15, v22
	v_mad_u64_u32 v[20:21], null, s14, v22, s[2:3]
	v_mul_lo_u32 v28, s14, v23
	v_dual_mov_b32 v23, v7 :: v_dual_mov_b32 v22, v6
	v_add3_u32 v19, v19, v27, v26
	v_dual_mov_b32 v27, v11 :: v_dual_mov_b32 v26, v10
	s_delay_alu instid0(VALU_DEP_4)
	v_add3_u32 v21, v13, v21, v28
	s_branch .LBB134_33
.LBB134_31:                             ;   in Loop: Header=BB134_33 Depth=2
	s_or_b32 exec_lo, exec_lo, s1
	global_load_b64 v[28:29], v[24:25], off
	v_lshlrev_b64 v[30:31], 3, v[30:31]
	s_delay_alu instid0(VALU_DEP_1) | instskip(NEXT) | instid1(VALU_DEP_2)
	v_add_co_u32 v30, vcc_lo, v20, v30
	v_add_co_ci_u32_e32 v31, vcc_lo, v21, v31, vcc_lo
	s_waitcnt vmcnt(0)
	global_store_b64 v[30:31], v[28:29], off
.LBB134_32:                             ;   in Loop: Header=BB134_33 Depth=2
	s_or_b32 exec_lo, exec_lo, s34
	v_add_co_u32 v20, vcc_lo, v20, s16
	v_add_co_ci_u32_e32 v21, vcc_lo, s17, v21, vcc_lo
	v_add_co_u32 v26, vcc_lo, 0x100, v26
	v_add_co_ci_u32_e32 v27, vcc_lo, 0, v27, vcc_lo
	;; [unrolled: 2-line block ×3, first 2 shown]
	v_add_co_u32 v22, vcc_lo, v22, 8
	s_add_u32 s20, s20, -1
	v_add_co_ci_u32_e32 v23, vcc_lo, 0, v23, vcc_lo
	s_addc_u32 s21, s21, -1
	s_delay_alu instid0(SALU_CYCLE_1)
	s_cmp_eq_u64 s[20:21], 0
	s_cbranch_scc1 .LBB134_9
.LBB134_33:                             ;   Parent Loop BB134_10 Depth=1
                                        ; =>  This Inner Loop Header: Depth=2
	global_load_b64 v[28:29], v[22:23], off
	s_mov_b32 s34, exec_lo
	s_waitcnt vmcnt(0)
	v_cmpx_gt_i64_e64 s[6:7], v[28:29]
	s_cbranch_execz .LBB134_32
; %bb.34:                               ;   in Loop: Header=BB134_33 Depth=2
	v_or_b32_e32 v42, s9, v29
                                        ; implicit-def: $vgpr30_vgpr31
	s_mov_b32 s1, exec_lo
	s_delay_alu instid0(VALU_DEP_1) | instskip(NEXT) | instid1(VALU_DEP_1)
	v_mov_b32_e32 v13, v42
	v_cmpx_ne_u64_e32 0, v[12:13]
	s_xor_b32 s35, exec_lo, s1
	s_cbranch_execz .LBB134_36
; %bb.35:                               ;   in Loop: Header=BB134_33 Depth=2
	s_add_u32 s22, s8, s18
	s_mov_b32 s19, s18
	s_addc_u32 s23, s9, s18
	s_delay_alu instid0(SALU_CYCLE_1) | instskip(NEXT) | instid1(SALU_CYCLE_1)
	s_xor_b64 s[22:23], s[22:23], s[18:19]
	v_cvt_f32_u32_e32 v13, s22
	v_cvt_f32_u32_e32 v30, s23
	s_sub_u32 s1, 0, s22
	s_subb_u32 s19, 0, s23
	s_delay_alu instid0(VALU_DEP_1) | instskip(NEXT) | instid1(VALU_DEP_1)
	v_fmac_f32_e32 v13, 0x4f800000, v30
	v_rcp_f32_e32 v13, v13
	s_waitcnt_depctr 0xfff
	v_mul_f32_e32 v13, 0x5f7ffffc, v13
	s_delay_alu instid0(VALU_DEP_1) | instskip(NEXT) | instid1(VALU_DEP_1)
	v_mul_f32_e32 v30, 0x2f800000, v13
	v_trunc_f32_e32 v30, v30
	s_delay_alu instid0(VALU_DEP_1) | instskip(SKIP_1) | instid1(VALU_DEP_2)
	v_fmac_f32_e32 v13, 0xcf800000, v30
	v_cvt_u32_f32_e32 v30, v30
	v_cvt_u32_f32_e32 v13, v13
	s_delay_alu instid0(VALU_DEP_2) | instskip(NEXT) | instid1(VALU_DEP_2)
	v_mul_lo_u32 v31, s1, v30
	v_mul_hi_u32 v32, s1, v13
	v_mul_lo_u32 v33, s19, v13
	s_delay_alu instid0(VALU_DEP_2) | instskip(SKIP_1) | instid1(VALU_DEP_2)
	v_add_nc_u32_e32 v31, v32, v31
	v_mul_lo_u32 v32, s1, v13
	v_add_nc_u32_e32 v31, v31, v33
	s_delay_alu instid0(VALU_DEP_2) | instskip(NEXT) | instid1(VALU_DEP_2)
	v_mul_hi_u32 v33, v13, v32
	v_mul_lo_u32 v43, v13, v31
	v_mul_hi_u32 v44, v13, v31
	v_mul_hi_u32 v45, v30, v32
	v_mul_lo_u32 v32, v30, v32
	v_mul_hi_u32 v46, v30, v31
	v_mul_lo_u32 v31, v30, v31
	v_add_co_u32 v33, vcc_lo, v33, v43
	v_add_co_ci_u32_e32 v43, vcc_lo, 0, v44, vcc_lo
	s_delay_alu instid0(VALU_DEP_2) | instskip(NEXT) | instid1(VALU_DEP_2)
	v_add_co_u32 v32, vcc_lo, v33, v32
	v_add_co_ci_u32_e32 v32, vcc_lo, v43, v45, vcc_lo
	v_add_co_ci_u32_e32 v33, vcc_lo, 0, v46, vcc_lo
	v_ashrrev_i32_e32 v45, 31, v29
	s_delay_alu instid0(VALU_DEP_3) | instskip(NEXT) | instid1(VALU_DEP_3)
	v_add_co_u32 v31, vcc_lo, v32, v31
	v_add_co_ci_u32_e32 v32, vcc_lo, 0, v33, vcc_lo
	s_delay_alu instid0(VALU_DEP_2) | instskip(NEXT) | instid1(VALU_DEP_2)
	v_add_co_u32 v13, vcc_lo, v13, v31
	v_add_co_ci_u32_e32 v30, vcc_lo, v30, v32, vcc_lo
	s_delay_alu instid0(VALU_DEP_2) | instskip(SKIP_1) | instid1(VALU_DEP_3)
	v_mul_hi_u32 v31, s1, v13
	v_mul_lo_u32 v33, s19, v13
	v_mul_lo_u32 v32, s1, v30
	s_delay_alu instid0(VALU_DEP_1) | instskip(SKIP_1) | instid1(VALU_DEP_2)
	v_add_nc_u32_e32 v31, v31, v32
	v_mul_lo_u32 v32, s1, v13
	v_add_nc_u32_e32 v31, v31, v33
	s_delay_alu instid0(VALU_DEP_2) | instskip(NEXT) | instid1(VALU_DEP_2)
	v_mul_hi_u32 v33, v13, v32
	v_mul_lo_u32 v43, v13, v31
	v_mul_hi_u32 v44, v13, v31
	v_mul_hi_u32 v46, v30, v32
	v_mul_lo_u32 v32, v30, v32
	v_mul_hi_u32 v47, v30, v31
	v_mul_lo_u32 v31, v30, v31
	v_add_co_u32 v33, vcc_lo, v33, v43
	v_add_co_ci_u32_e32 v43, vcc_lo, 0, v44, vcc_lo
	s_delay_alu instid0(VALU_DEP_2) | instskip(NEXT) | instid1(VALU_DEP_2)
	v_add_co_u32 v32, vcc_lo, v33, v32
	v_add_co_ci_u32_e32 v32, vcc_lo, v43, v46, vcc_lo
	v_add_co_ci_u32_e32 v33, vcc_lo, 0, v47, vcc_lo
	v_add_co_u32 v43, vcc_lo, v28, v45
	v_add_co_ci_u32_e32 v44, vcc_lo, v29, v45, vcc_lo
	s_delay_alu instid0(VALU_DEP_4) | instskip(NEXT) | instid1(VALU_DEP_4)
	v_add_co_u32 v31, vcc_lo, v32, v31
	v_add_co_ci_u32_e32 v32, vcc_lo, 0, v33, vcc_lo
	s_delay_alu instid0(VALU_DEP_4) | instskip(NEXT) | instid1(VALU_DEP_3)
	v_xor_b32_e32 v46, v43, v45
	v_add_co_u32 v13, vcc_lo, v13, v31
	s_delay_alu instid0(VALU_DEP_3) | instskip(SKIP_1) | instid1(VALU_DEP_3)
	v_add_co_ci_u32_e32 v47, vcc_lo, v30, v32, vcc_lo
	v_xor_b32_e32 v48, v44, v45
	v_mul_hi_u32 v49, v46, v13
	s_delay_alu instid0(VALU_DEP_3) | instskip(NEXT) | instid1(VALU_DEP_3)
	v_mad_u64_u32 v[30:31], null, v46, v47, 0
	v_mad_u64_u32 v[32:33], null, v48, v13, 0
	;; [unrolled: 1-line block ×3, first 2 shown]
	s_delay_alu instid0(VALU_DEP_3) | instskip(NEXT) | instid1(VALU_DEP_4)
	v_add_co_u32 v13, vcc_lo, v49, v30
	v_add_co_ci_u32_e32 v30, vcc_lo, 0, v31, vcc_lo
	s_delay_alu instid0(VALU_DEP_2) | instskip(NEXT) | instid1(VALU_DEP_2)
	v_add_co_u32 v13, vcc_lo, v13, v32
	v_add_co_ci_u32_e32 v13, vcc_lo, v30, v33, vcc_lo
	v_add_co_ci_u32_e32 v30, vcc_lo, 0, v44, vcc_lo
	s_delay_alu instid0(VALU_DEP_2) | instskip(NEXT) | instid1(VALU_DEP_2)
	v_add_co_u32 v13, vcc_lo, v13, v43
	v_add_co_ci_u32_e32 v32, vcc_lo, 0, v30, vcc_lo
	s_delay_alu instid0(VALU_DEP_2) | instskip(SKIP_1) | instid1(VALU_DEP_3)
	v_mul_lo_u32 v33, s23, v13
	v_mad_u64_u32 v[30:31], null, s22, v13, 0
	v_mul_lo_u32 v43, s22, v32
	s_delay_alu instid0(VALU_DEP_2) | instskip(NEXT) | instid1(VALU_DEP_2)
	v_sub_co_u32 v30, vcc_lo, v46, v30
	v_add3_u32 v31, v31, v43, v33
	s_delay_alu instid0(VALU_DEP_1) | instskip(NEXT) | instid1(VALU_DEP_1)
	v_sub_nc_u32_e32 v33, v48, v31
	v_subrev_co_ci_u32_e64 v33, s1, s23, v33, vcc_lo
	v_add_co_u32 v43, s1, v13, 2
	s_delay_alu instid0(VALU_DEP_1) | instskip(SKIP_3) | instid1(VALU_DEP_3)
	v_add_co_ci_u32_e64 v44, s1, 0, v32, s1
	v_sub_co_u32 v46, s1, v30, s22
	v_sub_co_ci_u32_e32 v31, vcc_lo, v48, v31, vcc_lo
	v_subrev_co_ci_u32_e64 v33, s1, 0, v33, s1
	v_cmp_le_u32_e32 vcc_lo, s22, v46
	s_delay_alu instid0(VALU_DEP_3) | instskip(SKIP_1) | instid1(VALU_DEP_4)
	v_cmp_eq_u32_e64 s1, s23, v31
	v_cndmask_b32_e64 v46, 0, -1, vcc_lo
	v_cmp_le_u32_e32 vcc_lo, s23, v33
	v_cndmask_b32_e64 v47, 0, -1, vcc_lo
	v_cmp_le_u32_e32 vcc_lo, s22, v30
	;; [unrolled: 2-line block ×3, first 2 shown]
	v_cndmask_b32_e64 v48, 0, -1, vcc_lo
	v_cmp_eq_u32_e32 vcc_lo, s23, v33
	s_delay_alu instid0(VALU_DEP_2) | instskip(SKIP_3) | instid1(VALU_DEP_3)
	v_cndmask_b32_e64 v30, v48, v30, s1
	v_cndmask_b32_e32 v33, v47, v46, vcc_lo
	v_add_co_u32 v46, vcc_lo, v13, 1
	v_add_co_ci_u32_e32 v47, vcc_lo, 0, v32, vcc_lo
	v_cmp_ne_u32_e32 vcc_lo, 0, v33
	s_delay_alu instid0(VALU_DEP_2) | instskip(NEXT) | instid1(VALU_DEP_4)
	v_cndmask_b32_e32 v31, v47, v44, vcc_lo
	v_cndmask_b32_e32 v33, v46, v43, vcc_lo
	v_cmp_ne_u32_e32 vcc_lo, 0, v30
	v_xor_b32_e32 v43, s18, v45
	s_delay_alu instid0(VALU_DEP_3) | instskip(NEXT) | instid1(VALU_DEP_1)
	v_dual_cndmask_b32 v13, v13, v33 :: v_dual_cndmask_b32 v30, v32, v31
	v_xor_b32_e32 v13, v13, v43
	s_delay_alu instid0(VALU_DEP_2) | instskip(NEXT) | instid1(VALU_DEP_2)
	v_xor_b32_e32 v31, v30, v43
	v_sub_co_u32 v30, vcc_lo, v13, v43
	s_delay_alu instid0(VALU_DEP_2)
	v_sub_co_ci_u32_e32 v31, vcc_lo, v31, v43, vcc_lo
.LBB134_36:                             ;   in Loop: Header=BB134_33 Depth=2
	s_and_not1_saveexec_b32 s1, s35
	s_cbranch_execz .LBB134_38
; %bb.37:                               ;   in Loop: Header=BB134_33 Depth=2
	v_cvt_f32_u32_e32 v13, s8
	s_sub_i32 s19, 0, s8
	s_delay_alu instid0(VALU_DEP_1) | instskip(SKIP_2) | instid1(VALU_DEP_1)
	v_rcp_iflag_f32_e32 v13, v13
	s_waitcnt_depctr 0xfff
	v_mul_f32_e32 v13, 0x4f7ffffe, v13
	v_cvt_u32_f32_e32 v13, v13
	s_delay_alu instid0(VALU_DEP_1) | instskip(NEXT) | instid1(VALU_DEP_1)
	v_mul_lo_u32 v30, s19, v13
	v_mul_hi_u32 v30, v13, v30
	s_delay_alu instid0(VALU_DEP_1) | instskip(NEXT) | instid1(VALU_DEP_1)
	v_add_nc_u32_e32 v13, v13, v30
	v_mul_hi_u32 v13, v28, v13
	s_delay_alu instid0(VALU_DEP_1) | instskip(SKIP_1) | instid1(VALU_DEP_2)
	v_mul_lo_u32 v30, v13, s8
	v_add_nc_u32_e32 v31, 1, v13
	v_sub_nc_u32_e32 v30, v28, v30
	s_delay_alu instid0(VALU_DEP_1) | instskip(SKIP_1) | instid1(VALU_DEP_2)
	v_subrev_nc_u32_e32 v32, s8, v30
	v_cmp_le_u32_e32 vcc_lo, s8, v30
	v_dual_cndmask_b32 v30, v30, v32 :: v_dual_cndmask_b32 v13, v13, v31
	s_delay_alu instid0(VALU_DEP_1) | instskip(NEXT) | instid1(VALU_DEP_2)
	v_cmp_le_u32_e32 vcc_lo, s8, v30
	v_add_nc_u32_e32 v31, 1, v13
	s_delay_alu instid0(VALU_DEP_1)
	v_dual_cndmask_b32 v30, v13, v31 :: v_dual_mov_b32 v31, v12
.LBB134_38:                             ;   in Loop: Header=BB134_33 Depth=2
	s_or_b32 exec_lo, exec_lo, s1
	v_or_b32_e32 v13, s9, v35
                                        ; implicit-def: $vgpr32_vgpr33
	s_mov_b32 s1, exec_lo
	s_delay_alu instid0(VALU_DEP_1)
	v_cmpx_ne_u64_e32 0, v[12:13]
	s_xor_b32 s35, exec_lo, s1
	s_cbranch_execnz .LBB134_41
; %bb.39:                               ;   in Loop: Header=BB134_33 Depth=2
	s_and_not1_saveexec_b32 s1, s35
	s_cbranch_execnz .LBB134_42
.LBB134_40:                             ;   in Loop: Header=BB134_33 Depth=2
	s_or_b32 exec_lo, exec_lo, s1
	s_delay_alu instid0(VALU_DEP_1)
	v_cmp_eq_u64_e32 vcc_lo, v[30:31], v[32:33]
	s_and_b32 exec_lo, exec_lo, vcc_lo
	s_cbranch_execz .LBB134_32
	s_branch .LBB134_43
.LBB134_41:                             ;   in Loop: Header=BB134_33 Depth=2
	s_add_u32 s22, s8, s18
	s_mov_b32 s19, s18
	s_addc_u32 s23, s9, s18
	s_delay_alu instid0(SALU_CYCLE_1) | instskip(NEXT) | instid1(SALU_CYCLE_1)
	s_xor_b64 s[22:23], s[22:23], s[18:19]
	v_cvt_f32_u32_e32 v13, s22
	v_cvt_f32_u32_e32 v32, s23
	s_sub_u32 s1, 0, s22
	s_subb_u32 s19, 0, s23
	s_delay_alu instid0(VALU_DEP_1) | instskip(NEXT) | instid1(VALU_DEP_1)
	v_fmac_f32_e32 v13, 0x4f800000, v32
	v_rcp_f32_e32 v13, v13
	s_waitcnt_depctr 0xfff
	v_mul_f32_e32 v13, 0x5f7ffffc, v13
	s_delay_alu instid0(VALU_DEP_1) | instskip(NEXT) | instid1(VALU_DEP_1)
	v_mul_f32_e32 v32, 0x2f800000, v13
	v_trunc_f32_e32 v32, v32
	s_delay_alu instid0(VALU_DEP_1) | instskip(SKIP_1) | instid1(VALU_DEP_2)
	v_fmac_f32_e32 v13, 0xcf800000, v32
	v_cvt_u32_f32_e32 v32, v32
	v_cvt_u32_f32_e32 v13, v13
	s_delay_alu instid0(VALU_DEP_2) | instskip(NEXT) | instid1(VALU_DEP_2)
	v_mul_lo_u32 v33, s1, v32
	v_mul_hi_u32 v43, s1, v13
	v_mul_lo_u32 v44, s19, v13
	s_delay_alu instid0(VALU_DEP_2) | instskip(SKIP_1) | instid1(VALU_DEP_2)
	v_add_nc_u32_e32 v33, v43, v33
	v_mul_lo_u32 v43, s1, v13
	v_add_nc_u32_e32 v33, v33, v44
	s_delay_alu instid0(VALU_DEP_2) | instskip(NEXT) | instid1(VALU_DEP_2)
	v_mul_hi_u32 v44, v13, v43
	v_mul_lo_u32 v45, v13, v33
	v_mul_hi_u32 v46, v13, v33
	v_mul_hi_u32 v47, v32, v43
	v_mul_lo_u32 v43, v32, v43
	v_mul_hi_u32 v48, v32, v33
	v_mul_lo_u32 v33, v32, v33
	v_add_co_u32 v44, vcc_lo, v44, v45
	v_add_co_ci_u32_e32 v45, vcc_lo, 0, v46, vcc_lo
	s_delay_alu instid0(VALU_DEP_2) | instskip(NEXT) | instid1(VALU_DEP_2)
	v_add_co_u32 v43, vcc_lo, v44, v43
	v_add_co_ci_u32_e32 v43, vcc_lo, v45, v47, vcc_lo
	v_add_co_ci_u32_e32 v44, vcc_lo, 0, v48, vcc_lo
	v_ashrrev_i32_e32 v47, 31, v35
	s_delay_alu instid0(VALU_DEP_3) | instskip(NEXT) | instid1(VALU_DEP_3)
	v_add_co_u32 v33, vcc_lo, v43, v33
	v_add_co_ci_u32_e32 v43, vcc_lo, 0, v44, vcc_lo
	s_delay_alu instid0(VALU_DEP_2) | instskip(NEXT) | instid1(VALU_DEP_2)
	v_add_co_u32 v13, vcc_lo, v13, v33
	v_add_co_ci_u32_e32 v32, vcc_lo, v32, v43, vcc_lo
	s_delay_alu instid0(VALU_DEP_2) | instskip(SKIP_1) | instid1(VALU_DEP_3)
	v_mul_hi_u32 v33, s1, v13
	v_mul_lo_u32 v44, s19, v13
	v_mul_lo_u32 v43, s1, v32
	s_delay_alu instid0(VALU_DEP_1) | instskip(SKIP_1) | instid1(VALU_DEP_2)
	v_add_nc_u32_e32 v33, v33, v43
	v_mul_lo_u32 v43, s1, v13
	v_add_nc_u32_e32 v33, v33, v44
	s_delay_alu instid0(VALU_DEP_2) | instskip(NEXT) | instid1(VALU_DEP_2)
	v_mul_hi_u32 v44, v13, v43
	v_mul_lo_u32 v45, v13, v33
	v_mul_hi_u32 v46, v13, v33
	v_mul_hi_u32 v48, v32, v43
	v_mul_lo_u32 v43, v32, v43
	v_mul_hi_u32 v49, v32, v33
	v_mul_lo_u32 v33, v32, v33
	v_add_co_u32 v44, vcc_lo, v44, v45
	v_add_co_ci_u32_e32 v45, vcc_lo, 0, v46, vcc_lo
	s_delay_alu instid0(VALU_DEP_2) | instskip(NEXT) | instid1(VALU_DEP_2)
	v_add_co_u32 v43, vcc_lo, v44, v43
	v_add_co_ci_u32_e32 v43, vcc_lo, v45, v48, vcc_lo
	v_add_co_ci_u32_e32 v44, vcc_lo, 0, v49, vcc_lo
	v_add_co_u32 v45, vcc_lo, v34, v47
	v_add_co_ci_u32_e32 v46, vcc_lo, v35, v47, vcc_lo
	s_delay_alu instid0(VALU_DEP_4) | instskip(NEXT) | instid1(VALU_DEP_4)
	v_add_co_u32 v33, vcc_lo, v43, v33
	v_add_co_ci_u32_e32 v43, vcc_lo, 0, v44, vcc_lo
	s_delay_alu instid0(VALU_DEP_4) | instskip(NEXT) | instid1(VALU_DEP_3)
	v_xor_b32_e32 v48, v45, v47
	v_add_co_u32 v13, vcc_lo, v13, v33
	s_delay_alu instid0(VALU_DEP_3) | instskip(SKIP_1) | instid1(VALU_DEP_3)
	v_add_co_ci_u32_e32 v49, vcc_lo, v32, v43, vcc_lo
	v_xor_b32_e32 v50, v46, v47
	v_mul_hi_u32 v51, v48, v13
	s_delay_alu instid0(VALU_DEP_3) | instskip(NEXT) | instid1(VALU_DEP_3)
	v_mad_u64_u32 v[32:33], null, v48, v49, 0
	v_mad_u64_u32 v[43:44], null, v50, v13, 0
	;; [unrolled: 1-line block ×3, first 2 shown]
	s_delay_alu instid0(VALU_DEP_3) | instskip(NEXT) | instid1(VALU_DEP_4)
	v_add_co_u32 v13, vcc_lo, v51, v32
	v_add_co_ci_u32_e32 v32, vcc_lo, 0, v33, vcc_lo
	s_delay_alu instid0(VALU_DEP_2) | instskip(NEXT) | instid1(VALU_DEP_2)
	v_add_co_u32 v13, vcc_lo, v13, v43
	v_add_co_ci_u32_e32 v13, vcc_lo, v32, v44, vcc_lo
	v_add_co_ci_u32_e32 v32, vcc_lo, 0, v46, vcc_lo
	s_delay_alu instid0(VALU_DEP_2) | instskip(NEXT) | instid1(VALU_DEP_2)
	v_add_co_u32 v13, vcc_lo, v13, v45
	v_add_co_ci_u32_e32 v43, vcc_lo, 0, v32, vcc_lo
	s_delay_alu instid0(VALU_DEP_2) | instskip(SKIP_1) | instid1(VALU_DEP_3)
	v_mul_lo_u32 v44, s23, v13
	v_mad_u64_u32 v[32:33], null, s22, v13, 0
	v_mul_lo_u32 v45, s22, v43
	s_delay_alu instid0(VALU_DEP_2) | instskip(NEXT) | instid1(VALU_DEP_2)
	v_sub_co_u32 v32, vcc_lo, v48, v32
	v_add3_u32 v33, v33, v45, v44
	s_delay_alu instid0(VALU_DEP_1) | instskip(NEXT) | instid1(VALU_DEP_1)
	v_sub_nc_u32_e32 v44, v50, v33
	v_subrev_co_ci_u32_e64 v44, s1, s23, v44, vcc_lo
	v_add_co_u32 v45, s1, v13, 2
	s_delay_alu instid0(VALU_DEP_1) | instskip(SKIP_3) | instid1(VALU_DEP_3)
	v_add_co_ci_u32_e64 v46, s1, 0, v43, s1
	v_sub_co_u32 v48, s1, v32, s22
	v_sub_co_ci_u32_e32 v33, vcc_lo, v50, v33, vcc_lo
	v_subrev_co_ci_u32_e64 v44, s1, 0, v44, s1
	v_cmp_le_u32_e32 vcc_lo, s22, v48
	s_delay_alu instid0(VALU_DEP_3) | instskip(SKIP_1) | instid1(VALU_DEP_4)
	v_cmp_eq_u32_e64 s1, s23, v33
	v_cndmask_b32_e64 v48, 0, -1, vcc_lo
	v_cmp_le_u32_e32 vcc_lo, s23, v44
	v_cndmask_b32_e64 v49, 0, -1, vcc_lo
	v_cmp_le_u32_e32 vcc_lo, s22, v32
	;; [unrolled: 2-line block ×3, first 2 shown]
	v_cndmask_b32_e64 v50, 0, -1, vcc_lo
	v_cmp_eq_u32_e32 vcc_lo, s23, v44
	s_delay_alu instid0(VALU_DEP_2) | instskip(SKIP_3) | instid1(VALU_DEP_3)
	v_cndmask_b32_e64 v32, v50, v32, s1
	v_cndmask_b32_e32 v44, v49, v48, vcc_lo
	v_add_co_u32 v48, vcc_lo, v13, 1
	v_add_co_ci_u32_e32 v49, vcc_lo, 0, v43, vcc_lo
	v_cmp_ne_u32_e32 vcc_lo, 0, v44
	s_delay_alu instid0(VALU_DEP_2) | instskip(SKIP_2) | instid1(VALU_DEP_3)
	v_dual_cndmask_b32 v33, v49, v46 :: v_dual_cndmask_b32 v44, v48, v45
	v_cmp_ne_u32_e32 vcc_lo, 0, v32
	v_xor_b32_e32 v45, s18, v47
	v_dual_cndmask_b32 v32, v43, v33 :: v_dual_cndmask_b32 v13, v13, v44
	s_delay_alu instid0(VALU_DEP_1) | instskip(NEXT) | instid1(VALU_DEP_2)
	v_xor_b32_e32 v33, v32, v45
	v_xor_b32_e32 v13, v13, v45
	s_delay_alu instid0(VALU_DEP_1) | instskip(NEXT) | instid1(VALU_DEP_3)
	v_sub_co_u32 v32, vcc_lo, v13, v45
	v_sub_co_ci_u32_e32 v33, vcc_lo, v33, v45, vcc_lo
	s_and_not1_saveexec_b32 s1, s35
	s_cbranch_execz .LBB134_40
.LBB134_42:                             ;   in Loop: Header=BB134_33 Depth=2
	v_cvt_f32_u32_e32 v13, s8
	s_sub_i32 s19, 0, s8
	s_delay_alu instid0(VALU_DEP_1) | instskip(SKIP_2) | instid1(VALU_DEP_1)
	v_rcp_iflag_f32_e32 v13, v13
	s_waitcnt_depctr 0xfff
	v_mul_f32_e32 v13, 0x4f7ffffe, v13
	v_cvt_u32_f32_e32 v13, v13
	s_delay_alu instid0(VALU_DEP_1) | instskip(NEXT) | instid1(VALU_DEP_1)
	v_mul_lo_u32 v32, s19, v13
	v_mul_hi_u32 v32, v13, v32
	s_delay_alu instid0(VALU_DEP_1) | instskip(NEXT) | instid1(VALU_DEP_1)
	v_add_nc_u32_e32 v13, v13, v32
	v_mul_hi_u32 v13, v34, v13
	s_delay_alu instid0(VALU_DEP_1) | instskip(SKIP_1) | instid1(VALU_DEP_2)
	v_mul_lo_u32 v32, v13, s8
	v_add_nc_u32_e32 v33, 1, v13
	v_sub_nc_u32_e32 v32, v34, v32
	s_delay_alu instid0(VALU_DEP_1) | instskip(SKIP_1) | instid1(VALU_DEP_2)
	v_subrev_nc_u32_e32 v43, s8, v32
	v_cmp_le_u32_e32 vcc_lo, s8, v32
	v_dual_cndmask_b32 v32, v32, v43 :: v_dual_cndmask_b32 v13, v13, v33
	s_delay_alu instid0(VALU_DEP_1) | instskip(NEXT) | instid1(VALU_DEP_2)
	v_cmp_le_u32_e32 vcc_lo, s8, v32
	v_add_nc_u32_e32 v33, 1, v13
	s_delay_alu instid0(VALU_DEP_1) | instskip(SKIP_1) | instid1(VALU_DEP_1)
	v_dual_cndmask_b32 v32, v13, v33 :: v_dual_mov_b32 v33, v12
	s_or_b32 exec_lo, exec_lo, s1
	v_cmp_eq_u64_e32 vcc_lo, v[30:31], v[32:33]
	s_and_b32 exec_lo, exec_lo, vcc_lo
	s_cbranch_execz .LBB134_32
.LBB134_43:                             ;   in Loop: Header=BB134_33 Depth=2
	s_and_b32 vcc_lo, exec_lo, s30
	s_cbranch_vccz .LBB134_45
; %bb.44:                               ;   in Loop: Header=BB134_33 Depth=2
	global_load_b64 v[32:33], v[24:25], off
	v_mul_lo_u32 v13, v31, s8
	v_mul_lo_u32 v31, v30, s9
	v_mad_u64_u32 v[43:44], null, v30, s8, 0
	s_delay_alu instid0(VALU_DEP_1) | instskip(NEXT) | instid1(VALU_DEP_2)
	v_add3_u32 v13, v44, v31, v13
	v_sub_co_u32 v30, vcc_lo, v28, v43
	s_delay_alu instid0(VALU_DEP_2) | instskip(NEXT) | instid1(VALU_DEP_2)
	v_sub_co_ci_u32_e32 v13, vcc_lo, v29, v13, vcc_lo
	v_add_co_u32 v43, vcc_lo, v30, v18
	s_delay_alu instid0(VALU_DEP_2) | instskip(NEXT) | instid1(VALU_DEP_2)
	v_add_co_ci_u32_e32 v13, vcc_lo, v13, v19, vcc_lo
	v_mul_lo_u32 v44, s15, v43
	v_mad_u64_u32 v[30:31], null, s14, v43, v[26:27]
	s_delay_alu instid0(VALU_DEP_3) | instskip(NEXT) | instid1(VALU_DEP_1)
	v_mul_lo_u32 v13, s14, v13
	v_add3_u32 v31, v44, v31, v13
	s_waitcnt vmcnt(0)
	global_store_b64 v[30:31], v[32:33], off
	s_cbranch_execnz .LBB134_32
	s_branch .LBB134_46
.LBB134_45:                             ;   in Loop: Header=BB134_33 Depth=2
.LBB134_46:                             ;   in Loop: Header=BB134_33 Depth=2
	v_mov_b32_e32 v13, v42
                                        ; implicit-def: $vgpr30_vgpr31
	s_mov_b32 s1, exec_lo
	s_delay_alu instid0(VALU_DEP_1)
	v_cmpx_ne_u64_e32 0, v[12:13]
	s_xor_b32 s35, exec_lo, s1
	s_cbranch_execz .LBB134_48
; %bb.47:                               ;   in Loop: Header=BB134_33 Depth=2
	s_add_u32 s22, s8, s18
	s_mov_b32 s19, s18
	s_addc_u32 s23, s9, s18
	s_delay_alu instid0(SALU_CYCLE_1) | instskip(NEXT) | instid1(SALU_CYCLE_1)
	s_xor_b64 s[22:23], s[22:23], s[18:19]
	v_cvt_f32_u32_e32 v13, s22
	v_cvt_f32_u32_e32 v30, s23
	s_sub_u32 s1, 0, s22
	s_subb_u32 s19, 0, s23
	s_delay_alu instid0(VALU_DEP_1) | instskip(NEXT) | instid1(VALU_DEP_1)
	v_fmac_f32_e32 v13, 0x4f800000, v30
	v_rcp_f32_e32 v13, v13
	s_waitcnt_depctr 0xfff
	v_mul_f32_e32 v13, 0x5f7ffffc, v13
	s_delay_alu instid0(VALU_DEP_1) | instskip(NEXT) | instid1(VALU_DEP_1)
	v_mul_f32_e32 v30, 0x2f800000, v13
	v_trunc_f32_e32 v30, v30
	s_delay_alu instid0(VALU_DEP_1) | instskip(SKIP_1) | instid1(VALU_DEP_2)
	v_fmac_f32_e32 v13, 0xcf800000, v30
	v_cvt_u32_f32_e32 v30, v30
	v_cvt_u32_f32_e32 v13, v13
	s_delay_alu instid0(VALU_DEP_2) | instskip(NEXT) | instid1(VALU_DEP_2)
	v_mul_lo_u32 v31, s1, v30
	v_mul_hi_u32 v32, s1, v13
	v_mul_lo_u32 v33, s19, v13
	s_delay_alu instid0(VALU_DEP_2) | instskip(SKIP_1) | instid1(VALU_DEP_2)
	v_add_nc_u32_e32 v31, v32, v31
	v_mul_lo_u32 v32, s1, v13
	v_add_nc_u32_e32 v31, v31, v33
	s_delay_alu instid0(VALU_DEP_2) | instskip(NEXT) | instid1(VALU_DEP_2)
	v_mul_hi_u32 v33, v13, v32
	v_mul_lo_u32 v42, v13, v31
	v_mul_hi_u32 v43, v13, v31
	v_mul_hi_u32 v44, v30, v32
	v_mul_lo_u32 v32, v30, v32
	v_mul_hi_u32 v45, v30, v31
	v_mul_lo_u32 v31, v30, v31
	v_add_co_u32 v33, vcc_lo, v33, v42
	v_add_co_ci_u32_e32 v42, vcc_lo, 0, v43, vcc_lo
	s_delay_alu instid0(VALU_DEP_2) | instskip(NEXT) | instid1(VALU_DEP_2)
	v_add_co_u32 v32, vcc_lo, v33, v32
	v_add_co_ci_u32_e32 v32, vcc_lo, v42, v44, vcc_lo
	v_add_co_ci_u32_e32 v33, vcc_lo, 0, v45, vcc_lo
	v_ashrrev_i32_e32 v44, 31, v29
	s_delay_alu instid0(VALU_DEP_3) | instskip(NEXT) | instid1(VALU_DEP_3)
	v_add_co_u32 v31, vcc_lo, v32, v31
	v_add_co_ci_u32_e32 v32, vcc_lo, 0, v33, vcc_lo
	s_delay_alu instid0(VALU_DEP_2) | instskip(NEXT) | instid1(VALU_DEP_2)
	v_add_co_u32 v13, vcc_lo, v13, v31
	v_add_co_ci_u32_e32 v30, vcc_lo, v30, v32, vcc_lo
	s_delay_alu instid0(VALU_DEP_2) | instskip(SKIP_1) | instid1(VALU_DEP_3)
	v_mul_hi_u32 v31, s1, v13
	v_mul_lo_u32 v33, s19, v13
	v_mul_lo_u32 v32, s1, v30
	s_delay_alu instid0(VALU_DEP_1) | instskip(SKIP_1) | instid1(VALU_DEP_2)
	v_add_nc_u32_e32 v31, v31, v32
	v_mul_lo_u32 v32, s1, v13
	v_add_nc_u32_e32 v31, v31, v33
	s_delay_alu instid0(VALU_DEP_2) | instskip(NEXT) | instid1(VALU_DEP_2)
	v_mul_hi_u32 v33, v13, v32
	v_mul_lo_u32 v42, v13, v31
	v_mul_hi_u32 v43, v13, v31
	v_mul_hi_u32 v45, v30, v32
	v_mul_lo_u32 v32, v30, v32
	v_mul_hi_u32 v46, v30, v31
	v_mul_lo_u32 v31, v30, v31
	v_add_co_u32 v33, vcc_lo, v33, v42
	v_add_co_ci_u32_e32 v42, vcc_lo, 0, v43, vcc_lo
	s_delay_alu instid0(VALU_DEP_2) | instskip(NEXT) | instid1(VALU_DEP_2)
	v_add_co_u32 v32, vcc_lo, v33, v32
	v_add_co_ci_u32_e32 v32, vcc_lo, v42, v45, vcc_lo
	v_add_co_ci_u32_e32 v33, vcc_lo, 0, v46, vcc_lo
	v_add_co_u32 v28, vcc_lo, v28, v44
	v_add_co_ci_u32_e32 v29, vcc_lo, v29, v44, vcc_lo
	s_delay_alu instid0(VALU_DEP_4) | instskip(NEXT) | instid1(VALU_DEP_4)
	v_add_co_u32 v31, vcc_lo, v32, v31
	v_add_co_ci_u32_e32 v32, vcc_lo, 0, v33, vcc_lo
	s_delay_alu instid0(VALU_DEP_4) | instskip(NEXT) | instid1(VALU_DEP_3)
	v_xor_b32_e32 v42, v28, v44
	v_add_co_u32 v13, vcc_lo, v13, v31
	s_delay_alu instid0(VALU_DEP_3) | instskip(SKIP_1) | instid1(VALU_DEP_3)
	v_add_co_ci_u32_e32 v43, vcc_lo, v30, v32, vcc_lo
	v_xor_b32_e32 v45, v29, v44
	v_mul_hi_u32 v46, v42, v13
	s_delay_alu instid0(VALU_DEP_3) | instskip(NEXT) | instid1(VALU_DEP_3)
	v_mad_u64_u32 v[28:29], null, v42, v43, 0
	v_mad_u64_u32 v[30:31], null, v45, v13, 0
	;; [unrolled: 1-line block ×3, first 2 shown]
	s_delay_alu instid0(VALU_DEP_3) | instskip(NEXT) | instid1(VALU_DEP_4)
	v_add_co_u32 v13, vcc_lo, v46, v28
	v_add_co_ci_u32_e32 v28, vcc_lo, 0, v29, vcc_lo
	s_delay_alu instid0(VALU_DEP_2) | instskip(NEXT) | instid1(VALU_DEP_2)
	v_add_co_u32 v13, vcc_lo, v13, v30
	v_add_co_ci_u32_e32 v13, vcc_lo, v28, v31, vcc_lo
	v_add_co_ci_u32_e32 v28, vcc_lo, 0, v33, vcc_lo
	s_delay_alu instid0(VALU_DEP_2) | instskip(NEXT) | instid1(VALU_DEP_2)
	v_add_co_u32 v13, vcc_lo, v13, v32
	v_add_co_ci_u32_e32 v30, vcc_lo, 0, v28, vcc_lo
	s_delay_alu instid0(VALU_DEP_2) | instskip(SKIP_1) | instid1(VALU_DEP_3)
	v_mul_lo_u32 v31, s23, v13
	v_mad_u64_u32 v[28:29], null, s22, v13, 0
	v_mul_lo_u32 v13, s22, v30
	s_delay_alu instid0(VALU_DEP_2) | instskip(NEXT) | instid1(VALU_DEP_2)
	v_sub_co_u32 v28, vcc_lo, v42, v28
	v_add3_u32 v13, v29, v13, v31
	s_delay_alu instid0(VALU_DEP_1) | instskip(NEXT) | instid1(VALU_DEP_1)
	v_sub_nc_u32_e32 v29, v45, v13
	v_subrev_co_ci_u32_e64 v29, s1, s23, v29, vcc_lo
	v_sub_co_ci_u32_e32 v13, vcc_lo, v45, v13, vcc_lo
	v_sub_co_u32 v30, vcc_lo, v28, s22
	s_delay_alu instid0(VALU_DEP_1) | instskip(SKIP_3) | instid1(VALU_DEP_3)
	v_subrev_co_ci_u32_e64 v31, s1, 0, v29, vcc_lo
	v_cmp_le_u32_e64 s1, s22, v28
	v_subrev_co_ci_u32_e32 v29, vcc_lo, s23, v29, vcc_lo
	v_cmp_le_u32_e32 vcc_lo, s23, v13
	v_cndmask_b32_e64 v32, 0, -1, s1
	v_cmp_le_u32_e64 s1, s22, v30
	v_cndmask_b32_e64 v43, 0, -1, vcc_lo
	v_cmp_eq_u32_e32 vcc_lo, s23, v31
	s_delay_alu instid0(VALU_DEP_3) | instskip(SKIP_1) | instid1(VALU_DEP_1)
	v_cndmask_b32_e64 v33, 0, -1, s1
	v_cmp_le_u32_e64 s1, s23, v31
	v_cndmask_b32_e64 v42, 0, -1, s1
	v_cmp_eq_u32_e64 s1, s23, v13
	s_delay_alu instid0(VALU_DEP_2) | instskip(SKIP_2) | instid1(VALU_DEP_3)
	v_cndmask_b32_e32 v33, v42, v33, vcc_lo
	v_sub_co_u32 v42, vcc_lo, v30, s22
	v_subrev_co_ci_u32_e32 v29, vcc_lo, 0, v29, vcc_lo
	v_cmp_ne_u32_e32 vcc_lo, 0, v33
	v_cndmask_b32_e64 v32, v43, v32, s1
	s_delay_alu instid0(VALU_DEP_3) | instskip(NEXT) | instid1(VALU_DEP_2)
	v_dual_cndmask_b32 v29, v31, v29 :: v_dual_cndmask_b32 v30, v30, v42
	v_cmp_ne_u32_e32 vcc_lo, 0, v32
	s_delay_alu instid0(VALU_DEP_2) | instskip(NEXT) | instid1(VALU_DEP_1)
	v_dual_cndmask_b32 v28, v28, v30 :: v_dual_cndmask_b32 v13, v13, v29
	v_xor_b32_e32 v28, v28, v44
	s_delay_alu instid0(VALU_DEP_2) | instskip(NEXT) | instid1(VALU_DEP_2)
	v_xor_b32_e32 v13, v13, v44
	v_sub_co_u32 v30, vcc_lo, v28, v44
	s_delay_alu instid0(VALU_DEP_2)
	v_sub_co_ci_u32_e32 v31, vcc_lo, v13, v44, vcc_lo
                                        ; implicit-def: $vgpr28_vgpr29
.LBB134_48:                             ;   in Loop: Header=BB134_33 Depth=2
	s_and_not1_saveexec_b32 s1, s35
	s_cbranch_execz .LBB134_31
; %bb.49:                               ;   in Loop: Header=BB134_33 Depth=2
	v_cvt_f32_u32_e32 v13, s8
	s_sub_i32 s19, 0, s8
	v_mov_b32_e32 v31, v12
	s_delay_alu instid0(VALU_DEP_2) | instskip(SKIP_2) | instid1(VALU_DEP_1)
	v_rcp_iflag_f32_e32 v13, v13
	s_waitcnt_depctr 0xfff
	v_mul_f32_e32 v13, 0x4f7ffffe, v13
	v_cvt_u32_f32_e32 v13, v13
	s_delay_alu instid0(VALU_DEP_1) | instskip(NEXT) | instid1(VALU_DEP_1)
	v_mul_lo_u32 v29, s19, v13
	v_mul_hi_u32 v29, v13, v29
	s_delay_alu instid0(VALU_DEP_1) | instskip(NEXT) | instid1(VALU_DEP_1)
	v_add_nc_u32_e32 v13, v13, v29
	v_mul_hi_u32 v13, v28, v13
	s_delay_alu instid0(VALU_DEP_1) | instskip(NEXT) | instid1(VALU_DEP_1)
	v_mul_lo_u32 v13, v13, s8
	v_sub_nc_u32_e32 v13, v28, v13
	s_delay_alu instid0(VALU_DEP_1) | instskip(SKIP_1) | instid1(VALU_DEP_2)
	v_subrev_nc_u32_e32 v28, s8, v13
	v_cmp_le_u32_e32 vcc_lo, s8, v13
	v_cndmask_b32_e32 v13, v13, v28, vcc_lo
	s_delay_alu instid0(VALU_DEP_1) | instskip(SKIP_1) | instid1(VALU_DEP_2)
	v_subrev_nc_u32_e32 v28, s8, v13
	v_cmp_le_u32_e32 vcc_lo, s8, v13
	v_cndmask_b32_e32 v30, v13, v28, vcc_lo
	s_branch .LBB134_31
.LBB134_50:                             ;   in Loop: Header=BB134_10 Depth=1
	s_add_u32 s20, s8, s18
	s_mov_b32 s19, s18
	s_addc_u32 s21, s9, s18
	s_delay_alu instid0(SALU_CYCLE_1) | instskip(NEXT) | instid1(SALU_CYCLE_1)
	s_xor_b64 s[20:21], s[20:21], s[18:19]
	v_cvt_f32_u32_e32 v13, s20
	v_cvt_f32_u32_e32 v20, s21
	s_sub_u32 s1, 0, s20
	s_subb_u32 s19, 0, s21
	s_delay_alu instid0(VALU_DEP_1) | instskip(NEXT) | instid1(VALU_DEP_1)
	v_fmac_f32_e32 v13, 0x4f800000, v20
	v_rcp_f32_e32 v13, v13
	s_waitcnt_depctr 0xfff
	v_mul_f32_e32 v13, 0x5f7ffffc, v13
	s_delay_alu instid0(VALU_DEP_1) | instskip(NEXT) | instid1(VALU_DEP_1)
	v_mul_f32_e32 v20, 0x2f800000, v13
	v_trunc_f32_e32 v20, v20
	s_delay_alu instid0(VALU_DEP_1) | instskip(SKIP_1) | instid1(VALU_DEP_2)
	v_fmac_f32_e32 v13, 0xcf800000, v20
	v_cvt_u32_f32_e32 v20, v20
	v_cvt_u32_f32_e32 v13, v13
	s_delay_alu instid0(VALU_DEP_2) | instskip(NEXT) | instid1(VALU_DEP_2)
	v_mul_lo_u32 v21, s1, v20
	v_mul_hi_u32 v22, s1, v13
	v_mul_lo_u32 v23, s19, v13
	s_delay_alu instid0(VALU_DEP_2) | instskip(SKIP_1) | instid1(VALU_DEP_2)
	v_add_nc_u32_e32 v21, v22, v21
	v_mul_lo_u32 v22, s1, v13
	v_add_nc_u32_e32 v21, v21, v23
	s_delay_alu instid0(VALU_DEP_2) | instskip(NEXT) | instid1(VALU_DEP_2)
	v_mul_hi_u32 v23, v13, v22
	v_mul_lo_u32 v24, v13, v21
	v_mul_hi_u32 v25, v13, v21
	v_mul_hi_u32 v26, v20, v22
	v_mul_lo_u32 v22, v20, v22
	v_mul_hi_u32 v27, v20, v21
	v_mul_lo_u32 v21, v20, v21
	v_add_co_u32 v23, vcc_lo, v23, v24
	v_add_co_ci_u32_e32 v24, vcc_lo, 0, v25, vcc_lo
	s_delay_alu instid0(VALU_DEP_2) | instskip(NEXT) | instid1(VALU_DEP_2)
	v_add_co_u32 v22, vcc_lo, v23, v22
	v_add_co_ci_u32_e32 v22, vcc_lo, v24, v26, vcc_lo
	v_add_co_ci_u32_e32 v23, vcc_lo, 0, v27, vcc_lo
	v_ashrrev_i32_e32 v26, 31, v19
	s_delay_alu instid0(VALU_DEP_3) | instskip(NEXT) | instid1(VALU_DEP_3)
	v_add_co_u32 v21, vcc_lo, v22, v21
	v_add_co_ci_u32_e32 v22, vcc_lo, 0, v23, vcc_lo
	s_delay_alu instid0(VALU_DEP_2) | instskip(NEXT) | instid1(VALU_DEP_2)
	v_add_co_u32 v13, vcc_lo, v13, v21
	v_add_co_ci_u32_e32 v20, vcc_lo, v20, v22, vcc_lo
	s_delay_alu instid0(VALU_DEP_2) | instskip(SKIP_1) | instid1(VALU_DEP_3)
	v_mul_hi_u32 v21, s1, v13
	v_mul_lo_u32 v23, s19, v13
	v_mul_lo_u32 v22, s1, v20
	s_delay_alu instid0(VALU_DEP_1) | instskip(SKIP_1) | instid1(VALU_DEP_2)
	v_add_nc_u32_e32 v21, v21, v22
	v_mul_lo_u32 v22, s1, v13
	v_add_nc_u32_e32 v21, v21, v23
	s_delay_alu instid0(VALU_DEP_2) | instskip(NEXT) | instid1(VALU_DEP_2)
	v_mul_hi_u32 v23, v13, v22
	v_mul_lo_u32 v24, v13, v21
	v_mul_hi_u32 v25, v13, v21
	v_mul_hi_u32 v27, v20, v22
	v_mul_lo_u32 v22, v20, v22
	v_mul_hi_u32 v28, v20, v21
	v_mul_lo_u32 v21, v20, v21
	v_add_co_u32 v23, vcc_lo, v23, v24
	v_add_co_ci_u32_e32 v24, vcc_lo, 0, v25, vcc_lo
	s_delay_alu instid0(VALU_DEP_2) | instskip(NEXT) | instid1(VALU_DEP_2)
	v_add_co_u32 v22, vcc_lo, v23, v22
	v_add_co_ci_u32_e32 v22, vcc_lo, v24, v27, vcc_lo
	v_add_co_ci_u32_e32 v23, vcc_lo, 0, v28, vcc_lo
	v_add_co_u32 v24, vcc_lo, v18, v26
	v_add_co_ci_u32_e32 v25, vcc_lo, v19, v26, vcc_lo
	s_delay_alu instid0(VALU_DEP_4) | instskip(NEXT) | instid1(VALU_DEP_4)
	v_add_co_u32 v21, vcc_lo, v22, v21
	v_add_co_ci_u32_e32 v22, vcc_lo, 0, v23, vcc_lo
	s_delay_alu instid0(VALU_DEP_4) | instskip(NEXT) | instid1(VALU_DEP_3)
	v_xor_b32_e32 v27, v24, v26
	v_add_co_u32 v13, vcc_lo, v13, v21
	s_delay_alu instid0(VALU_DEP_3) | instskip(SKIP_1) | instid1(VALU_DEP_3)
	v_add_co_ci_u32_e32 v28, vcc_lo, v20, v22, vcc_lo
	v_xor_b32_e32 v29, v25, v26
	v_mul_hi_u32 v30, v27, v13
	s_delay_alu instid0(VALU_DEP_3) | instskip(NEXT) | instid1(VALU_DEP_3)
	v_mad_u64_u32 v[20:21], null, v27, v28, 0
	v_mad_u64_u32 v[22:23], null, v29, v13, 0
	;; [unrolled: 1-line block ×3, first 2 shown]
	s_delay_alu instid0(VALU_DEP_3) | instskip(NEXT) | instid1(VALU_DEP_4)
	v_add_co_u32 v13, vcc_lo, v30, v20
	v_add_co_ci_u32_e32 v20, vcc_lo, 0, v21, vcc_lo
	s_delay_alu instid0(VALU_DEP_2) | instskip(NEXT) | instid1(VALU_DEP_2)
	v_add_co_u32 v13, vcc_lo, v13, v22
	v_add_co_ci_u32_e32 v13, vcc_lo, v20, v23, vcc_lo
	v_add_co_ci_u32_e32 v20, vcc_lo, 0, v25, vcc_lo
	s_delay_alu instid0(VALU_DEP_2) | instskip(NEXT) | instid1(VALU_DEP_2)
	v_add_co_u32 v13, vcc_lo, v13, v24
	v_add_co_ci_u32_e32 v22, vcc_lo, 0, v20, vcc_lo
	s_delay_alu instid0(VALU_DEP_2) | instskip(SKIP_1) | instid1(VALU_DEP_3)
	v_mul_lo_u32 v23, s21, v13
	v_mad_u64_u32 v[20:21], null, s20, v13, 0
	v_mul_lo_u32 v24, s20, v22
	s_delay_alu instid0(VALU_DEP_2) | instskip(NEXT) | instid1(VALU_DEP_2)
	v_sub_co_u32 v20, vcc_lo, v27, v20
	v_add3_u32 v21, v21, v24, v23
	s_delay_alu instid0(VALU_DEP_1) | instskip(NEXT) | instid1(VALU_DEP_1)
	v_sub_nc_u32_e32 v23, v29, v21
	v_subrev_co_ci_u32_e64 v23, s1, s21, v23, vcc_lo
	v_add_co_u32 v24, s1, v13, 2
	s_delay_alu instid0(VALU_DEP_1) | instskip(SKIP_3) | instid1(VALU_DEP_3)
	v_add_co_ci_u32_e64 v25, s1, 0, v22, s1
	v_sub_co_u32 v27, s1, v20, s20
	v_sub_co_ci_u32_e32 v21, vcc_lo, v29, v21, vcc_lo
	v_subrev_co_ci_u32_e64 v23, s1, 0, v23, s1
	v_cmp_le_u32_e32 vcc_lo, s20, v27
	s_delay_alu instid0(VALU_DEP_3) | instskip(SKIP_1) | instid1(VALU_DEP_4)
	v_cmp_eq_u32_e64 s1, s21, v21
	v_cndmask_b32_e64 v27, 0, -1, vcc_lo
	v_cmp_le_u32_e32 vcc_lo, s21, v23
	v_cndmask_b32_e64 v28, 0, -1, vcc_lo
	v_cmp_le_u32_e32 vcc_lo, s20, v20
	;; [unrolled: 2-line block ×3, first 2 shown]
	v_cndmask_b32_e64 v29, 0, -1, vcc_lo
	v_cmp_eq_u32_e32 vcc_lo, s21, v23
	s_delay_alu instid0(VALU_DEP_2) | instskip(SKIP_3) | instid1(VALU_DEP_3)
	v_cndmask_b32_e64 v20, v29, v20, s1
	v_cndmask_b32_e32 v23, v28, v27, vcc_lo
	v_add_co_u32 v27, vcc_lo, v13, 1
	v_add_co_ci_u32_e32 v28, vcc_lo, 0, v22, vcc_lo
	v_cmp_ne_u32_e32 vcc_lo, 0, v23
	s_delay_alu instid0(VALU_DEP_2) | instskip(NEXT) | instid1(VALU_DEP_4)
	v_cndmask_b32_e32 v21, v28, v25, vcc_lo
	v_cndmask_b32_e32 v23, v27, v24, vcc_lo
	v_cmp_ne_u32_e32 vcc_lo, 0, v20
	v_xor_b32_e32 v24, s18, v26
	s_delay_alu instid0(VALU_DEP_3) | instskip(NEXT) | instid1(VALU_DEP_1)
	v_dual_cndmask_b32 v13, v13, v23 :: v_dual_cndmask_b32 v20, v22, v21
	v_xor_b32_e32 v13, v13, v24
	s_delay_alu instid0(VALU_DEP_2) | instskip(NEXT) | instid1(VALU_DEP_2)
	v_xor_b32_e32 v21, v20, v24
	v_sub_co_u32 v20, vcc_lo, v13, v24
	s_delay_alu instid0(VALU_DEP_2)
	v_sub_co_ci_u32_e32 v21, vcc_lo, v21, v24, vcc_lo
	s_and_not1_saveexec_b32 s1, s23
	s_cbranch_execz .LBB134_26
.LBB134_51:                             ;   in Loop: Header=BB134_10 Depth=1
	v_cvt_f32_u32_e32 v13, s8
	s_sub_i32 s19, 0, s8
	s_delay_alu instid0(VALU_DEP_1) | instskip(SKIP_2) | instid1(VALU_DEP_1)
	v_rcp_iflag_f32_e32 v13, v13
	s_waitcnt_depctr 0xfff
	v_mul_f32_e32 v13, 0x4f7ffffe, v13
	v_cvt_u32_f32_e32 v13, v13
	s_delay_alu instid0(VALU_DEP_1) | instskip(NEXT) | instid1(VALU_DEP_1)
	v_mul_lo_u32 v20, s19, v13
	v_mul_hi_u32 v20, v13, v20
	s_delay_alu instid0(VALU_DEP_1) | instskip(NEXT) | instid1(VALU_DEP_1)
	v_add_nc_u32_e32 v13, v13, v20
	v_mul_hi_u32 v13, v18, v13
	s_delay_alu instid0(VALU_DEP_1) | instskip(SKIP_1) | instid1(VALU_DEP_2)
	v_mul_lo_u32 v20, v13, s8
	v_add_nc_u32_e32 v21, 1, v13
	v_sub_nc_u32_e32 v20, v18, v20
	s_delay_alu instid0(VALU_DEP_1) | instskip(SKIP_1) | instid1(VALU_DEP_2)
	v_subrev_nc_u32_e32 v22, s8, v20
	v_cmp_le_u32_e32 vcc_lo, s8, v20
	v_dual_cndmask_b32 v20, v20, v22 :: v_dual_cndmask_b32 v13, v13, v21
	s_delay_alu instid0(VALU_DEP_1) | instskip(NEXT) | instid1(VALU_DEP_2)
	v_cmp_le_u32_e32 vcc_lo, s8, v20
	v_add_nc_u32_e32 v21, 1, v13
	s_delay_alu instid0(VALU_DEP_1) | instskip(SKIP_1) | instid1(SALU_CYCLE_1)
	v_dual_cndmask_b32 v20, v13, v21 :: v_dual_mov_b32 v21, v12
	s_or_b32 exec_lo, exec_lo, s1
	s_mov_b32 s1, exec_lo
	s_delay_alu instid0(VALU_DEP_1)
	v_cmpx_ge_i64_e64 v[20:21], v[16:17]
	s_cbranch_execnz .LBB134_27
	s_branch .LBB134_28
.LBB134_52:
	s_nop 0
	s_sendmsg sendmsg(MSG_DEALLOC_VGPRS)
	s_endpgm
	.section	.rodata,"a",@progbits
	.p2align	6, 0x0
	.amdhsa_kernel _ZN9rocsparseL21csr2bsr_65_inf_kernelILj32EdilEEv20rocsparse_direction_T2_S2_S2_S2_S2_S2_21rocsparse_index_base_PKT0_PKT1_PKS2_S3_PS4_PS7_PS2_SD_SE_SC_
		.amdhsa_group_segment_fixed_size 0
		.amdhsa_private_segment_fixed_size 0
		.amdhsa_kernarg_size 144
		.amdhsa_user_sgpr_count 15
		.amdhsa_user_sgpr_dispatch_ptr 0
		.amdhsa_user_sgpr_queue_ptr 0
		.amdhsa_user_sgpr_kernarg_segment_ptr 1
		.amdhsa_user_sgpr_dispatch_id 0
		.amdhsa_user_sgpr_private_segment_size 0
		.amdhsa_wavefront_size32 1
		.amdhsa_uses_dynamic_stack 0
		.amdhsa_enable_private_segment 0
		.amdhsa_system_sgpr_workgroup_id_x 1
		.amdhsa_system_sgpr_workgroup_id_y 0
		.amdhsa_system_sgpr_workgroup_id_z 0
		.amdhsa_system_sgpr_workgroup_info 0
		.amdhsa_system_vgpr_workitem_id 0
		.amdhsa_next_free_vgpr 52
		.amdhsa_next_free_sgpr 37
		.amdhsa_reserve_vcc 1
		.amdhsa_float_round_mode_32 0
		.amdhsa_float_round_mode_16_64 0
		.amdhsa_float_denorm_mode_32 3
		.amdhsa_float_denorm_mode_16_64 3
		.amdhsa_dx10_clamp 1
		.amdhsa_ieee_mode 1
		.amdhsa_fp16_overflow 0
		.amdhsa_workgroup_processor_mode 1
		.amdhsa_memory_ordered 1
		.amdhsa_forward_progress 0
		.amdhsa_shared_vgpr_count 0
		.amdhsa_exception_fp_ieee_invalid_op 0
		.amdhsa_exception_fp_denorm_src 0
		.amdhsa_exception_fp_ieee_div_zero 0
		.amdhsa_exception_fp_ieee_overflow 0
		.amdhsa_exception_fp_ieee_underflow 0
		.amdhsa_exception_fp_ieee_inexact 0
		.amdhsa_exception_int_div_zero 0
	.end_amdhsa_kernel
	.section	.text._ZN9rocsparseL21csr2bsr_65_inf_kernelILj32EdilEEv20rocsparse_direction_T2_S2_S2_S2_S2_S2_21rocsparse_index_base_PKT0_PKT1_PKS2_S3_PS4_PS7_PS2_SD_SE_SC_,"axG",@progbits,_ZN9rocsparseL21csr2bsr_65_inf_kernelILj32EdilEEv20rocsparse_direction_T2_S2_S2_S2_S2_S2_21rocsparse_index_base_PKT0_PKT1_PKS2_S3_PS4_PS7_PS2_SD_SE_SC_,comdat
.Lfunc_end134:
	.size	_ZN9rocsparseL21csr2bsr_65_inf_kernelILj32EdilEEv20rocsparse_direction_T2_S2_S2_S2_S2_S2_21rocsparse_index_base_PKT0_PKT1_PKS2_S3_PS4_PS7_PS2_SD_SE_SC_, .Lfunc_end134-_ZN9rocsparseL21csr2bsr_65_inf_kernelILj32EdilEEv20rocsparse_direction_T2_S2_S2_S2_S2_S2_21rocsparse_index_base_PKT0_PKT1_PKS2_S3_PS4_PS7_PS2_SD_SE_SC_
                                        ; -- End function
	.section	.AMDGPU.csdata,"",@progbits
; Kernel info:
; codeLenInByte = 6356
; NumSgprs: 39
; NumVgprs: 52
; ScratchSize: 0
; MemoryBound: 0
; FloatMode: 240
; IeeeMode: 1
; LDSByteSize: 0 bytes/workgroup (compile time only)
; SGPRBlocks: 4
; VGPRBlocks: 6
; NumSGPRsForWavesPerEU: 39
; NumVGPRsForWavesPerEU: 52
; Occupancy: 16
; WaveLimiterHint : 1
; COMPUTE_PGM_RSRC2:SCRATCH_EN: 0
; COMPUTE_PGM_RSRC2:USER_SGPR: 15
; COMPUTE_PGM_RSRC2:TRAP_HANDLER: 0
; COMPUTE_PGM_RSRC2:TGID_X_EN: 1
; COMPUTE_PGM_RSRC2:TGID_Y_EN: 0
; COMPUTE_PGM_RSRC2:TGID_Z_EN: 0
; COMPUTE_PGM_RSRC2:TIDIG_COMP_CNT: 0
	.section	.text._ZN9rocsparseL35csr2bsr_block_dim_equals_one_kernelILj256EdllEEvT2_S1_S1_S1_21rocsparse_index_base_PKT0_PKT1_PKS1_S2_PS3_PS6_PS1_,"axG",@progbits,_ZN9rocsparseL35csr2bsr_block_dim_equals_one_kernelILj256EdllEEvT2_S1_S1_S1_21rocsparse_index_base_PKT0_PKT1_PKS1_S2_PS3_PS6_PS1_,comdat
	.globl	_ZN9rocsparseL35csr2bsr_block_dim_equals_one_kernelILj256EdllEEvT2_S1_S1_S1_21rocsparse_index_base_PKT0_PKT1_PKS1_S2_PS3_PS6_PS1_ ; -- Begin function _ZN9rocsparseL35csr2bsr_block_dim_equals_one_kernelILj256EdllEEvT2_S1_S1_S1_21rocsparse_index_base_PKT0_PKT1_PKS1_S2_PS3_PS6_PS1_
	.p2align	8
	.type	_ZN9rocsparseL35csr2bsr_block_dim_equals_one_kernelILj256EdllEEvT2_S1_S1_S1_21rocsparse_index_base_PKT0_PKT1_PKS1_S2_PS3_PS6_PS1_,@function
_ZN9rocsparseL35csr2bsr_block_dim_equals_one_kernelILj256EdllEEvT2_S1_S1_S1_21rocsparse_index_base_PKT0_PKT1_PKS1_S2_PS3_PS6_PS1_: ; @_ZN9rocsparseL35csr2bsr_block_dim_equals_one_kernelILj256EdllEEvT2_S1_S1_S1_21rocsparse_index_base_PKT0_PKT1_PKS1_S2_PS3_PS6_PS1_
; %bb.0:
	s_clause 0x1
	s_load_b64 s[2:3], s[0:1], 0x0
	s_load_b128 s[4:7], s[0:1], 0x28
	v_lshl_or_b32 v0, s15, 8, v0
	v_mov_b32_e32 v1, 0
	s_waitcnt lgkmcnt(0)
	s_lshl_b64 s[2:3], s[2:3], 3
	s_delay_alu instid0(SALU_CYCLE_1)
	s_add_u32 s2, s6, s2
	s_addc_u32 s3, s7, s3
	s_clause 0x1
	s_load_b64 s[2:3], s[2:3], 0x0
	s_load_b64 s[6:7], s[6:7], 0x0
	s_waitcnt lgkmcnt(0)
	s_sub_u32 s2, s2, s6
	s_subb_u32 s3, s3, s7
	s_mov_b32 s6, exec_lo
	v_cmpx_gt_i64_e64 s[2:3], v[0:1]
	s_cbranch_execz .LBB135_3
; %bb.1:
	s_clause 0x5
	s_load_b32 s12, s[0:1], 0x40
	s_load_b64 s[6:7], s[0:1], 0x48
	s_load_b32 s14, s[0:1], 0x20
	s_load_b32 s15, s[0:1], 0x60
	s_load_b64 s[8:9], s[0:1], 0x38
	s_load_b64 s[10:11], s[0:1], 0x58
	v_lshlrev_b64 v[2:3], 3, v[0:1]
	s_mov_b32 s13, 0
	s_waitcnt lgkmcnt(0)
	s_sub_u32 s16, s12, s14
	s_subb_u32 s17, 0, 0
	s_lshl_b32 s12, s15, 8
	s_delay_alu instid0(SALU_CYCLE_1)
	s_lshl_b64 s[14:15], s[12:13], 3
	s_set_inst_prefetch_distance 0x1
	.p2align	6
.LBB135_2:                              ; =>This Inner Loop Header: Depth=1
	v_add_co_u32 v4, vcc_lo, s8, v2
	v_add_co_ci_u32_e32 v5, vcc_lo, s9, v3, vcc_lo
	v_add_co_u32 v6, vcc_lo, s4, v2
	v_add_co_ci_u32_e32 v7, vcc_lo, s5, v3, vcc_lo
	v_add_co_u32 v8, vcc_lo, s10, v2
	global_load_b64 v[4:5], v[4:5], off
	global_load_b64 v[6:7], v[6:7], off
	v_add_co_ci_u32_e32 v9, vcc_lo, s11, v3, vcc_lo
	v_add_co_u32 v0, vcc_lo, v0, s12
	v_add_co_ci_u32_e32 v1, vcc_lo, 0, v1, vcc_lo
	v_add_co_u32 v10, vcc_lo, s6, v2
	v_add_co_ci_u32_e32 v11, vcc_lo, s7, v3, vcc_lo
	s_delay_alu instid0(VALU_DEP_3) | instskip(SKIP_2) | instid1(VALU_DEP_3)
	v_cmp_le_i64_e64 s0, s[2:3], v[0:1]
	v_add_co_u32 v2, vcc_lo, v2, s14
	v_add_co_ci_u32_e32 v3, vcc_lo, s15, v3, vcc_lo
	s_or_b32 s13, s0, s13
	s_waitcnt vmcnt(1)
	v_add_co_u32 v4, s1, s16, v4
	s_delay_alu instid0(VALU_DEP_1)
	v_add_co_ci_u32_e64 v5, s1, s17, v5, s1
	s_waitcnt vmcnt(0)
	global_store_b64 v[10:11], v[6:7], off
	global_store_b64 v[8:9], v[4:5], off
	s_and_not1_b32 exec_lo, exec_lo, s13
	s_cbranch_execnz .LBB135_2
.LBB135_3:
	s_set_inst_prefetch_distance 0x2
	s_nop 0
	s_sendmsg sendmsg(MSG_DEALLOC_VGPRS)
	s_endpgm
	.section	.rodata,"a",@progbits
	.p2align	6, 0x0
	.amdhsa_kernel _ZN9rocsparseL35csr2bsr_block_dim_equals_one_kernelILj256EdllEEvT2_S1_S1_S1_21rocsparse_index_base_PKT0_PKT1_PKS1_S2_PS3_PS6_PS1_
		.amdhsa_group_segment_fixed_size 0
		.amdhsa_private_segment_fixed_size 0
		.amdhsa_kernarg_size 352
		.amdhsa_user_sgpr_count 15
		.amdhsa_user_sgpr_dispatch_ptr 0
		.amdhsa_user_sgpr_queue_ptr 0
		.amdhsa_user_sgpr_kernarg_segment_ptr 1
		.amdhsa_user_sgpr_dispatch_id 0
		.amdhsa_user_sgpr_private_segment_size 0
		.amdhsa_wavefront_size32 1
		.amdhsa_uses_dynamic_stack 0
		.amdhsa_enable_private_segment 0
		.amdhsa_system_sgpr_workgroup_id_x 1
		.amdhsa_system_sgpr_workgroup_id_y 0
		.amdhsa_system_sgpr_workgroup_id_z 0
		.amdhsa_system_sgpr_workgroup_info 0
		.amdhsa_system_vgpr_workitem_id 0
		.amdhsa_next_free_vgpr 12
		.amdhsa_next_free_sgpr 18
		.amdhsa_reserve_vcc 1
		.amdhsa_float_round_mode_32 0
		.amdhsa_float_round_mode_16_64 0
		.amdhsa_float_denorm_mode_32 3
		.amdhsa_float_denorm_mode_16_64 3
		.amdhsa_dx10_clamp 1
		.amdhsa_ieee_mode 1
		.amdhsa_fp16_overflow 0
		.amdhsa_workgroup_processor_mode 1
		.amdhsa_memory_ordered 1
		.amdhsa_forward_progress 0
		.amdhsa_shared_vgpr_count 0
		.amdhsa_exception_fp_ieee_invalid_op 0
		.amdhsa_exception_fp_denorm_src 0
		.amdhsa_exception_fp_ieee_div_zero 0
		.amdhsa_exception_fp_ieee_overflow 0
		.amdhsa_exception_fp_ieee_underflow 0
		.amdhsa_exception_fp_ieee_inexact 0
		.amdhsa_exception_int_div_zero 0
	.end_amdhsa_kernel
	.section	.text._ZN9rocsparseL35csr2bsr_block_dim_equals_one_kernelILj256EdllEEvT2_S1_S1_S1_21rocsparse_index_base_PKT0_PKT1_PKS1_S2_PS3_PS6_PS1_,"axG",@progbits,_ZN9rocsparseL35csr2bsr_block_dim_equals_one_kernelILj256EdllEEvT2_S1_S1_S1_21rocsparse_index_base_PKT0_PKT1_PKS1_S2_PS3_PS6_PS1_,comdat
.Lfunc_end135:
	.size	_ZN9rocsparseL35csr2bsr_block_dim_equals_one_kernelILj256EdllEEvT2_S1_S1_S1_21rocsparse_index_base_PKT0_PKT1_PKS1_S2_PS3_PS6_PS1_, .Lfunc_end135-_ZN9rocsparseL35csr2bsr_block_dim_equals_one_kernelILj256EdllEEvT2_S1_S1_S1_21rocsparse_index_base_PKT0_PKT1_PKS1_S2_PS3_PS6_PS1_
                                        ; -- End function
	.section	.AMDGPU.csdata,"",@progbits
; Kernel info:
; codeLenInByte = 364
; NumSgprs: 20
; NumVgprs: 12
; ScratchSize: 0
; MemoryBound: 0
; FloatMode: 240
; IeeeMode: 1
; LDSByteSize: 0 bytes/workgroup (compile time only)
; SGPRBlocks: 2
; VGPRBlocks: 1
; NumSGPRsForWavesPerEU: 20
; NumVGPRsForWavesPerEU: 12
; Occupancy: 16
; WaveLimiterHint : 0
; COMPUTE_PGM_RSRC2:SCRATCH_EN: 0
; COMPUTE_PGM_RSRC2:USER_SGPR: 15
; COMPUTE_PGM_RSRC2:TRAP_HANDLER: 0
; COMPUTE_PGM_RSRC2:TGID_X_EN: 1
; COMPUTE_PGM_RSRC2:TGID_Y_EN: 0
; COMPUTE_PGM_RSRC2:TGID_Z_EN: 0
; COMPUTE_PGM_RSRC2:TIDIG_COMP_CNT: 0
	.section	.text._ZN9rocsparseL42csr2bsr_wavefront_per_row_multipass_kernelILj256ELj16ELj4EdllEEv20rocsparse_direction_T4_S2_S2_S2_S2_21rocsparse_index_base_PKT2_PKT3_PKS2_S3_PS4_PS7_PS2_,"axG",@progbits,_ZN9rocsparseL42csr2bsr_wavefront_per_row_multipass_kernelILj256ELj16ELj4EdllEEv20rocsparse_direction_T4_S2_S2_S2_S2_21rocsparse_index_base_PKT2_PKT3_PKS2_S3_PS4_PS7_PS2_,comdat
	.globl	_ZN9rocsparseL42csr2bsr_wavefront_per_row_multipass_kernelILj256ELj16ELj4EdllEEv20rocsparse_direction_T4_S2_S2_S2_S2_21rocsparse_index_base_PKT2_PKT3_PKS2_S3_PS4_PS7_PS2_ ; -- Begin function _ZN9rocsparseL42csr2bsr_wavefront_per_row_multipass_kernelILj256ELj16ELj4EdllEEv20rocsparse_direction_T4_S2_S2_S2_S2_21rocsparse_index_base_PKT2_PKT3_PKS2_S3_PS4_PS7_PS2_
	.p2align	8
	.type	_ZN9rocsparseL42csr2bsr_wavefront_per_row_multipass_kernelILj256ELj16ELj4EdllEEv20rocsparse_direction_T4_S2_S2_S2_S2_21rocsparse_index_base_PKT2_PKT3_PKS2_S3_PS4_PS7_PS2_,@function
_ZN9rocsparseL42csr2bsr_wavefront_per_row_multipass_kernelILj256ELj16ELj4EdllEEv20rocsparse_direction_T4_S2_S2_S2_S2_21rocsparse_index_base_PKT2_PKT3_PKS2_S3_PS4_PS7_PS2_: ; @_ZN9rocsparseL42csr2bsr_wavefront_per_row_multipass_kernelILj256ELj16ELj4EdllEEv20rocsparse_direction_T4_S2_S2_S2_S2_21rocsparse_index_base_PKT2_PKT3_PKS2_S3_PS4_PS7_PS2_
; %bb.0:
	s_load_b64 s[8:9], s[0:1], 0x28
	v_lshrrev_b32_e32 v26, 4, v0
	s_mov_b32 s10, s15
	s_ashr_i32 s11, s15, 31
	s_clause 0x1
	s_load_b64 s[14:15], s[0:1], 0x8
	s_load_b128 s[4:7], s[0:1], 0x18
	s_lshl_b64 s[2:3], s[10:11], 4
	v_mov_b32_e32 v9, 0
	v_or_b32_e32 v1, s2, v26
	v_bfe_u32 v8, v0, 2, 2
	s_clause 0x1
	s_load_b32 s16, s[0:1], 0x30
	s_load_b64 s[12:13], s[0:1], 0x40
	s_waitcnt lgkmcnt(0)
	v_mul_lo_u32 v2, v1, s9
	v_mad_u64_u32 v[3:4], null, v1, s8, v[8:9]
	s_mul_i32 s2, s3, s8
	s_delay_alu instid0(VALU_DEP_1) | instid1(SALU_CYCLE_1)
	v_add3_u32 v4, s2, v4, v2
	v_mov_b32_e32 v1, 0
	v_mov_b32_e32 v2, 0
	v_cmp_gt_i64_e64 s2, s[8:9], v[8:9]
	s_delay_alu instid0(VALU_DEP_4) | instskip(NEXT) | instid1(VALU_DEP_3)
	v_cmp_gt_i64_e32 vcc_lo, s[14:15], v[3:4]
	v_dual_mov_b32 v16, v2 :: v_dual_mov_b32 v15, v1
	s_delay_alu instid0(VALU_DEP_3) | instskip(NEXT) | instid1(SALU_CYCLE_1)
	s_and_b32 s3, s2, vcc_lo
	s_and_saveexec_b32 s11, s3
	s_cbranch_execz .LBB136_2
; %bb.1:
	v_lshlrev_b64 v[5:6], 3, v[3:4]
	s_delay_alu instid0(VALU_DEP_1) | instskip(NEXT) | instid1(VALU_DEP_2)
	v_add_co_u32 v5, vcc_lo, s12, v5
	v_add_co_ci_u32_e32 v6, vcc_lo, s13, v6, vcc_lo
	global_load_b64 v[5:6], v[5:6], off
	s_waitcnt vmcnt(0)
	v_sub_co_u32 v15, vcc_lo, v5, s16
	v_subrev_co_ci_u32_e32 v16, vcc_lo, 0, v6, vcc_lo
.LBB136_2:
	s_or_b32 exec_lo, exec_lo, s11
	s_and_saveexec_b32 s11, s3
	s_cbranch_execz .LBB136_4
; %bb.3:
	v_lshlrev_b64 v[1:2], 3, v[3:4]
	s_delay_alu instid0(VALU_DEP_1) | instskip(NEXT) | instid1(VALU_DEP_2)
	v_add_co_u32 v1, vcc_lo, s12, v1
	v_add_co_ci_u32_e32 v2, vcc_lo, s13, v2, vcc_lo
	global_load_b64 v[1:2], v[1:2], off offset:8
	s_waitcnt vmcnt(0)
	v_sub_co_u32 v1, vcc_lo, v1, s16
	v_subrev_co_ci_u32_e32 v2, vcc_lo, 0, v2, vcc_lo
.LBB136_4:
	s_or_b32 exec_lo, exec_lo, s11
	s_load_b32 s17, s[0:1], 0x50
	v_dual_mov_b32 v6, 0 :: v_dual_mov_b32 v3, 0
	v_lshl_or_b32 v5, s10, 4, v26
	v_mov_b32_e32 v4, 0
	s_mov_b32 s3, exec_lo
	s_delay_alu instid0(VALU_DEP_2)
	v_cmpx_gt_i64_e64 s[4:5], v[5:6]
	s_cbranch_execz .LBB136_6
; %bb.5:
	s_load_b64 s[4:5], s[0:1], 0x60
	v_lshlrev_b64 v[3:4], 3, v[5:6]
	s_waitcnt lgkmcnt(0)
	s_delay_alu instid0(VALU_DEP_1) | instskip(NEXT) | instid1(VALU_DEP_2)
	v_add_co_u32 v3, vcc_lo, s4, v3
	v_add_co_ci_u32_e32 v4, vcc_lo, s5, v4, vcc_lo
	global_load_b64 v[3:4], v[3:4], off
	s_waitcnt vmcnt(0)
	v_sub_co_u32 v3, vcc_lo, v3, s17
	v_subrev_co_ci_u32_e32 v4, vcc_lo, 0, v4, vcc_lo
.LBB136_6:
	s_or_b32 exec_lo, exec_lo, s3
	v_cmp_lt_i64_e64 s3, s[6:7], 1
	s_delay_alu instid0(VALU_DEP_1)
	s_and_b32 vcc_lo, exec_lo, s3
	s_cbranch_vccnz .LBB136_25
; %bb.7:
	v_dual_mov_b32 v7, 0 :: v_dual_and_b32 v6, 0x3f0, v0
	v_mbcnt_lo_u32_b32 v17, -1, 0
	v_and_b32_e32 v5, 3, v0
	s_load_b64 s[4:5], s[0:1], 0x68
	s_delay_alu instid0(VALU_DEP_3)
	v_lshl_or_b32 v0, v8, 2, v6
	v_mov_b32_e32 v6, v7
	v_xor_b32_e32 v13, 2, v17
	v_xor_b32_e32 v18, 1, v17
	v_mad_u64_u32 v[9:10], null, v5, s8, 0
	v_or_b32_e32 v11, v0, v5
	s_delay_alu instid0(VALU_DEP_4)
	v_cmp_gt_i32_e32 vcc_lo, 32, v13
	s_clause 0x3
	s_load_b64 s[14:15], s[0:1], 0x58
	s_load_b64 s[10:11], s[0:1], 0x48
	;; [unrolled: 1-line block ×3, first 2 shown]
	s_load_b32 s0, s[0:1], 0x0
	s_mov_b32 s1, 0
	s_mul_i32 s20, s8, s8
	v_mov_b32_e32 v35, 1
	v_cndmask_b32_e32 v19, v17, v13, vcc_lo
	v_cmp_gt_i32_e32 vcc_lo, 32, v18
	v_lshlrev_b32_e32 v27, 3, v11
	v_mad_u64_u32 v[11:12], null, v8, s8, 0
	s_delay_alu instid0(VALU_DEP_1) | instskip(SKIP_3) | instid1(VALU_DEP_3)
	v_mad_u64_u32 v[13:14], null, v5, s9, v[10:11]
	v_cndmask_b32_e32 v10, v17, v18, vcc_lo
	v_cmp_gt_i64_e32 vcc_lo, s[8:9], v[5:6]
	v_lshlrev_b32_e32 v18, 3, v8
	v_lshlrev_b32_e32 v6, 2, v10
	v_mov_b32_e32 v10, v13
	v_mad_u64_u32 v[13:14], null, v8, s9, v[12:13]
	s_and_b32 s18, s2, vcc_lo
	v_lshlrev_b32_e32 v14, 2, v17
	s_delay_alu instid0(VALU_DEP_3)
	v_lshlrev_b64 v[9:10], 3, v[9:10]
	s_waitcnt lgkmcnt(0)
	s_cmp_eq_u32 s0, 0
	s_mul_i32 s0, s8, s9
	s_mul_hi_u32 s2, s8, s8
	v_mov_b32_e32 v12, v13
	v_add_co_u32 v13, vcc_lo, s14, v9
	v_add_co_ci_u32_e32 v10, vcc_lo, s15, v10, vcc_lo
	s_delay_alu instid0(VALU_DEP_3) | instskip(NEXT) | instid1(VALU_DEP_3)
	v_lshlrev_b64 v[8:9], 3, v[11:12]
	v_add_co_u32 v11, vcc_lo, v13, v18
	s_delay_alu instid0(VALU_DEP_3) | instskip(SKIP_1) | instid1(VALU_DEP_4)
	v_add_co_ci_u32_e32 v10, vcc_lo, 0, v10, vcc_lo
	v_lshlrev_b32_e32 v12, 3, v5
	v_add_co_u32 v8, vcc_lo, s14, v8
	v_add_co_ci_u32_e32 v9, vcc_lo, s15, v9, vcc_lo
	v_xor_b32_e32 v13, 8, v17
	s_delay_alu instid0(VALU_DEP_3) | instskip(NEXT) | instid1(VALU_DEP_3)
	v_add_co_u32 v8, vcc_lo, v8, v12
	v_add_co_ci_u32_e32 v9, vcc_lo, 0, v9, vcc_lo
	v_xor_b32_e32 v18, 4, v17
	s_delay_alu instid0(VALU_DEP_4) | instskip(SKIP_1) | instid1(VALU_DEP_3)
	v_cmp_gt_i32_e32 vcc_lo, 32, v13
	v_cndmask_b32_e32 v12, v17, v13, vcc_lo
	v_cmp_gt_i32_e32 vcc_lo, 32, v18
	v_lshlrev_b32_e32 v28, 2, v19
	s_delay_alu instid0(VALU_DEP_3)
	v_dual_cndmask_b32 v13, v17, v18 :: v_dual_lshlrev_b32 v30, 2, v12
	s_cselect_b32 vcc_lo, -1, 0
	s_add_i32 s2, s2, s0
	v_dual_cndmask_b32 v34, v11, v8 :: v_dual_mov_b32 v11, 0
	v_or_b32_e32 v29, 12, v14
	v_lshlrev_b32_e32 v31, 2, v13
	v_or_b32_e32 v32, 60, v14
	v_dual_cndmask_b32 v33, v10, v9 :: v_dual_mov_b32 v12, 0
	v_dual_mov_b32 v9, 0 :: v_dual_mov_b32 v10, v7
	s_add_i32 s19, s2, s0
	s_ashr_i32 s2, s9, 31
	s_sub_i32 s21, 0, s8
	s_branch .LBB136_10
.LBB136_8:                              ;   in Loop: Header=BB136_10 Depth=1
	s_or_b32 exec_lo, exec_lo, s3
	v_mov_b32_e32 v17, 1
	v_mov_b32_e32 v18, 0
.LBB136_9:                              ;   in Loop: Header=BB136_10 Depth=1
	s_or_b32 exec_lo, exec_lo, s0
	ds_bpermute_b32 v11, v30, v13
	ds_bpermute_b32 v12, v30, v14
	v_add_co_u32 v3, s0, v17, v3
	s_delay_alu instid0(VALU_DEP_1)
	v_add_co_ci_u32_e64 v4, s0, v18, v4, s0
	s_waitcnt lgkmcnt(0)
	s_waitcnt_vscnt null, 0x0
	buffer_gl0_inv
	buffer_gl0_inv
	v_cmp_lt_i64_e32 vcc_lo, v[11:12], v[13:14]
	v_dual_cndmask_b32 v12, v14, v12 :: v_dual_cndmask_b32 v11, v13, v11
	ds_bpermute_b32 v14, v31, v12
	ds_bpermute_b32 v13, v31, v11
	s_waitcnt lgkmcnt(0)
	v_cmp_lt_i64_e32 vcc_lo, v[13:14], v[11:12]
	v_dual_cndmask_b32 v12, v12, v14 :: v_dual_cndmask_b32 v11, v11, v13
	ds_bpermute_b32 v14, v28, v12
	ds_bpermute_b32 v13, v28, v11
	s_waitcnt lgkmcnt(0)
	;; [unrolled: 5-line block ×4, first 2 shown]
	v_cmp_le_i64_e32 vcc_lo, s[6:7], v[11:12]
	s_or_b32 s1, vcc_lo, s1
	s_delay_alu instid0(SALU_CYCLE_1)
	s_and_not1_b32 exec_lo, exec_lo, s1
	s_cbranch_execz .LBB136_25
.LBB136_10:                             ; =>This Loop Header: Depth=1
                                        ;     Child Loop BB136_13 Depth 2
	v_add_co_u32 v15, vcc_lo, v15, v5
	v_add_co_ci_u32_e32 v16, vcc_lo, 0, v16, vcc_lo
	v_dual_mov_b32 v14, s7 :: v_dual_mov_b32 v13, s6
	v_dual_mov_b32 v25, v2 :: v_dual_mov_b32 v24, v1
	s_mov_b32 s22, exec_lo
	ds_store_b8 v26, v7 offset:2048
	ds_store_b64 v27, v[9:10]
	s_waitcnt lgkmcnt(0)
	buffer_gl0_inv
	v_cmpx_lt_i64_e64 v[15:16], v[1:2]
	s_cbranch_execz .LBB136_22
; %bb.11:                               ;   in Loop: Header=BB136_10 Depth=1
	v_lshlrev_b64 v[13:14], 3, v[15:16]
	v_mad_u64_u32 v[17:18], null, v11, s8, 0
	v_dual_mov_b32 v23, v2 :: v_dual_mov_b32 v22, v1
	s_mov_b32 s23, 0
	s_delay_alu instid0(VALU_DEP_3) | instskip(NEXT) | instid1(VALU_DEP_4)
	v_add_co_u32 v18, vcc_lo, s12, v13
	v_add_co_ci_u32_e32 v19, vcc_lo, s13, v14, vcc_lo
	v_add_co_u32 v20, vcc_lo, s10, v13
	v_add_co_ci_u32_e32 v21, vcc_lo, s11, v14, vcc_lo
	v_dual_mov_b32 v14, s7 :: v_dual_mov_b32 v13, s6
	s_branch .LBB136_13
.LBB136_12:                             ;   in Loop: Header=BB136_13 Depth=2
	s_or_b32 exec_lo, exec_lo, s0
	v_add_co_u32 v15, s0, v15, 4
	s_delay_alu instid0(VALU_DEP_1) | instskip(SKIP_2) | instid1(VALU_DEP_2)
	v_add_co_ci_u32_e64 v16, s0, 0, v16, s0
	s_xor_b32 s3, vcc_lo, -1
	v_add_co_u32 v18, vcc_lo, v18, 32
	v_cmp_ge_i64_e64 s0, v[15:16], v[1:2]
	v_add_co_ci_u32_e32 v19, vcc_lo, 0, v19, vcc_lo
	v_add_co_u32 v20, vcc_lo, v20, 32
	v_add_co_ci_u32_e32 v21, vcc_lo, 0, v21, vcc_lo
	s_delay_alu instid0(VALU_DEP_4) | instskip(SKIP_2) | instid1(SALU_CYCLE_1)
	s_or_b32 s0, s3, s0
	v_dual_mov_b32 v22, v24 :: v_dual_mov_b32 v23, v25
	s_and_b32 s0, exec_lo, s0
	s_or_b32 s23, s0, s23
	s_delay_alu instid0(SALU_CYCLE_1)
	s_and_not1_b32 exec_lo, exec_lo, s23
	s_cbranch_execz .LBB136_21
.LBB136_13:                             ;   Parent Loop BB136_10 Depth=1
                                        ; =>  This Inner Loop Header: Depth=2
	global_load_b64 v[24:25], v[20:21], off
	s_mov_b32 s0, exec_lo
	s_waitcnt vmcnt(0)
	v_sub_co_u32 v36, vcc_lo, v24, s16
	v_subrev_co_ci_u32_e32 v37, vcc_lo, 0, v25, vcc_lo
                                        ; implicit-def: $vgpr24_vgpr25
	s_delay_alu instid0(VALU_DEP_1) | instskip(NEXT) | instid1(VALU_DEP_1)
	v_or_b32_e32 v8, s9, v37
	v_cmpx_ne_u64_e32 0, v[7:8]
	s_xor_b32 s24, exec_lo, s0
	s_cbranch_execz .LBB136_15
; %bb.14:                               ;   in Loop: Header=BB136_13 Depth=2
	s_add_u32 s14, s8, s2
	s_mov_b32 s3, s2
	s_addc_u32 s15, s9, s2
	s_delay_alu instid0(SALU_CYCLE_1) | instskip(NEXT) | instid1(SALU_CYCLE_1)
	s_xor_b64 s[14:15], s[14:15], s[2:3]
	v_cvt_f32_u32_e32 v8, s14
	v_cvt_f32_u32_e32 v24, s15
	s_sub_u32 s0, 0, s14
	s_subb_u32 s3, 0, s15
	s_delay_alu instid0(VALU_DEP_1) | instskip(NEXT) | instid1(VALU_DEP_1)
	v_fmac_f32_e32 v8, 0x4f800000, v24
	v_rcp_f32_e32 v8, v8
	s_waitcnt_depctr 0xfff
	v_mul_f32_e32 v8, 0x5f7ffffc, v8
	s_delay_alu instid0(VALU_DEP_1) | instskip(NEXT) | instid1(VALU_DEP_1)
	v_mul_f32_e32 v24, 0x2f800000, v8
	v_trunc_f32_e32 v24, v24
	s_delay_alu instid0(VALU_DEP_1) | instskip(SKIP_1) | instid1(VALU_DEP_2)
	v_fmac_f32_e32 v8, 0xcf800000, v24
	v_cvt_u32_f32_e32 v24, v24
	v_cvt_u32_f32_e32 v8, v8
	s_delay_alu instid0(VALU_DEP_2) | instskip(NEXT) | instid1(VALU_DEP_2)
	v_mul_lo_u32 v25, s0, v24
	v_mul_hi_u32 v38, s0, v8
	v_mul_lo_u32 v39, s3, v8
	s_delay_alu instid0(VALU_DEP_2) | instskip(SKIP_1) | instid1(VALU_DEP_2)
	v_add_nc_u32_e32 v25, v38, v25
	v_mul_lo_u32 v38, s0, v8
	v_add_nc_u32_e32 v25, v25, v39
	s_delay_alu instid0(VALU_DEP_2) | instskip(NEXT) | instid1(VALU_DEP_2)
	v_mul_hi_u32 v39, v8, v38
	v_mul_lo_u32 v40, v8, v25
	v_mul_hi_u32 v41, v8, v25
	v_mul_hi_u32 v42, v24, v38
	v_mul_lo_u32 v38, v24, v38
	v_mul_hi_u32 v43, v24, v25
	v_mul_lo_u32 v25, v24, v25
	v_add_co_u32 v39, vcc_lo, v39, v40
	v_add_co_ci_u32_e32 v40, vcc_lo, 0, v41, vcc_lo
	s_delay_alu instid0(VALU_DEP_2) | instskip(NEXT) | instid1(VALU_DEP_2)
	v_add_co_u32 v38, vcc_lo, v39, v38
	v_add_co_ci_u32_e32 v38, vcc_lo, v40, v42, vcc_lo
	v_add_co_ci_u32_e32 v39, vcc_lo, 0, v43, vcc_lo
	v_ashrrev_i32_e32 v42, 31, v37
	s_delay_alu instid0(VALU_DEP_3) | instskip(NEXT) | instid1(VALU_DEP_3)
	v_add_co_u32 v25, vcc_lo, v38, v25
	v_add_co_ci_u32_e32 v38, vcc_lo, 0, v39, vcc_lo
	s_delay_alu instid0(VALU_DEP_2) | instskip(NEXT) | instid1(VALU_DEP_2)
	v_add_co_u32 v8, vcc_lo, v8, v25
	v_add_co_ci_u32_e32 v24, vcc_lo, v24, v38, vcc_lo
	s_delay_alu instid0(VALU_DEP_2) | instskip(SKIP_1) | instid1(VALU_DEP_3)
	v_mul_hi_u32 v25, s0, v8
	v_mul_lo_u32 v39, s3, v8
	v_mul_lo_u32 v38, s0, v24
	s_delay_alu instid0(VALU_DEP_1) | instskip(SKIP_1) | instid1(VALU_DEP_2)
	v_add_nc_u32_e32 v25, v25, v38
	v_mul_lo_u32 v38, s0, v8
	v_add_nc_u32_e32 v25, v25, v39
	s_delay_alu instid0(VALU_DEP_2) | instskip(NEXT) | instid1(VALU_DEP_2)
	v_mul_hi_u32 v39, v8, v38
	v_mul_lo_u32 v40, v8, v25
	v_mul_hi_u32 v41, v8, v25
	v_mul_hi_u32 v43, v24, v38
	v_mul_lo_u32 v38, v24, v38
	v_mul_hi_u32 v44, v24, v25
	v_mul_lo_u32 v25, v24, v25
	v_add_co_u32 v39, vcc_lo, v39, v40
	v_add_co_ci_u32_e32 v40, vcc_lo, 0, v41, vcc_lo
	s_delay_alu instid0(VALU_DEP_2) | instskip(NEXT) | instid1(VALU_DEP_2)
	v_add_co_u32 v38, vcc_lo, v39, v38
	v_add_co_ci_u32_e32 v38, vcc_lo, v40, v43, vcc_lo
	v_add_co_ci_u32_e32 v39, vcc_lo, 0, v44, vcc_lo
	v_add_co_u32 v40, vcc_lo, v36, v42
	v_add_co_ci_u32_e32 v37, vcc_lo, v37, v42, vcc_lo
	s_delay_alu instid0(VALU_DEP_4) | instskip(NEXT) | instid1(VALU_DEP_4)
	v_add_co_u32 v25, vcc_lo, v38, v25
	v_add_co_ci_u32_e32 v38, vcc_lo, 0, v39, vcc_lo
	s_delay_alu instid0(VALU_DEP_4) | instskip(NEXT) | instid1(VALU_DEP_3)
	v_xor_b32_e32 v41, v40, v42
	v_add_co_u32 v8, vcc_lo, v8, v25
	s_delay_alu instid0(VALU_DEP_3) | instskip(SKIP_1) | instid1(VALU_DEP_3)
	v_add_co_ci_u32_e32 v43, vcc_lo, v24, v38, vcc_lo
	v_xor_b32_e32 v44, v37, v42
	v_mul_hi_u32 v45, v41, v8
	s_delay_alu instid0(VALU_DEP_3) | instskip(NEXT) | instid1(VALU_DEP_3)
	v_mad_u64_u32 v[24:25], null, v41, v43, 0
	v_mad_u64_u32 v[37:38], null, v44, v8, 0
	;; [unrolled: 1-line block ×3, first 2 shown]
	s_delay_alu instid0(VALU_DEP_3) | instskip(NEXT) | instid1(VALU_DEP_4)
	v_add_co_u32 v8, vcc_lo, v45, v24
	v_add_co_ci_u32_e32 v24, vcc_lo, 0, v25, vcc_lo
	s_delay_alu instid0(VALU_DEP_2) | instskip(NEXT) | instid1(VALU_DEP_2)
	v_add_co_u32 v8, vcc_lo, v8, v37
	v_add_co_ci_u32_e32 v8, vcc_lo, v24, v38, vcc_lo
	v_add_co_ci_u32_e32 v24, vcc_lo, 0, v40, vcc_lo
	s_delay_alu instid0(VALU_DEP_2) | instskip(NEXT) | instid1(VALU_DEP_2)
	v_add_co_u32 v8, vcc_lo, v8, v39
	v_add_co_ci_u32_e32 v37, vcc_lo, 0, v24, vcc_lo
	s_delay_alu instid0(VALU_DEP_2) | instskip(SKIP_1) | instid1(VALU_DEP_3)
	v_mul_lo_u32 v38, s15, v8
	v_mad_u64_u32 v[24:25], null, s14, v8, 0
	v_mul_lo_u32 v39, s14, v37
	s_delay_alu instid0(VALU_DEP_2) | instskip(NEXT) | instid1(VALU_DEP_2)
	v_sub_co_u32 v24, vcc_lo, v41, v24
	v_add3_u32 v25, v25, v39, v38
	s_delay_alu instid0(VALU_DEP_1) | instskip(NEXT) | instid1(VALU_DEP_1)
	v_sub_nc_u32_e32 v38, v44, v25
	v_subrev_co_ci_u32_e64 v38, s0, s15, v38, vcc_lo
	v_add_co_u32 v39, s0, v8, 2
	s_delay_alu instid0(VALU_DEP_1) | instskip(SKIP_3) | instid1(VALU_DEP_3)
	v_add_co_ci_u32_e64 v40, s0, 0, v37, s0
	v_sub_co_u32 v41, s0, v24, s14
	v_sub_co_ci_u32_e32 v25, vcc_lo, v44, v25, vcc_lo
	v_subrev_co_ci_u32_e64 v38, s0, 0, v38, s0
	v_cmp_le_u32_e32 vcc_lo, s14, v41
	s_delay_alu instid0(VALU_DEP_3) | instskip(SKIP_1) | instid1(VALU_DEP_4)
	v_cmp_eq_u32_e64 s0, s15, v25
	v_cndmask_b32_e64 v41, 0, -1, vcc_lo
	v_cmp_le_u32_e32 vcc_lo, s15, v38
	v_cndmask_b32_e64 v43, 0, -1, vcc_lo
	v_cmp_le_u32_e32 vcc_lo, s14, v24
	;; [unrolled: 2-line block ×3, first 2 shown]
	v_cndmask_b32_e64 v44, 0, -1, vcc_lo
	v_cmp_eq_u32_e32 vcc_lo, s15, v38
	s_delay_alu instid0(VALU_DEP_2) | instskip(SKIP_3) | instid1(VALU_DEP_3)
	v_cndmask_b32_e64 v24, v44, v24, s0
	v_cndmask_b32_e32 v38, v43, v41, vcc_lo
	v_add_co_u32 v41, vcc_lo, v8, 1
	v_add_co_ci_u32_e32 v43, vcc_lo, 0, v37, vcc_lo
	v_cmp_ne_u32_e32 vcc_lo, 0, v38
	s_delay_alu instid0(VALU_DEP_2) | instskip(SKIP_2) | instid1(VALU_DEP_3)
	v_dual_cndmask_b32 v25, v43, v40 :: v_dual_cndmask_b32 v38, v41, v39
	v_cmp_ne_u32_e32 vcc_lo, 0, v24
	v_xor_b32_e32 v39, s2, v42
	v_cndmask_b32_e32 v8, v8, v38, vcc_lo
	s_delay_alu instid0(VALU_DEP_4) | instskip(NEXT) | instid1(VALU_DEP_2)
	v_cndmask_b32_e32 v24, v37, v25, vcc_lo
	v_xor_b32_e32 v8, v8, v39
	s_delay_alu instid0(VALU_DEP_2) | instskip(NEXT) | instid1(VALU_DEP_2)
	v_xor_b32_e32 v25, v24, v39
	v_sub_co_u32 v24, vcc_lo, v8, v39
	s_delay_alu instid0(VALU_DEP_2)
	v_sub_co_ci_u32_e32 v25, vcc_lo, v25, v39, vcc_lo
.LBB136_15:                             ;   in Loop: Header=BB136_13 Depth=2
	s_and_not1_saveexec_b32 s0, s24
	s_cbranch_execz .LBB136_17
; %bb.16:                               ;   in Loop: Header=BB136_13 Depth=2
	v_cvt_f32_u32_e32 v8, s8
	s_delay_alu instid0(VALU_DEP_1) | instskip(SKIP_2) | instid1(VALU_DEP_1)
	v_rcp_iflag_f32_e32 v8, v8
	s_waitcnt_depctr 0xfff
	v_mul_f32_e32 v8, 0x4f7ffffe, v8
	v_cvt_u32_f32_e32 v8, v8
	s_delay_alu instid0(VALU_DEP_1) | instskip(NEXT) | instid1(VALU_DEP_1)
	v_mul_lo_u32 v24, s21, v8
	v_mul_hi_u32 v24, v8, v24
	s_delay_alu instid0(VALU_DEP_1) | instskip(NEXT) | instid1(VALU_DEP_1)
	v_add_nc_u32_e32 v8, v8, v24
	v_mul_hi_u32 v8, v36, v8
	s_delay_alu instid0(VALU_DEP_1) | instskip(NEXT) | instid1(VALU_DEP_1)
	v_mul_lo_u32 v24, v8, s8
	v_sub_nc_u32_e32 v24, v36, v24
	s_delay_alu instid0(VALU_DEP_1) | instskip(SKIP_1) | instid1(VALU_DEP_2)
	v_subrev_nc_u32_e32 v37, s8, v24
	v_cmp_le_u32_e32 vcc_lo, s8, v24
	v_dual_cndmask_b32 v24, v24, v37 :: v_dual_add_nc_u32 v25, 1, v8
	s_delay_alu instid0(VALU_DEP_1) | instskip(NEXT) | instid1(VALU_DEP_2)
	v_cndmask_b32_e32 v8, v8, v25, vcc_lo
	v_cmp_le_u32_e32 vcc_lo, s8, v24
	s_delay_alu instid0(VALU_DEP_2) | instskip(NEXT) | instid1(VALU_DEP_1)
	v_add_nc_u32_e32 v25, 1, v8
	v_dual_cndmask_b32 v24, v8, v25 :: v_dual_mov_b32 v25, v7
.LBB136_17:                             ;   in Loop: Header=BB136_13 Depth=2
	s_or_b32 exec_lo, exec_lo, s0
	s_delay_alu instid0(VALU_DEP_1)
	v_cmp_eq_u64_e32 vcc_lo, v[24:25], v[11:12]
	s_mov_b32 s3, exec_lo
	v_cmpx_ne_u64_e64 v[24:25], v[11:12]
	s_xor_b32 s3, exec_lo, s3
; %bb.18:                               ;   in Loop: Header=BB136_13 Depth=2
	v_cmp_lt_i64_e64 s0, v[24:25], v[13:14]
                                        ; implicit-def: $vgpr36
                                        ; implicit-def: $vgpr22_vgpr23
	s_delay_alu instid0(VALU_DEP_1)
	v_cndmask_b32_e64 v14, v14, v25, s0
	v_cndmask_b32_e64 v13, v13, v24, s0
; %bb.19:                               ;   in Loop: Header=BB136_13 Depth=2
	s_or_saveexec_b32 s0, s3
	v_dual_mov_b32 v25, v16 :: v_dual_mov_b32 v24, v15
	s_xor_b32 exec_lo, exec_lo, s0
	s_cbranch_execz .LBB136_12
; %bb.20:                               ;   in Loop: Header=BB136_13 Depth=2
	global_load_b64 v[37:38], v[18:19], off
	v_sub_nc_u32_e32 v8, v36, v17
	v_dual_mov_b32 v25, v23 :: v_dual_mov_b32 v24, v22
	s_delay_alu instid0(VALU_DEP_2)
	v_add_lshl_u32 v8, v0, v8, 3
	ds_store_b8 v26, v35 offset:2048
	s_waitcnt vmcnt(0)
	ds_store_b64 v8, v[37:38]
	s_branch .LBB136_12
.LBB136_21:                             ;   in Loop: Header=BB136_10 Depth=1
	s_or_b32 exec_lo, exec_lo, s23
.LBB136_22:                             ;   in Loop: Header=BB136_10 Depth=1
	s_delay_alu instid0(SALU_CYCLE_1)
	s_or_b32 exec_lo, exec_lo, s22
	ds_bpermute_b32 v15, v28, v24
	ds_bpermute_b32 v16, v28, v25
	s_waitcnt lgkmcnt(0)
	buffer_gl0_inv
	ds_load_u8 v8, v26 offset:2048
	s_mov_b32 s0, exec_lo
	v_cmp_lt_i64_e32 vcc_lo, v[15:16], v[24:25]
	s_waitcnt lgkmcnt(0)
	v_and_b32_e32 v8, 1, v8
	v_dual_cndmask_b32 v16, v25, v16 :: v_dual_cndmask_b32 v15, v24, v15
	ds_bpermute_b32 v18, v6, v16
	ds_bpermute_b32 v17, v6, v15
	s_waitcnt lgkmcnt(0)
	v_cmp_lt_i64_e32 vcc_lo, v[17:18], v[15:16]
	v_dual_cndmask_b32 v16, v16, v18 :: v_dual_cndmask_b32 v15, v15, v17
	v_mov_b32_e32 v17, 0
	v_mov_b32_e32 v18, 0
	ds_bpermute_b32 v16, v29, v16
	ds_bpermute_b32 v15, v29, v15
	v_cmpx_eq_u32_e32 1, v8
	s_cbranch_execz .LBB136_9
; %bb.23:                               ;   in Loop: Header=BB136_10 Depth=1
	v_lshlrev_b64 v[17:18], 3, v[3:4]
	v_add_co_u32 v11, vcc_lo, v11, s17
	v_add_co_ci_u32_e32 v12, vcc_lo, 0, v12, vcc_lo
	s_delay_alu instid0(VALU_DEP_3) | instskip(NEXT) | instid1(VALU_DEP_4)
	v_add_co_u32 v17, vcc_lo, s4, v17
	v_add_co_ci_u32_e32 v18, vcc_lo, s5, v18, vcc_lo
	global_store_b64 v[17:18], v[11:12], off
	s_and_saveexec_b32 s3, s18
	s_cbranch_execz .LBB136_8
; %bb.24:                               ;   in Loop: Header=BB136_10 Depth=1
	v_mul_lo_u32 v8, s19, v3
	v_mul_lo_u32 v19, s20, v4
	v_mad_u64_u32 v[11:12], null, s20, v3, 0
	ds_load_b64 v[17:18], v27
	v_add3_u32 v12, v12, v19, v8
	s_delay_alu instid0(VALU_DEP_1) | instskip(NEXT) | instid1(VALU_DEP_1)
	v_lshlrev_b64 v[11:12], 3, v[11:12]
	v_add_co_u32 v11, vcc_lo, v34, v11
	s_delay_alu instid0(VALU_DEP_2)
	v_add_co_ci_u32_e32 v12, vcc_lo, v33, v12, vcc_lo
	s_waitcnt lgkmcnt(0)
	global_store_b64 v[11:12], v[17:18], off
	s_branch .LBB136_8
.LBB136_25:
	s_endpgm
	.section	.rodata,"a",@progbits
	.p2align	6, 0x0
	.amdhsa_kernel _ZN9rocsparseL42csr2bsr_wavefront_per_row_multipass_kernelILj256ELj16ELj4EdllEEv20rocsparse_direction_T4_S2_S2_S2_S2_21rocsparse_index_base_PKT2_PKT3_PKS2_S3_PS4_PS7_PS2_
		.amdhsa_group_segment_fixed_size 2064
		.amdhsa_private_segment_fixed_size 0
		.amdhsa_kernarg_size 112
		.amdhsa_user_sgpr_count 15
		.amdhsa_user_sgpr_dispatch_ptr 0
		.amdhsa_user_sgpr_queue_ptr 0
		.amdhsa_user_sgpr_kernarg_segment_ptr 1
		.amdhsa_user_sgpr_dispatch_id 0
		.amdhsa_user_sgpr_private_segment_size 0
		.amdhsa_wavefront_size32 1
		.amdhsa_uses_dynamic_stack 0
		.amdhsa_enable_private_segment 0
		.amdhsa_system_sgpr_workgroup_id_x 1
		.amdhsa_system_sgpr_workgroup_id_y 0
		.amdhsa_system_sgpr_workgroup_id_z 0
		.amdhsa_system_sgpr_workgroup_info 0
		.amdhsa_system_vgpr_workitem_id 0
		.amdhsa_next_free_vgpr 46
		.amdhsa_next_free_sgpr 25
		.amdhsa_reserve_vcc 1
		.amdhsa_float_round_mode_32 0
		.amdhsa_float_round_mode_16_64 0
		.amdhsa_float_denorm_mode_32 3
		.amdhsa_float_denorm_mode_16_64 3
		.amdhsa_dx10_clamp 1
		.amdhsa_ieee_mode 1
		.amdhsa_fp16_overflow 0
		.amdhsa_workgroup_processor_mode 1
		.amdhsa_memory_ordered 1
		.amdhsa_forward_progress 0
		.amdhsa_shared_vgpr_count 0
		.amdhsa_exception_fp_ieee_invalid_op 0
		.amdhsa_exception_fp_denorm_src 0
		.amdhsa_exception_fp_ieee_div_zero 0
		.amdhsa_exception_fp_ieee_overflow 0
		.amdhsa_exception_fp_ieee_underflow 0
		.amdhsa_exception_fp_ieee_inexact 0
		.amdhsa_exception_int_div_zero 0
	.end_amdhsa_kernel
	.section	.text._ZN9rocsparseL42csr2bsr_wavefront_per_row_multipass_kernelILj256ELj16ELj4EdllEEv20rocsparse_direction_T4_S2_S2_S2_S2_21rocsparse_index_base_PKT2_PKT3_PKS2_S3_PS4_PS7_PS2_,"axG",@progbits,_ZN9rocsparseL42csr2bsr_wavefront_per_row_multipass_kernelILj256ELj16ELj4EdllEEv20rocsparse_direction_T4_S2_S2_S2_S2_21rocsparse_index_base_PKT2_PKT3_PKS2_S3_PS4_PS7_PS2_,comdat
.Lfunc_end136:
	.size	_ZN9rocsparseL42csr2bsr_wavefront_per_row_multipass_kernelILj256ELj16ELj4EdllEEv20rocsparse_direction_T4_S2_S2_S2_S2_21rocsparse_index_base_PKT2_PKT3_PKS2_S3_PS4_PS7_PS2_, .Lfunc_end136-_ZN9rocsparseL42csr2bsr_wavefront_per_row_multipass_kernelILj256ELj16ELj4EdllEEv20rocsparse_direction_T4_S2_S2_S2_S2_21rocsparse_index_base_PKT2_PKT3_PKS2_S3_PS4_PS7_PS2_
                                        ; -- End function
	.section	.AMDGPU.csdata,"",@progbits
; Kernel info:
; codeLenInByte = 2676
; NumSgprs: 27
; NumVgprs: 46
; ScratchSize: 0
; MemoryBound: 0
; FloatMode: 240
; IeeeMode: 1
; LDSByteSize: 2064 bytes/workgroup (compile time only)
; SGPRBlocks: 3
; VGPRBlocks: 5
; NumSGPRsForWavesPerEU: 27
; NumVGPRsForWavesPerEU: 46
; Occupancy: 16
; WaveLimiterHint : 0
; COMPUTE_PGM_RSRC2:SCRATCH_EN: 0
; COMPUTE_PGM_RSRC2:USER_SGPR: 15
; COMPUTE_PGM_RSRC2:TRAP_HANDLER: 0
; COMPUTE_PGM_RSRC2:TGID_X_EN: 1
; COMPUTE_PGM_RSRC2:TGID_Y_EN: 0
; COMPUTE_PGM_RSRC2:TGID_Z_EN: 0
; COMPUTE_PGM_RSRC2:TIDIG_COMP_CNT: 0
	.section	.text._ZN9rocsparseL42csr2bsr_wavefront_per_row_multipass_kernelILj256ELj64ELj8EdllEEv20rocsparse_direction_T4_S2_S2_S2_S2_21rocsparse_index_base_PKT2_PKT3_PKS2_S3_PS4_PS7_PS2_,"axG",@progbits,_ZN9rocsparseL42csr2bsr_wavefront_per_row_multipass_kernelILj256ELj64ELj8EdllEEv20rocsparse_direction_T4_S2_S2_S2_S2_21rocsparse_index_base_PKT2_PKT3_PKS2_S3_PS4_PS7_PS2_,comdat
	.globl	_ZN9rocsparseL42csr2bsr_wavefront_per_row_multipass_kernelILj256ELj64ELj8EdllEEv20rocsparse_direction_T4_S2_S2_S2_S2_21rocsparse_index_base_PKT2_PKT3_PKS2_S3_PS4_PS7_PS2_ ; -- Begin function _ZN9rocsparseL42csr2bsr_wavefront_per_row_multipass_kernelILj256ELj64ELj8EdllEEv20rocsparse_direction_T4_S2_S2_S2_S2_21rocsparse_index_base_PKT2_PKT3_PKS2_S3_PS4_PS7_PS2_
	.p2align	8
	.type	_ZN9rocsparseL42csr2bsr_wavefront_per_row_multipass_kernelILj256ELj64ELj8EdllEEv20rocsparse_direction_T4_S2_S2_S2_S2_21rocsparse_index_base_PKT2_PKT3_PKS2_S3_PS4_PS7_PS2_,@function
_ZN9rocsparseL42csr2bsr_wavefront_per_row_multipass_kernelILj256ELj64ELj8EdllEEv20rocsparse_direction_T4_S2_S2_S2_S2_21rocsparse_index_base_PKT2_PKT3_PKS2_S3_PS4_PS7_PS2_: ; @_ZN9rocsparseL42csr2bsr_wavefront_per_row_multipass_kernelILj256ELj64ELj8EdllEEv20rocsparse_direction_T4_S2_S2_S2_S2_21rocsparse_index_base_PKT2_PKT3_PKS2_S3_PS4_PS7_PS2_
; %bb.0:
	s_load_b64 s[8:9], s[0:1], 0x28
	v_lshrrev_b32_e32 v26, 6, v0
	s_mov_b32 s10, s15
	s_ashr_i32 s11, s15, 31
	s_clause 0x1
	s_load_b64 s[14:15], s[0:1], 0x8
	s_load_b128 s[4:7], s[0:1], 0x18
	s_lshl_b64 s[2:3], s[10:11], 2
	v_mov_b32_e32 v9, 0
	v_or_b32_e32 v1, s2, v26
	v_bfe_u32 v8, v0, 3, 3
	s_clause 0x1
	s_load_b32 s16, s[0:1], 0x30
	s_load_b64 s[12:13], s[0:1], 0x40
	s_waitcnt lgkmcnt(0)
	v_mul_lo_u32 v2, v1, s9
	v_mad_u64_u32 v[3:4], null, v1, s8, v[8:9]
	s_mul_i32 s2, s3, s8
	s_delay_alu instid0(VALU_DEP_1) | instid1(SALU_CYCLE_1)
	v_add3_u32 v4, s2, v4, v2
	v_mov_b32_e32 v1, 0
	v_mov_b32_e32 v2, 0
	v_cmp_gt_i64_e64 s2, s[8:9], v[8:9]
	s_delay_alu instid0(VALU_DEP_4) | instskip(NEXT) | instid1(VALU_DEP_3)
	v_cmp_gt_i64_e32 vcc_lo, s[14:15], v[3:4]
	v_dual_mov_b32 v16, v2 :: v_dual_mov_b32 v15, v1
	s_delay_alu instid0(VALU_DEP_3) | instskip(NEXT) | instid1(SALU_CYCLE_1)
	s_and_b32 s3, s2, vcc_lo
	s_and_saveexec_b32 s11, s3
	s_cbranch_execz .LBB137_2
; %bb.1:
	v_lshlrev_b64 v[5:6], 3, v[3:4]
	s_delay_alu instid0(VALU_DEP_1) | instskip(NEXT) | instid1(VALU_DEP_2)
	v_add_co_u32 v5, vcc_lo, s12, v5
	v_add_co_ci_u32_e32 v6, vcc_lo, s13, v6, vcc_lo
	global_load_b64 v[5:6], v[5:6], off
	s_waitcnt vmcnt(0)
	v_sub_co_u32 v15, vcc_lo, v5, s16
	v_subrev_co_ci_u32_e32 v16, vcc_lo, 0, v6, vcc_lo
.LBB137_2:
	s_or_b32 exec_lo, exec_lo, s11
	s_and_saveexec_b32 s11, s3
	s_cbranch_execz .LBB137_4
; %bb.3:
	v_lshlrev_b64 v[1:2], 3, v[3:4]
	s_delay_alu instid0(VALU_DEP_1) | instskip(NEXT) | instid1(VALU_DEP_2)
	v_add_co_u32 v1, vcc_lo, s12, v1
	v_add_co_ci_u32_e32 v2, vcc_lo, s13, v2, vcc_lo
	global_load_b64 v[1:2], v[1:2], off offset:8
	s_waitcnt vmcnt(0)
	v_sub_co_u32 v1, vcc_lo, v1, s16
	v_subrev_co_ci_u32_e32 v2, vcc_lo, 0, v2, vcc_lo
.LBB137_4:
	s_or_b32 exec_lo, exec_lo, s11
	s_load_b32 s17, s[0:1], 0x50
	v_dual_mov_b32 v6, 0 :: v_dual_mov_b32 v3, 0
	v_lshl_or_b32 v5, s10, 2, v26
	v_mov_b32_e32 v4, 0
	s_mov_b32 s3, exec_lo
	s_delay_alu instid0(VALU_DEP_2)
	v_cmpx_gt_i64_e64 s[4:5], v[5:6]
	s_cbranch_execz .LBB137_6
; %bb.5:
	s_load_b64 s[4:5], s[0:1], 0x60
	v_lshlrev_b64 v[3:4], 3, v[5:6]
	s_waitcnt lgkmcnt(0)
	s_delay_alu instid0(VALU_DEP_1) | instskip(NEXT) | instid1(VALU_DEP_2)
	v_add_co_u32 v3, vcc_lo, s4, v3
	v_add_co_ci_u32_e32 v4, vcc_lo, s5, v4, vcc_lo
	global_load_b64 v[3:4], v[3:4], off
	s_waitcnt vmcnt(0)
	v_sub_co_u32 v3, vcc_lo, v3, s17
	v_subrev_co_ci_u32_e32 v4, vcc_lo, 0, v4, vcc_lo
.LBB137_6:
	s_or_b32 exec_lo, exec_lo, s3
	v_cmp_lt_i64_e64 s3, s[6:7], 1
	s_delay_alu instid0(VALU_DEP_1)
	s_and_b32 vcc_lo, exec_lo, s3
	s_cbranch_vccnz .LBB137_25
; %bb.7:
	v_mbcnt_lo_u32_b32 v20, -1, 0
	v_mad_u64_u32 v[11:12], null, v8, s8, 0
	s_clause 0x4
	s_load_b64 s[4:5], s[0:1], 0x68
	s_load_b64 s[14:15], s[0:1], 0x58
	s_load_b64 s[10:11], s[0:1], 0x48
	s_load_b64 s[12:13], s[0:1], 0x38
	s_load_b32 s0, s[0:1], 0x0
	v_xor_b32_e32 v13, 4, v20
	v_xor_b32_e32 v22, 2, v20
	v_lshl_or_b32 v30, v20, 2, 28
	v_bfrev_b32_e32 v34, 0.5
	s_mov_b32 s1, 0
	v_cmp_gt_i32_e32 vcc_lo, 32, v13
	s_mul_i32 s20, s8, s8
	v_mov_b32_e32 v37, 1
	v_cndmask_b32_e32 v21, v20, v13, vcc_lo
	v_cmp_gt_i32_e32 vcc_lo, 32, v22
	v_and_b32_e32 v5, 7, v0
	s_delay_alu instid0(VALU_DEP_1) | instskip(NEXT) | instid1(VALU_DEP_1)
	v_mad_u64_u32 v[9:10], null, v5, s8, 0
	v_mad_u64_u32 v[13:14], null, v5, s9, v[10:11]
	v_xor_b32_e32 v10, 1, v20
	v_mov_b32_e32 v7, 0
	v_lshlrev_b32_e32 v19, 3, v8
	s_delay_alu instid0(VALU_DEP_4) | instskip(NEXT) | instid1(VALU_DEP_2)
	v_mad_u64_u32 v[17:18], null, v8, s9, v[12:13]
	v_and_or_b32 v0, 0x3c0, v0, v19
	v_cndmask_b32_e32 v8, v20, v22, vcc_lo
	v_cmp_gt_i32_e32 vcc_lo, 32, v10
	s_delay_alu instid0(VALU_DEP_3) | instskip(NEXT) | instid1(VALU_DEP_3)
	v_or_b32_e32 v6, v0, v5
	v_lshlrev_b32_e32 v28, 2, v8
	v_cndmask_b32_e32 v14, v20, v10, vcc_lo
	v_mov_b32_e32 v10, v13
	s_delay_alu instid0(VALU_DEP_4) | instskip(NEXT) | instid1(VALU_DEP_3)
	v_dual_mov_b32 v12, v17 :: v_dual_lshlrev_b32 v27, 3, v6
	v_dual_mov_b32 v6, v7 :: v_dual_lshlrev_b32 v29, 2, v14
	s_delay_alu instid0(VALU_DEP_3) | instskip(NEXT) | instid1(VALU_DEP_3)
	v_lshlrev_b64 v[8:9], 3, v[9:10]
	v_lshlrev_b64 v[10:11], 3, v[11:12]
	v_lshlrev_b32_e32 v12, 3, v5
	s_delay_alu instid0(VALU_DEP_4)
	v_cmp_gt_i64_e32 vcc_lo, s[8:9], v[5:6]
	v_xor_b32_e32 v13, 16, v20
	v_xor_b32_e32 v14, 8, v20
	s_and_b32 s18, s2, vcc_lo
	s_waitcnt lgkmcnt(0)
	v_add_co_u32 v8, vcc_lo, s14, v8
	v_add_co_ci_u32_e32 v9, vcc_lo, s15, v9, vcc_lo
	v_add_co_u32 v10, vcc_lo, s14, v10
	v_add_co_ci_u32_e32 v11, vcc_lo, s15, v11, vcc_lo
	s_delay_alu instid0(VALU_DEP_4) | instskip(NEXT) | instid1(VALU_DEP_4)
	v_add_co_u32 v8, vcc_lo, v8, v19
	v_add_co_ci_u32_e32 v9, vcc_lo, 0, v9, vcc_lo
	s_delay_alu instid0(VALU_DEP_4)
	v_add_co_u32 v10, vcc_lo, v10, v12
	v_or_b32_e32 v12, 32, v20
	s_cmp_eq_u32 s0, 0
	s_mul_i32 s2, s8, s9
	s_mul_hi_u32 s0, s8, s8
	v_add_co_ci_u32_e32 v11, vcc_lo, 0, v11, vcc_lo
	s_cselect_b32 vcc_lo, -1, 0
	s_add_i32 s3, s0, s2
	v_cmp_gt_i32_e64 s0, 32, v12
	s_delay_alu instid0(VALU_DEP_2) | instskip(SKIP_1) | instid1(VALU_DEP_3)
	v_dual_cndmask_b32 v35, v9, v11 :: v_dual_lshlrev_b32 v6, 2, v21
	v_dual_cndmask_b32 v36, v8, v10 :: v_dual_mov_b32 v9, 0
	v_cndmask_b32_e64 v12, v20, v12, s0
	v_cmp_gt_i32_e64 s0, 32, v13
	v_mov_b32_e32 v10, v7
	s_add_i32 s19, s3, s2
	s_ashr_i32 s2, s9, 31
	v_lshlrev_b32_e32 v31, 2, v12
	v_cndmask_b32_e64 v13, v20, v13, s0
	v_cmp_gt_i32_e64 s0, 32, v14
	v_mov_b32_e32 v11, 0
	v_mov_b32_e32 v12, 0
	s_sub_i32 s21, 0, s8
	v_lshlrev_b32_e32 v32, 2, v13
	v_cndmask_b32_e64 v14, v20, v14, s0
	s_delay_alu instid0(VALU_DEP_1)
	v_lshlrev_b32_e32 v33, 2, v14
	s_branch .LBB137_10
.LBB137_8:                              ;   in Loop: Header=BB137_10 Depth=1
	s_or_b32 exec_lo, exec_lo, s3
	v_mov_b32_e32 v17, 1
	v_mov_b32_e32 v18, 0
.LBB137_9:                              ;   in Loop: Header=BB137_10 Depth=1
	s_or_b32 exec_lo, exec_lo, s0
	ds_bpermute_b32 v11, v31, v13
	ds_bpermute_b32 v12, v31, v14
	v_add_co_u32 v3, s0, v17, v3
	s_delay_alu instid0(VALU_DEP_1)
	v_add_co_ci_u32_e64 v4, s0, v18, v4, s0
	s_waitcnt lgkmcnt(0)
	s_waitcnt_vscnt null, 0x0
	buffer_gl0_inv
	buffer_gl0_inv
	v_cmp_lt_i64_e32 vcc_lo, v[11:12], v[13:14]
	v_dual_cndmask_b32 v12, v14, v12 :: v_dual_cndmask_b32 v11, v13, v11
	ds_bpermute_b32 v14, v32, v12
	ds_bpermute_b32 v13, v32, v11
	s_waitcnt lgkmcnt(0)
	v_cmp_lt_i64_e32 vcc_lo, v[13:14], v[11:12]
	v_dual_cndmask_b32 v12, v12, v14 :: v_dual_cndmask_b32 v11, v11, v13
	ds_bpermute_b32 v14, v33, v12
	ds_bpermute_b32 v13, v33, v11
	s_waitcnt lgkmcnt(0)
	;; [unrolled: 5-line block ×6, first 2 shown]
	v_cmp_le_i64_e32 vcc_lo, s[6:7], v[11:12]
	s_or_b32 s1, vcc_lo, s1
	s_delay_alu instid0(SALU_CYCLE_1)
	s_and_not1_b32 exec_lo, exec_lo, s1
	s_cbranch_execz .LBB137_25
.LBB137_10:                             ; =>This Loop Header: Depth=1
                                        ;     Child Loop BB137_13 Depth 2
	v_add_co_u32 v15, vcc_lo, v15, v5
	v_add_co_ci_u32_e32 v16, vcc_lo, 0, v16, vcc_lo
	v_dual_mov_b32 v14, s7 :: v_dual_mov_b32 v13, s6
	v_dual_mov_b32 v25, v2 :: v_dual_mov_b32 v24, v1
	s_mov_b32 s22, exec_lo
	ds_store_b8 v26, v7 offset:2048
	ds_store_b64 v27, v[9:10]
	s_waitcnt lgkmcnt(0)
	buffer_gl0_inv
	v_cmpx_lt_i64_e64 v[15:16], v[1:2]
	s_cbranch_execz .LBB137_22
; %bb.11:                               ;   in Loop: Header=BB137_10 Depth=1
	v_lshlrev_b64 v[13:14], 3, v[15:16]
	v_mad_u64_u32 v[17:18], null, v11, s8, 0
	v_dual_mov_b32 v23, v2 :: v_dual_mov_b32 v22, v1
	s_mov_b32 s23, 0
	s_delay_alu instid0(VALU_DEP_3) | instskip(NEXT) | instid1(VALU_DEP_4)
	v_add_co_u32 v18, vcc_lo, s12, v13
	v_add_co_ci_u32_e32 v19, vcc_lo, s13, v14, vcc_lo
	v_add_co_u32 v20, vcc_lo, s10, v13
	v_add_co_ci_u32_e32 v21, vcc_lo, s11, v14, vcc_lo
	v_dual_mov_b32 v14, s7 :: v_dual_mov_b32 v13, s6
	s_branch .LBB137_13
.LBB137_12:                             ;   in Loop: Header=BB137_13 Depth=2
	s_or_b32 exec_lo, exec_lo, s0
	v_add_co_u32 v15, s0, v15, 8
	s_delay_alu instid0(VALU_DEP_1) | instskip(SKIP_2) | instid1(VALU_DEP_2)
	v_add_co_ci_u32_e64 v16, s0, 0, v16, s0
	s_xor_b32 s3, vcc_lo, -1
	v_add_co_u32 v18, vcc_lo, v18, 64
	v_cmp_ge_i64_e64 s0, v[15:16], v[1:2]
	v_add_co_ci_u32_e32 v19, vcc_lo, 0, v19, vcc_lo
	v_add_co_u32 v20, vcc_lo, v20, 64
	v_add_co_ci_u32_e32 v21, vcc_lo, 0, v21, vcc_lo
	s_delay_alu instid0(VALU_DEP_4) | instskip(SKIP_2) | instid1(SALU_CYCLE_1)
	s_or_b32 s0, s3, s0
	v_dual_mov_b32 v22, v24 :: v_dual_mov_b32 v23, v25
	s_and_b32 s0, exec_lo, s0
	s_or_b32 s23, s0, s23
	s_delay_alu instid0(SALU_CYCLE_1)
	s_and_not1_b32 exec_lo, exec_lo, s23
	s_cbranch_execz .LBB137_21
.LBB137_13:                             ;   Parent Loop BB137_10 Depth=1
                                        ; =>  This Inner Loop Header: Depth=2
	global_load_b64 v[24:25], v[20:21], off
	s_mov_b32 s0, exec_lo
	s_waitcnt vmcnt(0)
	v_sub_co_u32 v38, vcc_lo, v24, s16
	v_subrev_co_ci_u32_e32 v39, vcc_lo, 0, v25, vcc_lo
                                        ; implicit-def: $vgpr24_vgpr25
	s_delay_alu instid0(VALU_DEP_1) | instskip(NEXT) | instid1(VALU_DEP_1)
	v_or_b32_e32 v8, s9, v39
	v_cmpx_ne_u64_e32 0, v[7:8]
	s_xor_b32 s24, exec_lo, s0
	s_cbranch_execz .LBB137_15
; %bb.14:                               ;   in Loop: Header=BB137_13 Depth=2
	s_add_u32 s14, s8, s2
	s_mov_b32 s3, s2
	s_addc_u32 s15, s9, s2
	s_delay_alu instid0(SALU_CYCLE_1) | instskip(NEXT) | instid1(SALU_CYCLE_1)
	s_xor_b64 s[14:15], s[14:15], s[2:3]
	v_cvt_f32_u32_e32 v8, s14
	v_cvt_f32_u32_e32 v24, s15
	s_sub_u32 s0, 0, s14
	s_subb_u32 s3, 0, s15
	s_delay_alu instid0(VALU_DEP_1) | instskip(NEXT) | instid1(VALU_DEP_1)
	v_fmac_f32_e32 v8, 0x4f800000, v24
	v_rcp_f32_e32 v8, v8
	s_waitcnt_depctr 0xfff
	v_mul_f32_e32 v8, 0x5f7ffffc, v8
	s_delay_alu instid0(VALU_DEP_1) | instskip(NEXT) | instid1(VALU_DEP_1)
	v_mul_f32_e32 v24, 0x2f800000, v8
	v_trunc_f32_e32 v24, v24
	s_delay_alu instid0(VALU_DEP_1) | instskip(SKIP_1) | instid1(VALU_DEP_2)
	v_fmac_f32_e32 v8, 0xcf800000, v24
	v_cvt_u32_f32_e32 v24, v24
	v_cvt_u32_f32_e32 v8, v8
	s_delay_alu instid0(VALU_DEP_2) | instskip(NEXT) | instid1(VALU_DEP_2)
	v_mul_lo_u32 v25, s0, v24
	v_mul_hi_u32 v40, s0, v8
	v_mul_lo_u32 v41, s3, v8
	s_delay_alu instid0(VALU_DEP_2) | instskip(SKIP_1) | instid1(VALU_DEP_2)
	v_add_nc_u32_e32 v25, v40, v25
	v_mul_lo_u32 v40, s0, v8
	v_add_nc_u32_e32 v25, v25, v41
	s_delay_alu instid0(VALU_DEP_2) | instskip(NEXT) | instid1(VALU_DEP_2)
	v_mul_hi_u32 v41, v8, v40
	v_mul_lo_u32 v42, v8, v25
	v_mul_hi_u32 v43, v8, v25
	v_mul_hi_u32 v44, v24, v40
	v_mul_lo_u32 v40, v24, v40
	v_mul_hi_u32 v45, v24, v25
	v_mul_lo_u32 v25, v24, v25
	v_add_co_u32 v41, vcc_lo, v41, v42
	v_add_co_ci_u32_e32 v42, vcc_lo, 0, v43, vcc_lo
	s_delay_alu instid0(VALU_DEP_2) | instskip(NEXT) | instid1(VALU_DEP_2)
	v_add_co_u32 v40, vcc_lo, v41, v40
	v_add_co_ci_u32_e32 v40, vcc_lo, v42, v44, vcc_lo
	v_add_co_ci_u32_e32 v41, vcc_lo, 0, v45, vcc_lo
	v_ashrrev_i32_e32 v44, 31, v39
	s_delay_alu instid0(VALU_DEP_3) | instskip(NEXT) | instid1(VALU_DEP_3)
	v_add_co_u32 v25, vcc_lo, v40, v25
	v_add_co_ci_u32_e32 v40, vcc_lo, 0, v41, vcc_lo
	s_delay_alu instid0(VALU_DEP_2) | instskip(NEXT) | instid1(VALU_DEP_2)
	v_add_co_u32 v8, vcc_lo, v8, v25
	v_add_co_ci_u32_e32 v24, vcc_lo, v24, v40, vcc_lo
	s_delay_alu instid0(VALU_DEP_2) | instskip(SKIP_1) | instid1(VALU_DEP_3)
	v_mul_hi_u32 v25, s0, v8
	v_mul_lo_u32 v41, s3, v8
	v_mul_lo_u32 v40, s0, v24
	s_delay_alu instid0(VALU_DEP_1) | instskip(SKIP_1) | instid1(VALU_DEP_2)
	v_add_nc_u32_e32 v25, v25, v40
	v_mul_lo_u32 v40, s0, v8
	v_add_nc_u32_e32 v25, v25, v41
	s_delay_alu instid0(VALU_DEP_2) | instskip(NEXT) | instid1(VALU_DEP_2)
	v_mul_hi_u32 v41, v8, v40
	v_mul_lo_u32 v42, v8, v25
	v_mul_hi_u32 v43, v8, v25
	v_mul_hi_u32 v45, v24, v40
	v_mul_lo_u32 v40, v24, v40
	v_mul_hi_u32 v46, v24, v25
	v_mul_lo_u32 v25, v24, v25
	v_add_co_u32 v41, vcc_lo, v41, v42
	v_add_co_ci_u32_e32 v42, vcc_lo, 0, v43, vcc_lo
	s_delay_alu instid0(VALU_DEP_2) | instskip(NEXT) | instid1(VALU_DEP_2)
	v_add_co_u32 v40, vcc_lo, v41, v40
	v_add_co_ci_u32_e32 v40, vcc_lo, v42, v45, vcc_lo
	v_add_co_ci_u32_e32 v41, vcc_lo, 0, v46, vcc_lo
	v_add_co_u32 v42, vcc_lo, v38, v44
	v_add_co_ci_u32_e32 v39, vcc_lo, v39, v44, vcc_lo
	s_delay_alu instid0(VALU_DEP_4) | instskip(NEXT) | instid1(VALU_DEP_4)
	v_add_co_u32 v25, vcc_lo, v40, v25
	v_add_co_ci_u32_e32 v40, vcc_lo, 0, v41, vcc_lo
	s_delay_alu instid0(VALU_DEP_4) | instskip(NEXT) | instid1(VALU_DEP_3)
	v_xor_b32_e32 v43, v42, v44
	v_add_co_u32 v8, vcc_lo, v8, v25
	s_delay_alu instid0(VALU_DEP_3) | instskip(SKIP_1) | instid1(VALU_DEP_3)
	v_add_co_ci_u32_e32 v45, vcc_lo, v24, v40, vcc_lo
	v_xor_b32_e32 v46, v39, v44
	v_mul_hi_u32 v47, v43, v8
	s_delay_alu instid0(VALU_DEP_3) | instskip(NEXT) | instid1(VALU_DEP_3)
	v_mad_u64_u32 v[24:25], null, v43, v45, 0
	v_mad_u64_u32 v[39:40], null, v46, v8, 0
	;; [unrolled: 1-line block ×3, first 2 shown]
	s_delay_alu instid0(VALU_DEP_3) | instskip(NEXT) | instid1(VALU_DEP_4)
	v_add_co_u32 v8, vcc_lo, v47, v24
	v_add_co_ci_u32_e32 v24, vcc_lo, 0, v25, vcc_lo
	s_delay_alu instid0(VALU_DEP_2) | instskip(NEXT) | instid1(VALU_DEP_2)
	v_add_co_u32 v8, vcc_lo, v8, v39
	v_add_co_ci_u32_e32 v8, vcc_lo, v24, v40, vcc_lo
	v_add_co_ci_u32_e32 v24, vcc_lo, 0, v42, vcc_lo
	s_delay_alu instid0(VALU_DEP_2) | instskip(NEXT) | instid1(VALU_DEP_2)
	v_add_co_u32 v8, vcc_lo, v8, v41
	v_add_co_ci_u32_e32 v39, vcc_lo, 0, v24, vcc_lo
	s_delay_alu instid0(VALU_DEP_2) | instskip(SKIP_1) | instid1(VALU_DEP_3)
	v_mul_lo_u32 v40, s15, v8
	v_mad_u64_u32 v[24:25], null, s14, v8, 0
	v_mul_lo_u32 v41, s14, v39
	s_delay_alu instid0(VALU_DEP_2) | instskip(NEXT) | instid1(VALU_DEP_2)
	v_sub_co_u32 v24, vcc_lo, v43, v24
	v_add3_u32 v25, v25, v41, v40
	s_delay_alu instid0(VALU_DEP_1) | instskip(NEXT) | instid1(VALU_DEP_1)
	v_sub_nc_u32_e32 v40, v46, v25
	v_subrev_co_ci_u32_e64 v40, s0, s15, v40, vcc_lo
	v_add_co_u32 v41, s0, v8, 2
	s_delay_alu instid0(VALU_DEP_1) | instskip(SKIP_3) | instid1(VALU_DEP_3)
	v_add_co_ci_u32_e64 v42, s0, 0, v39, s0
	v_sub_co_u32 v43, s0, v24, s14
	v_sub_co_ci_u32_e32 v25, vcc_lo, v46, v25, vcc_lo
	v_subrev_co_ci_u32_e64 v40, s0, 0, v40, s0
	v_cmp_le_u32_e32 vcc_lo, s14, v43
	s_delay_alu instid0(VALU_DEP_3) | instskip(SKIP_1) | instid1(VALU_DEP_4)
	v_cmp_eq_u32_e64 s0, s15, v25
	v_cndmask_b32_e64 v43, 0, -1, vcc_lo
	v_cmp_le_u32_e32 vcc_lo, s15, v40
	v_cndmask_b32_e64 v45, 0, -1, vcc_lo
	v_cmp_le_u32_e32 vcc_lo, s14, v24
	;; [unrolled: 2-line block ×3, first 2 shown]
	v_cndmask_b32_e64 v46, 0, -1, vcc_lo
	v_cmp_eq_u32_e32 vcc_lo, s15, v40
	s_delay_alu instid0(VALU_DEP_2) | instskip(SKIP_3) | instid1(VALU_DEP_3)
	v_cndmask_b32_e64 v24, v46, v24, s0
	v_cndmask_b32_e32 v40, v45, v43, vcc_lo
	v_add_co_u32 v43, vcc_lo, v8, 1
	v_add_co_ci_u32_e32 v45, vcc_lo, 0, v39, vcc_lo
	v_cmp_ne_u32_e32 vcc_lo, 0, v40
	s_delay_alu instid0(VALU_DEP_2) | instskip(SKIP_2) | instid1(VALU_DEP_3)
	v_dual_cndmask_b32 v40, v43, v41 :: v_dual_cndmask_b32 v25, v45, v42
	v_cmp_ne_u32_e32 vcc_lo, 0, v24
	v_xor_b32_e32 v41, s2, v44
	v_cndmask_b32_e32 v8, v8, v40, vcc_lo
	s_delay_alu instid0(VALU_DEP_4) | instskip(NEXT) | instid1(VALU_DEP_2)
	v_cndmask_b32_e32 v24, v39, v25, vcc_lo
	v_xor_b32_e32 v8, v8, v41
	s_delay_alu instid0(VALU_DEP_2) | instskip(NEXT) | instid1(VALU_DEP_2)
	v_xor_b32_e32 v25, v24, v41
	v_sub_co_u32 v24, vcc_lo, v8, v41
	s_delay_alu instid0(VALU_DEP_2)
	v_sub_co_ci_u32_e32 v25, vcc_lo, v25, v41, vcc_lo
.LBB137_15:                             ;   in Loop: Header=BB137_13 Depth=2
	s_and_not1_saveexec_b32 s0, s24
	s_cbranch_execz .LBB137_17
; %bb.16:                               ;   in Loop: Header=BB137_13 Depth=2
	v_cvt_f32_u32_e32 v8, s8
	s_delay_alu instid0(VALU_DEP_1) | instskip(SKIP_2) | instid1(VALU_DEP_1)
	v_rcp_iflag_f32_e32 v8, v8
	s_waitcnt_depctr 0xfff
	v_mul_f32_e32 v8, 0x4f7ffffe, v8
	v_cvt_u32_f32_e32 v8, v8
	s_delay_alu instid0(VALU_DEP_1) | instskip(NEXT) | instid1(VALU_DEP_1)
	v_mul_lo_u32 v24, s21, v8
	v_mul_hi_u32 v24, v8, v24
	s_delay_alu instid0(VALU_DEP_1) | instskip(NEXT) | instid1(VALU_DEP_1)
	v_add_nc_u32_e32 v8, v8, v24
	v_mul_hi_u32 v8, v38, v8
	s_delay_alu instid0(VALU_DEP_1) | instskip(NEXT) | instid1(VALU_DEP_1)
	v_mul_lo_u32 v24, v8, s8
	v_sub_nc_u32_e32 v24, v38, v24
	s_delay_alu instid0(VALU_DEP_1) | instskip(SKIP_1) | instid1(VALU_DEP_2)
	v_subrev_nc_u32_e32 v39, s8, v24
	v_cmp_le_u32_e32 vcc_lo, s8, v24
	v_dual_cndmask_b32 v24, v24, v39 :: v_dual_add_nc_u32 v25, 1, v8
	s_delay_alu instid0(VALU_DEP_1) | instskip(NEXT) | instid1(VALU_DEP_2)
	v_cndmask_b32_e32 v8, v8, v25, vcc_lo
	v_cmp_le_u32_e32 vcc_lo, s8, v24
	s_delay_alu instid0(VALU_DEP_2) | instskip(NEXT) | instid1(VALU_DEP_1)
	v_add_nc_u32_e32 v25, 1, v8
	v_dual_cndmask_b32 v24, v8, v25 :: v_dual_mov_b32 v25, v7
.LBB137_17:                             ;   in Loop: Header=BB137_13 Depth=2
	s_or_b32 exec_lo, exec_lo, s0
	s_delay_alu instid0(VALU_DEP_1)
	v_cmp_eq_u64_e32 vcc_lo, v[24:25], v[11:12]
	s_mov_b32 s3, exec_lo
	v_cmpx_ne_u64_e64 v[24:25], v[11:12]
	s_xor_b32 s3, exec_lo, s3
; %bb.18:                               ;   in Loop: Header=BB137_13 Depth=2
	v_cmp_lt_i64_e64 s0, v[24:25], v[13:14]
                                        ; implicit-def: $vgpr38
                                        ; implicit-def: $vgpr22_vgpr23
	s_delay_alu instid0(VALU_DEP_1)
	v_cndmask_b32_e64 v14, v14, v25, s0
	v_cndmask_b32_e64 v13, v13, v24, s0
; %bb.19:                               ;   in Loop: Header=BB137_13 Depth=2
	s_or_saveexec_b32 s0, s3
	v_dual_mov_b32 v25, v16 :: v_dual_mov_b32 v24, v15
	s_xor_b32 exec_lo, exec_lo, s0
	s_cbranch_execz .LBB137_12
; %bb.20:                               ;   in Loop: Header=BB137_13 Depth=2
	global_load_b64 v[39:40], v[18:19], off
	v_sub_nc_u32_e32 v8, v38, v17
	v_dual_mov_b32 v25, v23 :: v_dual_mov_b32 v24, v22
	s_delay_alu instid0(VALU_DEP_2)
	v_add_lshl_u32 v8, v0, v8, 3
	ds_store_b8 v26, v37 offset:2048
	s_waitcnt vmcnt(0)
	ds_store_b64 v8, v[39:40]
	s_branch .LBB137_12
.LBB137_21:                             ;   in Loop: Header=BB137_10 Depth=1
	s_or_b32 exec_lo, exec_lo, s23
.LBB137_22:                             ;   in Loop: Header=BB137_10 Depth=1
	s_delay_alu instid0(SALU_CYCLE_1)
	s_or_b32 exec_lo, exec_lo, s22
	ds_bpermute_b32 v15, v6, v24
	ds_bpermute_b32 v16, v6, v25
	s_waitcnt lgkmcnt(0)
	buffer_gl0_inv
	ds_load_u8 v8, v26 offset:2048
	s_mov_b32 s0, exec_lo
	v_cmp_lt_i64_e32 vcc_lo, v[15:16], v[24:25]
	s_waitcnt lgkmcnt(0)
	v_and_b32_e32 v8, 1, v8
	v_dual_cndmask_b32 v16, v25, v16 :: v_dual_cndmask_b32 v15, v24, v15
	ds_bpermute_b32 v18, v28, v16
	ds_bpermute_b32 v17, v28, v15
	s_waitcnt lgkmcnt(0)
	v_cmp_lt_i64_e32 vcc_lo, v[17:18], v[15:16]
	v_dual_cndmask_b32 v16, v16, v18 :: v_dual_cndmask_b32 v15, v15, v17
	ds_bpermute_b32 v18, v29, v16
	ds_bpermute_b32 v17, v29, v15
	s_waitcnt lgkmcnt(0)
	v_cmp_lt_i64_e32 vcc_lo, v[17:18], v[15:16]
	v_dual_cndmask_b32 v16, v16, v18 :: v_dual_cndmask_b32 v15, v15, v17
	v_mov_b32_e32 v17, 0
	v_mov_b32_e32 v18, 0
	ds_bpermute_b32 v16, v30, v16
	ds_bpermute_b32 v15, v30, v15
	v_cmpx_eq_u32_e32 1, v8
	s_cbranch_execz .LBB137_9
; %bb.23:                               ;   in Loop: Header=BB137_10 Depth=1
	v_lshlrev_b64 v[17:18], 3, v[3:4]
	v_add_co_u32 v11, vcc_lo, v11, s17
	v_add_co_ci_u32_e32 v12, vcc_lo, 0, v12, vcc_lo
	s_delay_alu instid0(VALU_DEP_3) | instskip(NEXT) | instid1(VALU_DEP_4)
	v_add_co_u32 v17, vcc_lo, s4, v17
	v_add_co_ci_u32_e32 v18, vcc_lo, s5, v18, vcc_lo
	global_store_b64 v[17:18], v[11:12], off
	s_and_saveexec_b32 s3, s18
	s_cbranch_execz .LBB137_8
; %bb.24:                               ;   in Loop: Header=BB137_10 Depth=1
	v_mul_lo_u32 v8, s19, v3
	v_mul_lo_u32 v19, s20, v4
	v_mad_u64_u32 v[11:12], null, s20, v3, 0
	ds_load_b64 v[17:18], v27
	v_add3_u32 v12, v12, v19, v8
	s_delay_alu instid0(VALU_DEP_1) | instskip(NEXT) | instid1(VALU_DEP_1)
	v_lshlrev_b64 v[11:12], 3, v[11:12]
	v_add_co_u32 v11, vcc_lo, v36, v11
	s_delay_alu instid0(VALU_DEP_2)
	v_add_co_ci_u32_e32 v12, vcc_lo, v35, v12, vcc_lo
	s_waitcnt lgkmcnt(0)
	global_store_b64 v[11:12], v[17:18], off
	s_branch .LBB137_8
.LBB137_25:
	s_endpgm
	.section	.rodata,"a",@progbits
	.p2align	6, 0x0
	.amdhsa_kernel _ZN9rocsparseL42csr2bsr_wavefront_per_row_multipass_kernelILj256ELj64ELj8EdllEEv20rocsparse_direction_T4_S2_S2_S2_S2_21rocsparse_index_base_PKT2_PKT3_PKS2_S3_PS4_PS7_PS2_
		.amdhsa_group_segment_fixed_size 2056
		.amdhsa_private_segment_fixed_size 0
		.amdhsa_kernarg_size 112
		.amdhsa_user_sgpr_count 15
		.amdhsa_user_sgpr_dispatch_ptr 0
		.amdhsa_user_sgpr_queue_ptr 0
		.amdhsa_user_sgpr_kernarg_segment_ptr 1
		.amdhsa_user_sgpr_dispatch_id 0
		.amdhsa_user_sgpr_private_segment_size 0
		.amdhsa_wavefront_size32 1
		.amdhsa_uses_dynamic_stack 0
		.amdhsa_enable_private_segment 0
		.amdhsa_system_sgpr_workgroup_id_x 1
		.amdhsa_system_sgpr_workgroup_id_y 0
		.amdhsa_system_sgpr_workgroup_id_z 0
		.amdhsa_system_sgpr_workgroup_info 0
		.amdhsa_system_vgpr_workitem_id 0
		.amdhsa_next_free_vgpr 48
		.amdhsa_next_free_sgpr 25
		.amdhsa_reserve_vcc 1
		.amdhsa_float_round_mode_32 0
		.amdhsa_float_round_mode_16_64 0
		.amdhsa_float_denorm_mode_32 3
		.amdhsa_float_denorm_mode_16_64 3
		.amdhsa_dx10_clamp 1
		.amdhsa_ieee_mode 1
		.amdhsa_fp16_overflow 0
		.amdhsa_workgroup_processor_mode 1
		.amdhsa_memory_ordered 1
		.amdhsa_forward_progress 0
		.amdhsa_shared_vgpr_count 0
		.amdhsa_exception_fp_ieee_invalid_op 0
		.amdhsa_exception_fp_denorm_src 0
		.amdhsa_exception_fp_ieee_div_zero 0
		.amdhsa_exception_fp_ieee_overflow 0
		.amdhsa_exception_fp_ieee_underflow 0
		.amdhsa_exception_fp_ieee_inexact 0
		.amdhsa_exception_int_div_zero 0
	.end_amdhsa_kernel
	.section	.text._ZN9rocsparseL42csr2bsr_wavefront_per_row_multipass_kernelILj256ELj64ELj8EdllEEv20rocsparse_direction_T4_S2_S2_S2_S2_21rocsparse_index_base_PKT2_PKT3_PKS2_S3_PS4_PS7_PS2_,"axG",@progbits,_ZN9rocsparseL42csr2bsr_wavefront_per_row_multipass_kernelILj256ELj64ELj8EdllEEv20rocsparse_direction_T4_S2_S2_S2_S2_21rocsparse_index_base_PKT2_PKT3_PKS2_S3_PS4_PS7_PS2_,comdat
.Lfunc_end137:
	.size	_ZN9rocsparseL42csr2bsr_wavefront_per_row_multipass_kernelILj256ELj64ELj8EdllEEv20rocsparse_direction_T4_S2_S2_S2_S2_21rocsparse_index_base_PKT2_PKT3_PKS2_S3_PS4_PS7_PS2_, .Lfunc_end137-_ZN9rocsparseL42csr2bsr_wavefront_per_row_multipass_kernelILj256ELj64ELj8EdllEEv20rocsparse_direction_T4_S2_S2_S2_S2_21rocsparse_index_base_PKT2_PKT3_PKS2_S3_PS4_PS7_PS2_
                                        ; -- End function
	.section	.AMDGPU.csdata,"",@progbits
; Kernel info:
; codeLenInByte = 2828
; NumSgprs: 27
; NumVgprs: 48
; ScratchSize: 0
; MemoryBound: 0
; FloatMode: 240
; IeeeMode: 1
; LDSByteSize: 2056 bytes/workgroup (compile time only)
; SGPRBlocks: 3
; VGPRBlocks: 5
; NumSGPRsForWavesPerEU: 27
; NumVGPRsForWavesPerEU: 48
; Occupancy: 16
; WaveLimiterHint : 0
; COMPUTE_PGM_RSRC2:SCRATCH_EN: 0
; COMPUTE_PGM_RSRC2:USER_SGPR: 15
; COMPUTE_PGM_RSRC2:TRAP_HANDLER: 0
; COMPUTE_PGM_RSRC2:TGID_X_EN: 1
; COMPUTE_PGM_RSRC2:TGID_Y_EN: 0
; COMPUTE_PGM_RSRC2:TGID_Z_EN: 0
; COMPUTE_PGM_RSRC2:TIDIG_COMP_CNT: 0
	.section	.text._ZN9rocsparseL42csr2bsr_wavefront_per_row_multipass_kernelILj256ELj32ELj8EdllEEv20rocsparse_direction_T4_S2_S2_S2_S2_21rocsparse_index_base_PKT2_PKT3_PKS2_S3_PS4_PS7_PS2_,"axG",@progbits,_ZN9rocsparseL42csr2bsr_wavefront_per_row_multipass_kernelILj256ELj32ELj8EdllEEv20rocsparse_direction_T4_S2_S2_S2_S2_21rocsparse_index_base_PKT2_PKT3_PKS2_S3_PS4_PS7_PS2_,comdat
	.globl	_ZN9rocsparseL42csr2bsr_wavefront_per_row_multipass_kernelILj256ELj32ELj8EdllEEv20rocsparse_direction_T4_S2_S2_S2_S2_21rocsparse_index_base_PKT2_PKT3_PKS2_S3_PS4_PS7_PS2_ ; -- Begin function _ZN9rocsparseL42csr2bsr_wavefront_per_row_multipass_kernelILj256ELj32ELj8EdllEEv20rocsparse_direction_T4_S2_S2_S2_S2_21rocsparse_index_base_PKT2_PKT3_PKS2_S3_PS4_PS7_PS2_
	.p2align	8
	.type	_ZN9rocsparseL42csr2bsr_wavefront_per_row_multipass_kernelILj256ELj32ELj8EdllEEv20rocsparse_direction_T4_S2_S2_S2_S2_21rocsparse_index_base_PKT2_PKT3_PKS2_S3_PS4_PS7_PS2_,@function
_ZN9rocsparseL42csr2bsr_wavefront_per_row_multipass_kernelILj256ELj32ELj8EdllEEv20rocsparse_direction_T4_S2_S2_S2_S2_21rocsparse_index_base_PKT2_PKT3_PKS2_S3_PS4_PS7_PS2_: ; @_ZN9rocsparseL42csr2bsr_wavefront_per_row_multipass_kernelILj256ELj32ELj8EdllEEv20rocsparse_direction_T4_S2_S2_S2_S2_21rocsparse_index_base_PKT2_PKT3_PKS2_S3_PS4_PS7_PS2_
; %bb.0:
	s_load_b64 s[8:9], s[0:1], 0x28
	v_lshrrev_b32_e32 v29, 5, v0
	s_mov_b32 s10, s15
	s_ashr_i32 s11, s15, 31
	s_clause 0x1
	s_load_b64 s[14:15], s[0:1], 0x8
	s_load_b128 s[4:7], s[0:1], 0x18
	s_lshl_b64 s[2:3], s[10:11], 3
	v_mov_b32_e32 v7, 0
	v_or_b32_e32 v1, s2, v29
	v_bfe_u32 v6, v0, 2, 3
	s_clause 0x1
	s_load_b32 s18, s[0:1], 0x30
	s_load_b64 s[12:13], s[0:1], 0x40
	s_waitcnt lgkmcnt(0)
	v_mul_lo_u32 v2, v1, s9
	v_mad_u64_u32 v[3:4], null, v1, s8, v[6:7]
	s_mul_i32 s2, s3, s8
	s_delay_alu instid0(VALU_DEP_1) | instid1(SALU_CYCLE_1)
	v_add3_u32 v4, s2, v4, v2
	v_mov_b32_e32 v1, 0
	v_mov_b32_e32 v2, 0
	v_cmp_gt_i64_e64 s2, s[8:9], v[6:7]
	s_delay_alu instid0(VALU_DEP_4) | instskip(NEXT) | instid1(VALU_DEP_3)
	v_cmp_gt_i64_e32 vcc_lo, s[14:15], v[3:4]
	v_dual_mov_b32 v19, v2 :: v_dual_mov_b32 v18, v1
	s_delay_alu instid0(VALU_DEP_3) | instskip(NEXT) | instid1(SALU_CYCLE_1)
	s_and_b32 s3, s2, vcc_lo
	s_and_saveexec_b32 s11, s3
	s_cbranch_execz .LBB138_2
; %bb.1:
	v_lshlrev_b64 v[7:8], 3, v[3:4]
	s_delay_alu instid0(VALU_DEP_1) | instskip(NEXT) | instid1(VALU_DEP_2)
	v_add_co_u32 v7, vcc_lo, s12, v7
	v_add_co_ci_u32_e32 v8, vcc_lo, s13, v8, vcc_lo
	global_load_b64 v[7:8], v[7:8], off
	s_waitcnt vmcnt(0)
	v_sub_co_u32 v18, vcc_lo, v7, s18
	v_subrev_co_ci_u32_e32 v19, vcc_lo, 0, v8, vcc_lo
.LBB138_2:
	s_or_b32 exec_lo, exec_lo, s11
	s_and_saveexec_b32 s11, s3
	s_cbranch_execz .LBB138_4
; %bb.3:
	v_lshlrev_b64 v[1:2], 3, v[3:4]
	s_delay_alu instid0(VALU_DEP_1) | instskip(NEXT) | instid1(VALU_DEP_2)
	v_add_co_u32 v1, vcc_lo, s12, v1
	v_add_co_ci_u32_e32 v2, vcc_lo, s13, v2, vcc_lo
	global_load_b64 v[1:2], v[1:2], off offset:8
	s_waitcnt vmcnt(0)
	v_sub_co_u32 v1, vcc_lo, v1, s18
	v_subrev_co_ci_u32_e32 v2, vcc_lo, 0, v2, vcc_lo
.LBB138_4:
	s_or_b32 exec_lo, exec_lo, s11
	s_load_b32 s19, s[0:1], 0x50
	v_dual_mov_b32 v8, 0 :: v_dual_mov_b32 v3, 0
	v_lshl_or_b32 v7, s10, 3, v29
	v_mov_b32_e32 v4, 0
	s_mov_b32 s3, exec_lo
	s_delay_alu instid0(VALU_DEP_2)
	v_cmpx_gt_i64_e64 s[4:5], v[7:8]
	s_cbranch_execz .LBB138_6
; %bb.5:
	s_load_b64 s[4:5], s[0:1], 0x60
	v_lshlrev_b64 v[3:4], 3, v[7:8]
	s_waitcnt lgkmcnt(0)
	s_delay_alu instid0(VALU_DEP_1) | instskip(NEXT) | instid1(VALU_DEP_2)
	v_add_co_u32 v3, vcc_lo, s4, v3
	v_add_co_ci_u32_e32 v4, vcc_lo, s5, v4, vcc_lo
	global_load_b64 v[3:4], v[3:4], off
	s_waitcnt vmcnt(0)
	v_sub_co_u32 v3, vcc_lo, v3, s19
	v_subrev_co_ci_u32_e32 v4, vcc_lo, 0, v4, vcc_lo
.LBB138_6:
	s_or_b32 exec_lo, exec_lo, s3
	v_cmp_lt_i64_e64 s3, s[6:7], 1
	s_delay_alu instid0(VALU_DEP_1)
	s_and_b32 vcc_lo, exec_lo, s3
	s_cbranch_vccnz .LBB138_34
; %bb.7:
	v_mbcnt_lo_u32_b32 v12, -1, 0
	s_clause 0x1
	s_load_b64 s[16:17], s[0:1], 0x58
	s_load_b64 s[4:5], s[0:1], 0x68
	v_mad_u64_u32 v[9:10], null, v6, s8, 0
	v_dual_mov_b32 v5, 0 :: v_dual_lshlrev_b32 v8, 3, v6
	v_xor_b32_e32 v11, 2, v12
	v_xor_b32_e32 v13, 1, v12
	s_clause 0x2
	s_load_b64 s[12:13], s[0:1], 0x48
	s_load_b64 s[14:15], s[0:1], 0x38
	s_load_b32 s0, s[0:1], 0x0
	v_xor_b32_e32 v16, 4, v12
	s_mul_i32 s3, s8, s9
	v_cmp_gt_i32_e32 vcc_lo, 32, v11
	v_mov_b32_e32 v7, v10
	s_mul_hi_u32 s11, s8, s8
	v_lshl_or_b32 v34, v12, 2, 12
	s_add_i32 s11, s11, s3
	v_cndmask_b32_e32 v14, v12, v11, vcc_lo
	v_cmp_gt_i32_e32 vcc_lo, 32, v13
	v_mad_u64_u32 v[10:11], null, v6, s9, v[7:8]
	s_waitcnt lgkmcnt(0)
	v_add_co_u32 v30, s1, s16, v8
	v_dual_cndmask_b32 v6, v12, v13 :: v_dual_and_b32 v7, 3, v0
	v_lshl_or_b32 v0, v29, 6, v8
	v_mov_b32_e32 v8, v5
	v_xor_b32_e32 v11, 8, v12
	s_delay_alu instid0(VALU_DEP_4)
	v_lshlrev_b32_e32 v33, 2, v6
	v_xor_b32_e32 v6, 16, v12
	v_lshlrev_b64 v[9:10], 3, v[9:10]
	v_or_b32_e32 v17, v0, v7
	s_mov_b32 s10, 0
	s_add_i32 s21, s11, s3
	v_cmp_gt_i32_e32 vcc_lo, 32, v6
	s_cmp_lg_u32 s0, 0
	s_mov_b32 s11, s10
	v_add_co_ci_u32_e64 v31, null, s17, 0, s1
	v_cndmask_b32_e32 v6, v12, v6, vcc_lo
	v_cmp_gt_i32_e32 vcc_lo, 32, v11
	v_lshlrev_b32_e32 v32, 2, v14
	v_mad_u64_u32 v[13:14], null, v7, s8, 0
	v_dual_mov_b32 v40, 0x7c :: v_dual_cndmask_b32 v15, v12, v11
	v_or_b32_e32 v11, 4, v7
	v_add_co_u32 v35, vcc_lo, s16, v9
	v_add_co_ci_u32_e32 v36, vcc_lo, s17, v10, vcc_lo
	s_delay_alu instid0(VALU_DEP_3) | instskip(SKIP_4) | instid1(VALU_DEP_4)
	v_mad_u64_u32 v[20:21], null, v11, s8, 0
	v_cmp_gt_i32_e32 vcc_lo, 32, v16
	v_lshlrev_b32_e32 v38, 2, v15
	v_dual_mov_b32 v42, 1 :: v_dual_lshlrev_b32 v41, 3, v17
	s_mul_i32 s20, s8, s8
	v_dual_cndmask_b32 v10, v12, v16 :: v_dual_mov_b32 v9, v21
	v_dual_mov_b32 v6, v14 :: v_dual_lshlrev_b32 v37, 2, v6
	s_delay_alu instid0(VALU_DEP_2) | instskip(SKIP_2) | instid1(VALU_DEP_3)
	v_dual_mov_b32 v12, v5 :: v_dual_lshlrev_b32 v39, 2, v10
	v_cmp_gt_u64_e32 vcc_lo, s[8:9], v[7:8]
	s_cselect_b32 s22, -1, 0
	v_mad_u64_u32 v[14:15], null, v7, s9, v[6:7]
	v_mad_u64_u32 v[15:16], null, v11, s9, v[9:10]
	v_cmp_gt_u64_e64 s0, s[8:9], v[11:12]
	v_mov_b32_e32 v16, 0
	v_dual_mov_b32 v8, s10 :: v_dual_mov_b32 v9, s11
	v_lshlrev_b64 v[10:11], 3, v[13:14]
	v_mov_b32_e32 v17, 0
	v_mov_b32_e32 v21, v15
	s_and_b32 s23, s2, vcc_lo
	s_and_b32 s11, s2, s0
	s_ashr_i32 s2, s9, 31
	s_sub_i32 s24, 0, s8
	v_lshlrev_b64 v[12:13], 3, v[20:21]
	s_branch .LBB138_11
.LBB138_8:                              ;   in Loop: Header=BB138_11 Depth=1
	v_dual_mov_b32 v21, s1 :: v_dual_mov_b32 v20, s0
.LBB138_9:                              ;   in Loop: Header=BB138_11 Depth=1
	s_or_b32 exec_lo, exec_lo, s16
.LBB138_10:                             ;   in Loop: Header=BB138_11 Depth=1
	s_delay_alu instid0(SALU_CYCLE_1) | instskip(SKIP_3) | instid1(VALU_DEP_1)
	s_or_b32 exec_lo, exec_lo, s3
	ds_bpermute_b32 v16, v37, v14
	ds_bpermute_b32 v17, v37, v15
	v_add_co_u32 v3, s0, v20, v3
	v_add_co_ci_u32_e64 v4, s0, v21, v4, s0
	s_waitcnt lgkmcnt(0)
	s_waitcnt_vscnt null, 0x0
	buffer_gl0_inv
	buffer_gl0_inv
	v_cmp_lt_i64_e32 vcc_lo, v[16:17], v[14:15]
	v_dual_cndmask_b32 v15, v15, v17 :: v_dual_cndmask_b32 v14, v14, v16
	ds_bpermute_b32 v17, v38, v15
	ds_bpermute_b32 v16, v38, v14
	s_waitcnt lgkmcnt(0)
	v_cmp_lt_i64_e32 vcc_lo, v[16:17], v[14:15]
	v_dual_cndmask_b32 v15, v15, v17 :: v_dual_cndmask_b32 v14, v14, v16
	ds_bpermute_b32 v17, v39, v15
	ds_bpermute_b32 v16, v39, v14
	s_waitcnt lgkmcnt(0)
	;; [unrolled: 5-line block ×4, first 2 shown]
	v_cmp_lt_i64_e32 vcc_lo, v[16:17], v[14:15]
	v_cndmask_b32_e32 v6, v15, v17, vcc_lo
	v_cndmask_b32_e32 v14, v14, v16, vcc_lo
	ds_bpermute_b32 v17, v40, v6
	ds_bpermute_b32 v16, v40, v14
	s_waitcnt lgkmcnt(0)
	v_cmp_le_i64_e32 vcc_lo, s[6:7], v[16:17]
	s_or_b32 s10, vcc_lo, s10
	s_delay_alu instid0(SALU_CYCLE_1)
	s_and_not1_b32 exec_lo, exec_lo, s10
	s_cbranch_execz .LBB138_34
.LBB138_11:                             ; =>This Loop Header: Depth=1
                                        ;     Child Loop BB138_14 Depth 2
	v_add_co_u32 v18, vcc_lo, v18, v7
	v_add_co_ci_u32_e32 v19, vcc_lo, 0, v19, vcc_lo
	v_dual_mov_b32 v15, s7 :: v_dual_mov_b32 v14, s6
	v_dual_mov_b32 v28, v2 :: v_dual_mov_b32 v27, v1
	s_mov_b32 s1, exec_lo
	ds_store_b8 v29, v5 offset:4096
	ds_store_2addr_b64 v41, v[8:9], v[8:9] offset1:4
	s_waitcnt lgkmcnt(0)
	buffer_gl0_inv
	v_cmpx_lt_i64_e64 v[18:19], v[1:2]
	s_cbranch_execz .LBB138_23
; %bb.12:                               ;   in Loop: Header=BB138_11 Depth=1
	v_lshlrev_b64 v[14:15], 3, v[18:19]
	v_mad_u64_u32 v[20:21], null, v16, s8, 0
	v_dual_mov_b32 v26, v2 :: v_dual_mov_b32 v25, v1
	s_mov_b32 s25, 0
	s_delay_alu instid0(VALU_DEP_3) | instskip(NEXT) | instid1(VALU_DEP_4)
	v_add_co_u32 v21, vcc_lo, s14, v14
	v_add_co_ci_u32_e32 v22, vcc_lo, s15, v15, vcc_lo
	v_add_co_u32 v23, vcc_lo, s12, v14
	v_add_co_ci_u32_e32 v24, vcc_lo, s13, v15, vcc_lo
	v_dual_mov_b32 v15, s7 :: v_dual_mov_b32 v14, s6
	s_branch .LBB138_14
.LBB138_13:                             ;   in Loop: Header=BB138_14 Depth=2
	s_or_b32 exec_lo, exec_lo, s0
	v_add_co_u32 v18, s0, v18, 4
	s_delay_alu instid0(VALU_DEP_1) | instskip(SKIP_2) | instid1(VALU_DEP_2)
	v_add_co_ci_u32_e64 v19, s0, 0, v19, s0
	s_xor_b32 s3, vcc_lo, -1
	v_add_co_u32 v21, vcc_lo, v21, 32
	v_cmp_ge_i64_e64 s0, v[18:19], v[1:2]
	v_add_co_ci_u32_e32 v22, vcc_lo, 0, v22, vcc_lo
	v_add_co_u32 v23, vcc_lo, v23, 32
	v_add_co_ci_u32_e32 v24, vcc_lo, 0, v24, vcc_lo
	s_delay_alu instid0(VALU_DEP_4) | instskip(SKIP_2) | instid1(SALU_CYCLE_1)
	s_or_b32 s0, s3, s0
	v_dual_mov_b32 v25, v27 :: v_dual_mov_b32 v26, v28
	s_and_b32 s0, exec_lo, s0
	s_or_b32 s25, s0, s25
	s_delay_alu instid0(SALU_CYCLE_1)
	s_and_not1_b32 exec_lo, exec_lo, s25
	s_cbranch_execz .LBB138_22
.LBB138_14:                             ;   Parent Loop BB138_11 Depth=1
                                        ; =>  This Inner Loop Header: Depth=2
	global_load_b64 v[27:28], v[23:24], off
	s_mov_b32 s0, exec_lo
	s_waitcnt vmcnt(0)
	v_sub_co_u32 v43, vcc_lo, v27, s18
	v_subrev_co_ci_u32_e32 v44, vcc_lo, 0, v28, vcc_lo
                                        ; implicit-def: $vgpr27_vgpr28
	s_delay_alu instid0(VALU_DEP_1) | instskip(NEXT) | instid1(VALU_DEP_1)
	v_or_b32_e32 v6, s9, v44
	v_cmpx_ne_u64_e32 0, v[5:6]
	s_xor_b32 s26, exec_lo, s0
	s_cbranch_execz .LBB138_16
; %bb.15:                               ;   in Loop: Header=BB138_14 Depth=2
	s_add_u32 s16, s8, s2
	s_mov_b32 s3, s2
	s_addc_u32 s17, s9, s2
	s_delay_alu instid0(SALU_CYCLE_1) | instskip(NEXT) | instid1(SALU_CYCLE_1)
	s_xor_b64 s[16:17], s[16:17], s[2:3]
	v_cvt_f32_u32_e32 v6, s16
	v_cvt_f32_u32_e32 v27, s17
	s_sub_u32 s0, 0, s16
	s_subb_u32 s3, 0, s17
	s_delay_alu instid0(VALU_DEP_1) | instskip(NEXT) | instid1(VALU_DEP_1)
	v_fmac_f32_e32 v6, 0x4f800000, v27
	v_rcp_f32_e32 v6, v6
	s_waitcnt_depctr 0xfff
	v_mul_f32_e32 v6, 0x5f7ffffc, v6
	s_delay_alu instid0(VALU_DEP_1) | instskip(NEXT) | instid1(VALU_DEP_1)
	v_mul_f32_e32 v27, 0x2f800000, v6
	v_trunc_f32_e32 v27, v27
	s_delay_alu instid0(VALU_DEP_1) | instskip(SKIP_1) | instid1(VALU_DEP_2)
	v_fmac_f32_e32 v6, 0xcf800000, v27
	v_cvt_u32_f32_e32 v27, v27
	v_cvt_u32_f32_e32 v6, v6
	s_delay_alu instid0(VALU_DEP_2) | instskip(NEXT) | instid1(VALU_DEP_2)
	v_mul_lo_u32 v28, s0, v27
	v_mul_hi_u32 v45, s0, v6
	v_mul_lo_u32 v46, s3, v6
	s_delay_alu instid0(VALU_DEP_2) | instskip(SKIP_1) | instid1(VALU_DEP_2)
	v_add_nc_u32_e32 v28, v45, v28
	v_mul_lo_u32 v45, s0, v6
	v_add_nc_u32_e32 v28, v28, v46
	s_delay_alu instid0(VALU_DEP_2) | instskip(NEXT) | instid1(VALU_DEP_2)
	v_mul_hi_u32 v46, v6, v45
	v_mul_lo_u32 v47, v6, v28
	v_mul_hi_u32 v48, v6, v28
	v_mul_hi_u32 v49, v27, v45
	v_mul_lo_u32 v45, v27, v45
	v_mul_hi_u32 v50, v27, v28
	v_mul_lo_u32 v28, v27, v28
	v_add_co_u32 v46, vcc_lo, v46, v47
	v_add_co_ci_u32_e32 v47, vcc_lo, 0, v48, vcc_lo
	s_delay_alu instid0(VALU_DEP_2) | instskip(NEXT) | instid1(VALU_DEP_2)
	v_add_co_u32 v45, vcc_lo, v46, v45
	v_add_co_ci_u32_e32 v45, vcc_lo, v47, v49, vcc_lo
	v_add_co_ci_u32_e32 v46, vcc_lo, 0, v50, vcc_lo
	v_ashrrev_i32_e32 v49, 31, v44
	s_delay_alu instid0(VALU_DEP_3) | instskip(NEXT) | instid1(VALU_DEP_3)
	v_add_co_u32 v28, vcc_lo, v45, v28
	v_add_co_ci_u32_e32 v45, vcc_lo, 0, v46, vcc_lo
	s_delay_alu instid0(VALU_DEP_2) | instskip(NEXT) | instid1(VALU_DEP_2)
	v_add_co_u32 v6, vcc_lo, v6, v28
	v_add_co_ci_u32_e32 v27, vcc_lo, v27, v45, vcc_lo
	s_delay_alu instid0(VALU_DEP_2) | instskip(SKIP_1) | instid1(VALU_DEP_3)
	v_mul_hi_u32 v28, s0, v6
	v_mul_lo_u32 v46, s3, v6
	v_mul_lo_u32 v45, s0, v27
	s_delay_alu instid0(VALU_DEP_1) | instskip(SKIP_1) | instid1(VALU_DEP_2)
	v_add_nc_u32_e32 v28, v28, v45
	v_mul_lo_u32 v45, s0, v6
	v_add_nc_u32_e32 v28, v28, v46
	s_delay_alu instid0(VALU_DEP_2) | instskip(NEXT) | instid1(VALU_DEP_2)
	v_mul_hi_u32 v46, v6, v45
	v_mul_lo_u32 v47, v6, v28
	v_mul_hi_u32 v48, v6, v28
	v_mul_hi_u32 v50, v27, v45
	v_mul_lo_u32 v45, v27, v45
	v_mul_hi_u32 v51, v27, v28
	v_mul_lo_u32 v28, v27, v28
	v_add_co_u32 v46, vcc_lo, v46, v47
	v_add_co_ci_u32_e32 v47, vcc_lo, 0, v48, vcc_lo
	s_delay_alu instid0(VALU_DEP_2) | instskip(NEXT) | instid1(VALU_DEP_2)
	v_add_co_u32 v45, vcc_lo, v46, v45
	v_add_co_ci_u32_e32 v45, vcc_lo, v47, v50, vcc_lo
	v_add_co_ci_u32_e32 v46, vcc_lo, 0, v51, vcc_lo
	v_add_co_u32 v47, vcc_lo, v43, v49
	v_add_co_ci_u32_e32 v44, vcc_lo, v44, v49, vcc_lo
	s_delay_alu instid0(VALU_DEP_4) | instskip(NEXT) | instid1(VALU_DEP_4)
	v_add_co_u32 v28, vcc_lo, v45, v28
	v_add_co_ci_u32_e32 v45, vcc_lo, 0, v46, vcc_lo
	s_delay_alu instid0(VALU_DEP_4) | instskip(NEXT) | instid1(VALU_DEP_3)
	v_xor_b32_e32 v48, v47, v49
	v_add_co_u32 v6, vcc_lo, v6, v28
	s_delay_alu instid0(VALU_DEP_3) | instskip(SKIP_1) | instid1(VALU_DEP_3)
	v_add_co_ci_u32_e32 v50, vcc_lo, v27, v45, vcc_lo
	v_xor_b32_e32 v51, v44, v49
	v_mul_hi_u32 v52, v48, v6
	s_delay_alu instid0(VALU_DEP_3) | instskip(NEXT) | instid1(VALU_DEP_3)
	v_mad_u64_u32 v[27:28], null, v48, v50, 0
	v_mad_u64_u32 v[44:45], null, v51, v6, 0
	;; [unrolled: 1-line block ×3, first 2 shown]
	s_delay_alu instid0(VALU_DEP_3) | instskip(NEXT) | instid1(VALU_DEP_4)
	v_add_co_u32 v6, vcc_lo, v52, v27
	v_add_co_ci_u32_e32 v27, vcc_lo, 0, v28, vcc_lo
	s_delay_alu instid0(VALU_DEP_2) | instskip(NEXT) | instid1(VALU_DEP_2)
	v_add_co_u32 v6, vcc_lo, v6, v44
	v_add_co_ci_u32_e32 v6, vcc_lo, v27, v45, vcc_lo
	v_add_co_ci_u32_e32 v27, vcc_lo, 0, v47, vcc_lo
	s_delay_alu instid0(VALU_DEP_2) | instskip(NEXT) | instid1(VALU_DEP_2)
	v_add_co_u32 v6, vcc_lo, v6, v46
	v_add_co_ci_u32_e32 v44, vcc_lo, 0, v27, vcc_lo
	s_delay_alu instid0(VALU_DEP_2) | instskip(SKIP_1) | instid1(VALU_DEP_3)
	v_mul_lo_u32 v45, s17, v6
	v_mad_u64_u32 v[27:28], null, s16, v6, 0
	v_mul_lo_u32 v46, s16, v44
	s_delay_alu instid0(VALU_DEP_2) | instskip(NEXT) | instid1(VALU_DEP_2)
	v_sub_co_u32 v27, vcc_lo, v48, v27
	v_add3_u32 v28, v28, v46, v45
	s_delay_alu instid0(VALU_DEP_1) | instskip(NEXT) | instid1(VALU_DEP_1)
	v_sub_nc_u32_e32 v45, v51, v28
	v_subrev_co_ci_u32_e64 v45, s0, s17, v45, vcc_lo
	v_add_co_u32 v46, s0, v6, 2
	s_delay_alu instid0(VALU_DEP_1) | instskip(SKIP_3) | instid1(VALU_DEP_3)
	v_add_co_ci_u32_e64 v47, s0, 0, v44, s0
	v_sub_co_u32 v48, s0, v27, s16
	v_sub_co_ci_u32_e32 v28, vcc_lo, v51, v28, vcc_lo
	v_subrev_co_ci_u32_e64 v45, s0, 0, v45, s0
	v_cmp_le_u32_e32 vcc_lo, s16, v48
	s_delay_alu instid0(VALU_DEP_3) | instskip(SKIP_1) | instid1(VALU_DEP_4)
	v_cmp_eq_u32_e64 s0, s17, v28
	v_cndmask_b32_e64 v48, 0, -1, vcc_lo
	v_cmp_le_u32_e32 vcc_lo, s17, v45
	v_cndmask_b32_e64 v50, 0, -1, vcc_lo
	v_cmp_le_u32_e32 vcc_lo, s16, v27
	v_cndmask_b32_e64 v27, 0, -1, vcc_lo
	v_cmp_le_u32_e32 vcc_lo, s17, v28
	v_cndmask_b32_e64 v51, 0, -1, vcc_lo
	v_cmp_eq_u32_e32 vcc_lo, s17, v45
	s_delay_alu instid0(VALU_DEP_2) | instskip(SKIP_3) | instid1(VALU_DEP_3)
	v_cndmask_b32_e64 v27, v51, v27, s0
	v_cndmask_b32_e32 v45, v50, v48, vcc_lo
	v_add_co_u32 v48, vcc_lo, v6, 1
	v_add_co_ci_u32_e32 v50, vcc_lo, 0, v44, vcc_lo
	v_cmp_ne_u32_e32 vcc_lo, 0, v45
	s_delay_alu instid0(VALU_DEP_2) | instskip(SKIP_2) | instid1(VALU_DEP_3)
	v_dual_cndmask_b32 v45, v48, v46 :: v_dual_cndmask_b32 v28, v50, v47
	v_cmp_ne_u32_e32 vcc_lo, 0, v27
	v_xor_b32_e32 v46, s2, v49
	v_dual_cndmask_b32 v6, v6, v45 :: v_dual_cndmask_b32 v27, v44, v28
	s_delay_alu instid0(VALU_DEP_1) | instskip(NEXT) | instid1(VALU_DEP_2)
	v_xor_b32_e32 v6, v6, v46
	v_xor_b32_e32 v28, v27, v46
	s_delay_alu instid0(VALU_DEP_2) | instskip(NEXT) | instid1(VALU_DEP_2)
	v_sub_co_u32 v27, vcc_lo, v6, v46
	v_sub_co_ci_u32_e32 v28, vcc_lo, v28, v46, vcc_lo
.LBB138_16:                             ;   in Loop: Header=BB138_14 Depth=2
	s_and_not1_saveexec_b32 s0, s26
	s_cbranch_execz .LBB138_18
; %bb.17:                               ;   in Loop: Header=BB138_14 Depth=2
	v_cvt_f32_u32_e32 v6, s8
	s_delay_alu instid0(VALU_DEP_1) | instskip(SKIP_2) | instid1(VALU_DEP_1)
	v_rcp_iflag_f32_e32 v6, v6
	s_waitcnt_depctr 0xfff
	v_mul_f32_e32 v6, 0x4f7ffffe, v6
	v_cvt_u32_f32_e32 v6, v6
	s_delay_alu instid0(VALU_DEP_1) | instskip(NEXT) | instid1(VALU_DEP_1)
	v_mul_lo_u32 v27, s24, v6
	v_mul_hi_u32 v27, v6, v27
	s_delay_alu instid0(VALU_DEP_1) | instskip(NEXT) | instid1(VALU_DEP_1)
	v_add_nc_u32_e32 v6, v6, v27
	v_mul_hi_u32 v6, v43, v6
	s_delay_alu instid0(VALU_DEP_1) | instskip(SKIP_1) | instid1(VALU_DEP_2)
	v_mul_lo_u32 v27, v6, s8
	v_add_nc_u32_e32 v28, 1, v6
	v_sub_nc_u32_e32 v27, v43, v27
	s_delay_alu instid0(VALU_DEP_1) | instskip(SKIP_1) | instid1(VALU_DEP_2)
	v_subrev_nc_u32_e32 v44, s8, v27
	v_cmp_le_u32_e32 vcc_lo, s8, v27
	v_cndmask_b32_e32 v27, v27, v44, vcc_lo
	v_cndmask_b32_e32 v6, v6, v28, vcc_lo
	s_delay_alu instid0(VALU_DEP_2) | instskip(NEXT) | instid1(VALU_DEP_2)
	v_cmp_le_u32_e32 vcc_lo, s8, v27
	v_add_nc_u32_e32 v28, 1, v6
	s_delay_alu instid0(VALU_DEP_1)
	v_dual_cndmask_b32 v27, v6, v28 :: v_dual_mov_b32 v28, v5
.LBB138_18:                             ;   in Loop: Header=BB138_14 Depth=2
	s_or_b32 exec_lo, exec_lo, s0
	s_delay_alu instid0(VALU_DEP_1)
	v_cmp_eq_u64_e32 vcc_lo, v[27:28], v[16:17]
	s_mov_b32 s3, exec_lo
	v_cmpx_ne_u64_e64 v[27:28], v[16:17]
	s_xor_b32 s3, exec_lo, s3
; %bb.19:                               ;   in Loop: Header=BB138_14 Depth=2
	v_cmp_lt_i64_e64 s0, v[27:28], v[14:15]
                                        ; implicit-def: $vgpr43
                                        ; implicit-def: $vgpr25_vgpr26
	s_delay_alu instid0(VALU_DEP_1)
	v_cndmask_b32_e64 v15, v15, v28, s0
	v_cndmask_b32_e64 v14, v14, v27, s0
; %bb.20:                               ;   in Loop: Header=BB138_14 Depth=2
	s_or_saveexec_b32 s0, s3
	v_dual_mov_b32 v28, v19 :: v_dual_mov_b32 v27, v18
	s_xor_b32 exec_lo, exec_lo, s0
	s_cbranch_execz .LBB138_13
; %bb.21:                               ;   in Loop: Header=BB138_14 Depth=2
	global_load_b64 v[44:45], v[21:22], off
	v_sub_nc_u32_e32 v6, v43, v20
	v_dual_mov_b32 v28, v26 :: v_dual_mov_b32 v27, v25
	s_delay_alu instid0(VALU_DEP_2)
	v_add_lshl_u32 v6, v0, v6, 3
	ds_store_b8 v29, v42 offset:4096
	s_waitcnt vmcnt(0)
	ds_store_b64 v6, v[44:45]
	s_branch .LBB138_13
.LBB138_22:                             ;   in Loop: Header=BB138_11 Depth=1
	s_or_b32 exec_lo, exec_lo, s25
.LBB138_23:                             ;   in Loop: Header=BB138_11 Depth=1
	s_delay_alu instid0(SALU_CYCLE_1)
	s_or_b32 exec_lo, exec_lo, s1
	ds_bpermute_b32 v18, v32, v27
	ds_bpermute_b32 v19, v32, v28
	s_waitcnt lgkmcnt(0)
	buffer_gl0_inv
	ds_load_u8 v6, v29 offset:4096
	s_mov_b32 s3, exec_lo
	v_cmp_lt_i64_e32 vcc_lo, v[18:19], v[27:28]
	s_waitcnt lgkmcnt(0)
	v_dual_cndmask_b32 v19, v28, v19 :: v_dual_and_b32 v6, 1, v6
	v_cndmask_b32_e32 v18, v27, v18, vcc_lo
	ds_bpermute_b32 v21, v33, v19
	ds_bpermute_b32 v20, v33, v18
	s_waitcnt lgkmcnt(0)
	v_cmp_lt_i64_e32 vcc_lo, v[20:21], v[18:19]
	v_dual_cndmask_b32 v19, v19, v21 :: v_dual_cndmask_b32 v18, v18, v20
	v_mov_b32_e32 v20, 0
	v_mov_b32_e32 v21, 0
	ds_bpermute_b32 v19, v34, v19
	ds_bpermute_b32 v18, v34, v18
	v_cmpx_eq_u32_e32 1, v6
	s_cbranch_execz .LBB138_10
; %bb.24:                               ;   in Loop: Header=BB138_11 Depth=1
	v_mul_lo_u32 v6, s21, v3
	v_mul_lo_u32 v24, s20, v4
	v_mad_u64_u32 v[20:21], null, s20, v3, 0
	v_lshlrev_b64 v[22:23], 3, v[3:4]
	s_delay_alu instid0(VALU_DEP_2) | instskip(SKIP_2) | instid1(VALU_DEP_3)
	v_add3_u32 v21, v21, v24, v6
	v_add_co_u32 v24, vcc_lo, v16, s19
	v_add_co_ci_u32_e32 v25, vcc_lo, 0, v17, vcc_lo
	v_lshlrev_b64 v[20:21], 3, v[20:21]
	v_add_co_u32 v26, vcc_lo, s4, v22
	v_add_co_ci_u32_e32 v27, vcc_lo, s5, v23, vcc_lo
	s_delay_alu instid0(VALU_DEP_3) | instskip(NEXT) | instid1(VALU_DEP_4)
	v_add_co_u32 v17, vcc_lo, v30, v20
	v_add_co_ci_u32_e32 v22, vcc_lo, v31, v21, vcc_lo
	v_add_co_u32 v6, vcc_lo, v35, v20
	v_add_co_ci_u32_e32 v16, vcc_lo, v36, v21, vcc_lo
	global_store_b64 v[26:27], v[24:25], off
	s_and_saveexec_b32 s0, s23
	s_cbranch_execz .LBB138_28
; %bb.25:                               ;   in Loop: Header=BB138_11 Depth=1
	s_and_b32 vcc_lo, exec_lo, s22
	s_cbranch_vccz .LBB138_31
; %bb.26:                               ;   in Loop: Header=BB138_11 Depth=1
	ds_load_b64 v[20:21], v41
	v_add_co_u32 v23, vcc_lo, v17, v10
	v_add_co_ci_u32_e32 v24, vcc_lo, v22, v11, vcc_lo
	s_waitcnt lgkmcnt(0)
	global_store_b64 v[23:24], v[20:21], off
	s_cbranch_execnz .LBB138_28
.LBB138_27:                             ;   in Loop: Header=BB138_11 Depth=1
	ds_load_b64 v[20:21], v41
	v_lshlrev_b32_e32 v23, 3, v7
	s_delay_alu instid0(VALU_DEP_1)
	v_add_co_u32 v23, vcc_lo, v6, v23
	v_add_co_ci_u32_e32 v24, vcc_lo, 0, v16, vcc_lo
	s_waitcnt lgkmcnt(0)
	global_store_b64 v[23:24], v[20:21], off
.LBB138_28:                             ;   in Loop: Header=BB138_11 Depth=1
	s_or_b32 exec_lo, exec_lo, s0
	v_mov_b32_e32 v20, 1
	v_mov_b32_e32 v21, 0
	s_and_saveexec_b32 s16, s11
	s_cbranch_execz .LBB138_9
; %bb.29:                               ;   in Loop: Header=BB138_11 Depth=1
	s_and_not1_b32 vcc_lo, exec_lo, s22
	s_cbranch_vccnz .LBB138_32
; %bb.30:                               ;   in Loop: Header=BB138_11 Depth=1
	ds_load_b64 v[20:21], v41 offset:32
	v_add_co_u32 v23, vcc_lo, v17, v12
	v_add_co_ci_u32_e32 v24, vcc_lo, v22, v13, vcc_lo
	s_mov_b64 s[0:1], 1
	s_waitcnt lgkmcnt(0)
	global_store_b64 v[23:24], v[20:21], off
	s_cbranch_execnz .LBB138_8
	s_branch .LBB138_33
.LBB138_31:                             ;   in Loop: Header=BB138_11 Depth=1
	s_branch .LBB138_27
.LBB138_32:                             ;   in Loop: Header=BB138_11 Depth=1
                                        ; implicit-def: $sgpr0_sgpr1
.LBB138_33:                             ;   in Loop: Header=BB138_11 Depth=1
	ds_load_b64 v[20:21], v41 offset:32
	v_lshlrev_b32_e32 v17, 3, v7
	s_mov_b64 s[0:1], 1
	s_delay_alu instid0(VALU_DEP_1)
	v_add_co_u32 v22, vcc_lo, v6, v17
	v_add_co_ci_u32_e32 v23, vcc_lo, 0, v16, vcc_lo
	s_waitcnt lgkmcnt(0)
	global_store_b64 v[22:23], v[20:21], off offset:32
	s_branch .LBB138_8
.LBB138_34:
	s_endpgm
	.section	.rodata,"a",@progbits
	.p2align	6, 0x0
	.amdhsa_kernel _ZN9rocsparseL42csr2bsr_wavefront_per_row_multipass_kernelILj256ELj32ELj8EdllEEv20rocsparse_direction_T4_S2_S2_S2_S2_21rocsparse_index_base_PKT2_PKT3_PKS2_S3_PS4_PS7_PS2_
		.amdhsa_group_segment_fixed_size 4104
		.amdhsa_private_segment_fixed_size 0
		.amdhsa_kernarg_size 112
		.amdhsa_user_sgpr_count 15
		.amdhsa_user_sgpr_dispatch_ptr 0
		.amdhsa_user_sgpr_queue_ptr 0
		.amdhsa_user_sgpr_kernarg_segment_ptr 1
		.amdhsa_user_sgpr_dispatch_id 0
		.amdhsa_user_sgpr_private_segment_size 0
		.amdhsa_wavefront_size32 1
		.amdhsa_uses_dynamic_stack 0
		.amdhsa_enable_private_segment 0
		.amdhsa_system_sgpr_workgroup_id_x 1
		.amdhsa_system_sgpr_workgroup_id_y 0
		.amdhsa_system_sgpr_workgroup_id_z 0
		.amdhsa_system_sgpr_workgroup_info 0
		.amdhsa_system_vgpr_workitem_id 0
		.amdhsa_next_free_vgpr 53
		.amdhsa_next_free_sgpr 27
		.amdhsa_reserve_vcc 1
		.amdhsa_float_round_mode_32 0
		.amdhsa_float_round_mode_16_64 0
		.amdhsa_float_denorm_mode_32 3
		.amdhsa_float_denorm_mode_16_64 3
		.amdhsa_dx10_clamp 1
		.amdhsa_ieee_mode 1
		.amdhsa_fp16_overflow 0
		.amdhsa_workgroup_processor_mode 1
		.amdhsa_memory_ordered 1
		.amdhsa_forward_progress 0
		.amdhsa_shared_vgpr_count 0
		.amdhsa_exception_fp_ieee_invalid_op 0
		.amdhsa_exception_fp_denorm_src 0
		.amdhsa_exception_fp_ieee_div_zero 0
		.amdhsa_exception_fp_ieee_overflow 0
		.amdhsa_exception_fp_ieee_underflow 0
		.amdhsa_exception_fp_ieee_inexact 0
		.amdhsa_exception_int_div_zero 0
	.end_amdhsa_kernel
	.section	.text._ZN9rocsparseL42csr2bsr_wavefront_per_row_multipass_kernelILj256ELj32ELj8EdllEEv20rocsparse_direction_T4_S2_S2_S2_S2_21rocsparse_index_base_PKT2_PKT3_PKS2_S3_PS4_PS7_PS2_,"axG",@progbits,_ZN9rocsparseL42csr2bsr_wavefront_per_row_multipass_kernelILj256ELj32ELj8EdllEEv20rocsparse_direction_T4_S2_S2_S2_S2_21rocsparse_index_base_PKT2_PKT3_PKS2_S3_PS4_PS7_PS2_,comdat
.Lfunc_end138:
	.size	_ZN9rocsparseL42csr2bsr_wavefront_per_row_multipass_kernelILj256ELj32ELj8EdllEEv20rocsparse_direction_T4_S2_S2_S2_S2_21rocsparse_index_base_PKT2_PKT3_PKS2_S3_PS4_PS7_PS2_, .Lfunc_end138-_ZN9rocsparseL42csr2bsr_wavefront_per_row_multipass_kernelILj256ELj32ELj8EdllEEv20rocsparse_direction_T4_S2_S2_S2_S2_21rocsparse_index_base_PKT2_PKT3_PKS2_S3_PS4_PS7_PS2_
                                        ; -- End function
	.section	.AMDGPU.csdata,"",@progbits
; Kernel info:
; codeLenInByte = 2912
; NumSgprs: 29
; NumVgprs: 53
; ScratchSize: 0
; MemoryBound: 0
; FloatMode: 240
; IeeeMode: 1
; LDSByteSize: 4104 bytes/workgroup (compile time only)
; SGPRBlocks: 3
; VGPRBlocks: 6
; NumSGPRsForWavesPerEU: 29
; NumVGPRsForWavesPerEU: 53
; Occupancy: 16
; WaveLimiterHint : 0
; COMPUTE_PGM_RSRC2:SCRATCH_EN: 0
; COMPUTE_PGM_RSRC2:USER_SGPR: 15
; COMPUTE_PGM_RSRC2:TRAP_HANDLER: 0
; COMPUTE_PGM_RSRC2:TGID_X_EN: 1
; COMPUTE_PGM_RSRC2:TGID_Y_EN: 0
; COMPUTE_PGM_RSRC2:TGID_Z_EN: 0
; COMPUTE_PGM_RSRC2:TIDIG_COMP_CNT: 0
	.section	.text._ZN9rocsparseL42csr2bsr_wavefront_per_row_multipass_kernelILj256ELj64ELj16EdllEEv20rocsparse_direction_T4_S2_S2_S2_S2_21rocsparse_index_base_PKT2_PKT3_PKS2_S3_PS4_PS7_PS2_,"axG",@progbits,_ZN9rocsparseL42csr2bsr_wavefront_per_row_multipass_kernelILj256ELj64ELj16EdllEEv20rocsparse_direction_T4_S2_S2_S2_S2_21rocsparse_index_base_PKT2_PKT3_PKS2_S3_PS4_PS7_PS2_,comdat
	.globl	_ZN9rocsparseL42csr2bsr_wavefront_per_row_multipass_kernelILj256ELj64ELj16EdllEEv20rocsparse_direction_T4_S2_S2_S2_S2_21rocsparse_index_base_PKT2_PKT3_PKS2_S3_PS4_PS7_PS2_ ; -- Begin function _ZN9rocsparseL42csr2bsr_wavefront_per_row_multipass_kernelILj256ELj64ELj16EdllEEv20rocsparse_direction_T4_S2_S2_S2_S2_21rocsparse_index_base_PKT2_PKT3_PKS2_S3_PS4_PS7_PS2_
	.p2align	8
	.type	_ZN9rocsparseL42csr2bsr_wavefront_per_row_multipass_kernelILj256ELj64ELj16EdllEEv20rocsparse_direction_T4_S2_S2_S2_S2_21rocsparse_index_base_PKT2_PKT3_PKS2_S3_PS4_PS7_PS2_,@function
_ZN9rocsparseL42csr2bsr_wavefront_per_row_multipass_kernelILj256ELj64ELj16EdllEEv20rocsparse_direction_T4_S2_S2_S2_S2_21rocsparse_index_base_PKT2_PKT3_PKS2_S3_PS4_PS7_PS2_: ; @_ZN9rocsparseL42csr2bsr_wavefront_per_row_multipass_kernelILj256ELj64ELj16EdllEEv20rocsparse_direction_T4_S2_S2_S2_S2_21rocsparse_index_base_PKT2_PKT3_PKS2_S3_PS4_PS7_PS2_
; %bb.0:
	s_load_b64 s[8:9], s[0:1], 0x28
	v_lshrrev_b32_e32 v33, 6, v0
	s_mov_b32 s10, s15
	s_ashr_i32 s11, s15, 31
	s_clause 0x1
	s_load_b64 s[14:15], s[0:1], 0x8
	s_load_b128 s[4:7], s[0:1], 0x18
	s_lshl_b64 s[2:3], s[10:11], 2
	v_mov_b32_e32 v7, 0
	v_or_b32_e32 v1, s2, v33
	v_bfe_u32 v6, v0, 2, 4
	s_clause 0x1
	s_load_b32 s18, s[0:1], 0x30
	s_load_b64 s[12:13], s[0:1], 0x40
	s_waitcnt lgkmcnt(0)
	v_mul_lo_u32 v2, v1, s9
	v_mad_u64_u32 v[3:4], null, v1, s8, v[6:7]
	s_mul_i32 s2, s3, s8
	s_delay_alu instid0(VALU_DEP_1) | instid1(SALU_CYCLE_1)
	v_add3_u32 v4, s2, v4, v2
	v_mov_b32_e32 v1, 0
	v_mov_b32_e32 v2, 0
	v_cmp_gt_i64_e64 s2, s[8:9], v[6:7]
	s_delay_alu instid0(VALU_DEP_4) | instskip(NEXT) | instid1(VALU_DEP_3)
	v_cmp_gt_i64_e32 vcc_lo, s[14:15], v[3:4]
	v_dual_mov_b32 v21, v2 :: v_dual_mov_b32 v20, v1
	s_delay_alu instid0(VALU_DEP_3) | instskip(NEXT) | instid1(SALU_CYCLE_1)
	s_and_b32 s3, s2, vcc_lo
	s_and_saveexec_b32 s11, s3
	s_cbranch_execz .LBB139_2
; %bb.1:
	v_lshlrev_b64 v[7:8], 3, v[3:4]
	s_delay_alu instid0(VALU_DEP_1) | instskip(NEXT) | instid1(VALU_DEP_2)
	v_add_co_u32 v7, vcc_lo, s12, v7
	v_add_co_ci_u32_e32 v8, vcc_lo, s13, v8, vcc_lo
	global_load_b64 v[7:8], v[7:8], off
	s_waitcnt vmcnt(0)
	v_sub_co_u32 v20, vcc_lo, v7, s18
	v_subrev_co_ci_u32_e32 v21, vcc_lo, 0, v8, vcc_lo
.LBB139_2:
	s_or_b32 exec_lo, exec_lo, s11
	s_and_saveexec_b32 s11, s3
	s_cbranch_execz .LBB139_4
; %bb.3:
	v_lshlrev_b64 v[1:2], 3, v[3:4]
	s_delay_alu instid0(VALU_DEP_1) | instskip(NEXT) | instid1(VALU_DEP_2)
	v_add_co_u32 v1, vcc_lo, s12, v1
	v_add_co_ci_u32_e32 v2, vcc_lo, s13, v2, vcc_lo
	global_load_b64 v[1:2], v[1:2], off offset:8
	s_waitcnt vmcnt(0)
	v_sub_co_u32 v1, vcc_lo, v1, s18
	v_subrev_co_ci_u32_e32 v2, vcc_lo, 0, v2, vcc_lo
.LBB139_4:
	s_or_b32 exec_lo, exec_lo, s11
	s_load_b32 s19, s[0:1], 0x50
	v_dual_mov_b32 v8, 0 :: v_dual_mov_b32 v3, 0
	v_lshl_or_b32 v7, s10, 2, v33
	v_mov_b32_e32 v4, 0
	s_mov_b32 s3, exec_lo
	s_delay_alu instid0(VALU_DEP_2)
	v_cmpx_gt_i64_e64 s[4:5], v[7:8]
	s_cbranch_execz .LBB139_6
; %bb.5:
	s_load_b64 s[4:5], s[0:1], 0x60
	v_lshlrev_b64 v[3:4], 3, v[7:8]
	s_waitcnt lgkmcnt(0)
	s_delay_alu instid0(VALU_DEP_1) | instskip(NEXT) | instid1(VALU_DEP_2)
	v_add_co_u32 v3, vcc_lo, s4, v3
	v_add_co_ci_u32_e32 v4, vcc_lo, s5, v4, vcc_lo
	global_load_b64 v[3:4], v[3:4], off
	s_waitcnt vmcnt(0)
	v_sub_co_u32 v3, vcc_lo, v3, s19
	v_subrev_co_ci_u32_e32 v4, vcc_lo, 0, v4, vcc_lo
.LBB139_6:
	s_or_b32 exec_lo, exec_lo, s3
	v_cmp_lt_i64_e64 s3, s[6:7], 1
	s_delay_alu instid0(VALU_DEP_1)
	s_and_b32 vcc_lo, exec_lo, s3
	s_cbranch_vccnz .LBB139_44
; %bb.7:
	s_clause 0x1
	s_load_b64 s[16:17], s[0:1], 0x58
	s_load_b64 s[4:5], s[0:1], 0x68
	v_mad_u64_u32 v[9:10], null, v6, s8, 0
	v_dual_mov_b32 v5, 0 :: v_dual_lshlrev_b32 v8, 3, v6
	v_mbcnt_lo_u32_b32 v12, -1, 0
	s_mul_i32 s3, s8, s9
	s_mul_hi_u32 s11, s8, s8
	s_clause 0x2
	s_load_b64 s[12:13], s[0:1], 0x48
	s_load_b64 s[14:15], s[0:1], 0x38
	s_load_b32 s0, s[0:1], 0x0
	s_add_i32 s1, s11, s3
	v_mov_b32_e32 v7, v10
	s_add_i32 s21, s1, s3
	v_lshl_or_b32 v38, v12, 2, 12
	s_mov_b32 s10, 0
	v_dual_mov_b32 v14, v5 :: v_dual_mov_b32 v47, 1
	s_mov_b32 s11, s10
	v_bfrev_b32_e32 v45, 0.5
	s_mul_i32 s20, s8, s8
	s_waitcnt lgkmcnt(0)
	v_add_co_u32 v34, s1, s16, v8
	v_xor_b32_e32 v8, 2, v12
	v_add_co_ci_u32_e64 v35, null, s17, 0, s1
	s_delay_alu instid0(VALU_DEP_2)
	v_mad_u64_u32 v[10:11], null, v6, s9, v[7:8]
	v_xor_b32_e32 v11, 1, v12
	v_cmp_gt_i32_e32 vcc_lo, 32, v8
	v_and_b32_e32 v7, 3, v0
	v_lshlrev_b32_e32 v0, 8, v33
	s_cmp_lg_u32 s0, 0
	v_lshlrev_b64 v[9:10], 3, v[9:10]
	v_cndmask_b32_e32 v13, v12, v8, vcc_lo
	v_cmp_gt_i32_e32 vcc_lo, 32, v11
	v_lshl_or_b32 v0, v6, 4, v0
	v_or_b32_e32 v6, 32, v12
	v_mov_b32_e32 v8, v5
	v_or_b32_e32 v17, 12, v7
	v_cndmask_b32_e32 v11, v12, v11, vcc_lo
	v_add_co_u32 v39, vcc_lo, s16, v9
	v_add_co_ci_u32_e32 v40, vcc_lo, s17, v10, vcc_lo
	v_xor_b32_e32 v9, 16, v12
	v_cmp_gt_i32_e32 vcc_lo, 32, v6
	v_xor_b32_e32 v10, 8, v12
	v_mad_u64_u32 v[26:27], null, v17, s8, 0
	s_cselect_b32 s22, -1, 0
	v_cndmask_b32_e32 v6, v12, v6, vcc_lo
	v_cmp_gt_i32_e32 vcc_lo, 32, v9
	s_sub_i32 s26, 0, s8
	s_delay_alu instid0(VALU_DEP_2) | instskip(SKIP_3) | instid1(VALU_DEP_3)
	v_lshlrev_b32_e32 v41, 2, v6
	v_cndmask_b32_e32 v9, v12, v9, vcc_lo
	v_cmp_gt_i32_e32 vcc_lo, 32, v10
	v_or_b32_e32 v6, v0, v7
	v_lshlrev_b32_e32 v42, 2, v9
	v_lshlrev_b32_e32 v36, 2, v13
	v_dual_cndmask_b32 v10, v12, v10 :: v_dual_lshlrev_b32 v37, 2, v11
	v_xor_b32_e32 v11, 4, v12
	v_or_b32_e32 v9, 4, v7
	v_lshlrev_b32_e32 v46, 3, v6
	v_or_b32_e32 v13, 8, v7
	s_delay_alu instid0(VALU_DEP_4) | instskip(NEXT) | instid1(VALU_DEP_4)
	v_cmp_gt_i32_e32 vcc_lo, 32, v11
	v_mad_u64_u32 v[15:16], null, v9, s8, 0
	v_lshlrev_b32_e32 v43, 2, v10
	s_delay_alu instid0(VALU_DEP_4) | instskip(SKIP_4) | instid1(VALU_DEP_4)
	v_mad_u64_u32 v[24:25], null, v13, s8, 0
	v_cndmask_b32_e32 v11, v12, v11, vcc_lo
	v_cmp_gt_u64_e32 vcc_lo, s[8:9], v[7:8]
	v_cmp_gt_u64_e64 s1, s[8:9], v[13:14]
	v_mov_b32_e32 v8, v16
	v_lshlrev_b32_e32 v44, 2, v11
	v_mad_u64_u32 v[11:12], null, v7, s8, 0
	s_delay_alu instid0(VALU_DEP_3) | instskip(SKIP_3) | instid1(VALU_DEP_3)
	v_mad_u64_u32 v[22:23], null, v9, s9, v[8:9]
	v_mov_b32_e32 v8, v27
	s_and_b32 s23, s2, vcc_lo
	s_and_b32 s25, s2, s1
	v_mov_b32_e32 v6, v12
	s_delay_alu instid0(VALU_DEP_3) | instskip(SKIP_2) | instid1(VALU_DEP_4)
	v_mov_b32_e32 v16, v22
	v_mov_b32_e32 v22, 0
	;; [unrolled: 1-line block ×3, first 2 shown]
	v_mad_u64_u32 v[18:19], null, v7, s9, v[6:7]
	v_mov_b32_e32 v6, v25
	s_delay_alu instid0(VALU_DEP_1) | instskip(SKIP_3) | instid1(VALU_DEP_4)
	v_mad_u64_u32 v[27:28], null, v13, s9, v[6:7]
	v_mad_u64_u32 v[28:29], null, v17, s9, v[8:9]
	v_mov_b32_e32 v10, v5
	v_mov_b32_e32 v12, v18
	v_dual_mov_b32 v18, v5 :: v_dual_mov_b32 v25, v27
	s_delay_alu instid0(VALU_DEP_4) | instskip(NEXT) | instid1(VALU_DEP_4)
	v_mov_b32_e32 v27, v28
	v_cmp_gt_u64_e64 s0, s[8:9], v[9:10]
	s_delay_alu instid0(VALU_DEP_3)
	v_cmp_gt_u64_e64 s3, s[8:9], v[17:18]
	v_mov_b32_e32 v8, s10
	v_lshlrev_b64 v[10:11], 3, v[11:12]
	v_lshlrev_b64 v[12:13], 3, v[15:16]
	;; [unrolled: 1-line block ×4, first 2 shown]
	v_mov_b32_e32 v9, s11
	s_and_b32 s24, s2, s0
	s_and_b32 s11, s2, s3
	s_ashr_i32 s2, s9, 31
	s_branch .LBB139_11
.LBB139_8:                              ;   in Loop: Header=BB139_11 Depth=1
	v_dual_mov_b32 v25, s1 :: v_dual_mov_b32 v24, s0
.LBB139_9:                              ;   in Loop: Header=BB139_11 Depth=1
	s_or_b32 exec_lo, exec_lo, s16
.LBB139_10:                             ;   in Loop: Header=BB139_11 Depth=1
	s_delay_alu instid0(SALU_CYCLE_1) | instskip(SKIP_3) | instid1(VALU_DEP_1)
	s_or_b32 exec_lo, exec_lo, s3
	ds_bpermute_b32 v22, v41, v18
	ds_bpermute_b32 v23, v41, v19
	v_add_co_u32 v3, s0, v24, v3
	v_add_co_ci_u32_e64 v4, s0, v25, v4, s0
	s_waitcnt lgkmcnt(0)
	s_waitcnt_vscnt null, 0x0
	buffer_gl0_inv
	buffer_gl0_inv
	v_cmp_lt_i64_e32 vcc_lo, v[22:23], v[18:19]
	v_dual_cndmask_b32 v19, v19, v23 :: v_dual_cndmask_b32 v18, v18, v22
	ds_bpermute_b32 v23, v42, v19
	ds_bpermute_b32 v22, v42, v18
	s_waitcnt lgkmcnt(0)
	v_cmp_lt_i64_e32 vcc_lo, v[22:23], v[18:19]
	v_dual_cndmask_b32 v19, v19, v23 :: v_dual_cndmask_b32 v18, v18, v22
	ds_bpermute_b32 v23, v43, v19
	ds_bpermute_b32 v22, v43, v18
	s_waitcnt lgkmcnt(0)
	;; [unrolled: 5-line block ×5, first 2 shown]
	v_cmp_lt_i64_e32 vcc_lo, v[22:23], v[18:19]
	v_cndmask_b32_e32 v6, v19, v23, vcc_lo
	v_cndmask_b32_e32 v18, v18, v22, vcc_lo
	ds_bpermute_b32 v23, v45, v6
	ds_bpermute_b32 v22, v45, v18
	s_waitcnt lgkmcnt(0)
	v_cmp_le_i64_e32 vcc_lo, s[6:7], v[22:23]
	s_or_b32 s10, vcc_lo, s10
	s_delay_alu instid0(SALU_CYCLE_1)
	s_and_not1_b32 exec_lo, exec_lo, s10
	s_cbranch_execz .LBB139_44
.LBB139_11:                             ; =>This Loop Header: Depth=1
                                        ;     Child Loop BB139_14 Depth 2
	v_add_co_u32 v20, vcc_lo, v20, v7
	v_add_co_ci_u32_e32 v21, vcc_lo, 0, v21, vcc_lo
	v_dual_mov_b32 v19, s7 :: v_dual_mov_b32 v18, s6
	v_dual_mov_b32 v32, v2 :: v_dual_mov_b32 v31, v1
	s_mov_b32 s1, exec_lo
	ds_store_b8 v33, v5 offset:8192
	ds_store_2addr_b64 v46, v[8:9], v[8:9] offset1:4
	ds_store_2addr_b64 v46, v[8:9], v[8:9] offset0:8 offset1:12
	s_waitcnt lgkmcnt(0)
	buffer_gl0_inv
	v_cmpx_lt_i64_e64 v[20:21], v[1:2]
	s_cbranch_execz .LBB139_23
; %bb.12:                               ;   in Loop: Header=BB139_11 Depth=1
	v_lshlrev_b64 v[18:19], 3, v[20:21]
	v_mad_u64_u32 v[24:25], null, v22, s8, 0
	v_dual_mov_b32 v30, v2 :: v_dual_mov_b32 v29, v1
	s_mov_b32 s27, 0
	s_delay_alu instid0(VALU_DEP_3) | instskip(NEXT) | instid1(VALU_DEP_4)
	v_add_co_u32 v25, vcc_lo, s14, v18
	v_add_co_ci_u32_e32 v26, vcc_lo, s15, v19, vcc_lo
	v_add_co_u32 v27, vcc_lo, s12, v18
	v_add_co_ci_u32_e32 v28, vcc_lo, s13, v19, vcc_lo
	v_dual_mov_b32 v19, s7 :: v_dual_mov_b32 v18, s6
	s_branch .LBB139_14
.LBB139_13:                             ;   in Loop: Header=BB139_14 Depth=2
	s_or_b32 exec_lo, exec_lo, s0
	v_add_co_u32 v20, s0, v20, 4
	s_delay_alu instid0(VALU_DEP_1) | instskip(SKIP_2) | instid1(VALU_DEP_2)
	v_add_co_ci_u32_e64 v21, s0, 0, v21, s0
	s_xor_b32 s3, vcc_lo, -1
	v_add_co_u32 v25, vcc_lo, v25, 32
	v_cmp_ge_i64_e64 s0, v[20:21], v[1:2]
	v_add_co_ci_u32_e32 v26, vcc_lo, 0, v26, vcc_lo
	v_add_co_u32 v27, vcc_lo, v27, 32
	v_add_co_ci_u32_e32 v28, vcc_lo, 0, v28, vcc_lo
	s_delay_alu instid0(VALU_DEP_4) | instskip(SKIP_2) | instid1(SALU_CYCLE_1)
	s_or_b32 s0, s3, s0
	v_dual_mov_b32 v29, v31 :: v_dual_mov_b32 v30, v32
	s_and_b32 s0, exec_lo, s0
	s_or_b32 s27, s0, s27
	s_delay_alu instid0(SALU_CYCLE_1)
	s_and_not1_b32 exec_lo, exec_lo, s27
	s_cbranch_execz .LBB139_22
.LBB139_14:                             ;   Parent Loop BB139_11 Depth=1
                                        ; =>  This Inner Loop Header: Depth=2
	global_load_b64 v[31:32], v[27:28], off
	s_mov_b32 s0, exec_lo
	s_waitcnt vmcnt(0)
	v_sub_co_u32 v48, vcc_lo, v31, s18
	v_subrev_co_ci_u32_e32 v49, vcc_lo, 0, v32, vcc_lo
                                        ; implicit-def: $vgpr31_vgpr32
	s_delay_alu instid0(VALU_DEP_1) | instskip(NEXT) | instid1(VALU_DEP_1)
	v_or_b32_e32 v6, s9, v49
	v_cmpx_ne_u64_e32 0, v[5:6]
	s_xor_b32 s28, exec_lo, s0
	s_cbranch_execz .LBB139_16
; %bb.15:                               ;   in Loop: Header=BB139_14 Depth=2
	s_add_u32 s16, s8, s2
	s_mov_b32 s3, s2
	s_addc_u32 s17, s9, s2
	s_delay_alu instid0(SALU_CYCLE_1) | instskip(NEXT) | instid1(SALU_CYCLE_1)
	s_xor_b64 s[16:17], s[16:17], s[2:3]
	v_cvt_f32_u32_e32 v6, s16
	v_cvt_f32_u32_e32 v31, s17
	s_sub_u32 s0, 0, s16
	s_subb_u32 s3, 0, s17
	s_delay_alu instid0(VALU_DEP_1) | instskip(NEXT) | instid1(VALU_DEP_1)
	v_fmac_f32_e32 v6, 0x4f800000, v31
	v_rcp_f32_e32 v6, v6
	s_waitcnt_depctr 0xfff
	v_mul_f32_e32 v6, 0x5f7ffffc, v6
	s_delay_alu instid0(VALU_DEP_1) | instskip(NEXT) | instid1(VALU_DEP_1)
	v_mul_f32_e32 v31, 0x2f800000, v6
	v_trunc_f32_e32 v31, v31
	s_delay_alu instid0(VALU_DEP_1) | instskip(SKIP_1) | instid1(VALU_DEP_2)
	v_fmac_f32_e32 v6, 0xcf800000, v31
	v_cvt_u32_f32_e32 v31, v31
	v_cvt_u32_f32_e32 v6, v6
	s_delay_alu instid0(VALU_DEP_2) | instskip(NEXT) | instid1(VALU_DEP_2)
	v_mul_lo_u32 v32, s0, v31
	v_mul_hi_u32 v50, s0, v6
	v_mul_lo_u32 v51, s3, v6
	s_delay_alu instid0(VALU_DEP_2) | instskip(SKIP_1) | instid1(VALU_DEP_2)
	v_add_nc_u32_e32 v32, v50, v32
	v_mul_lo_u32 v50, s0, v6
	v_add_nc_u32_e32 v32, v32, v51
	s_delay_alu instid0(VALU_DEP_2) | instskip(NEXT) | instid1(VALU_DEP_2)
	v_mul_hi_u32 v51, v6, v50
	v_mul_lo_u32 v52, v6, v32
	v_mul_hi_u32 v53, v6, v32
	v_mul_hi_u32 v54, v31, v50
	v_mul_lo_u32 v50, v31, v50
	v_mul_hi_u32 v55, v31, v32
	v_mul_lo_u32 v32, v31, v32
	v_add_co_u32 v51, vcc_lo, v51, v52
	v_add_co_ci_u32_e32 v52, vcc_lo, 0, v53, vcc_lo
	s_delay_alu instid0(VALU_DEP_2) | instskip(NEXT) | instid1(VALU_DEP_2)
	v_add_co_u32 v50, vcc_lo, v51, v50
	v_add_co_ci_u32_e32 v50, vcc_lo, v52, v54, vcc_lo
	v_add_co_ci_u32_e32 v51, vcc_lo, 0, v55, vcc_lo
	v_ashrrev_i32_e32 v54, 31, v49
	s_delay_alu instid0(VALU_DEP_3) | instskip(NEXT) | instid1(VALU_DEP_3)
	v_add_co_u32 v32, vcc_lo, v50, v32
	v_add_co_ci_u32_e32 v50, vcc_lo, 0, v51, vcc_lo
	s_delay_alu instid0(VALU_DEP_2) | instskip(NEXT) | instid1(VALU_DEP_2)
	v_add_co_u32 v6, vcc_lo, v6, v32
	v_add_co_ci_u32_e32 v31, vcc_lo, v31, v50, vcc_lo
	s_delay_alu instid0(VALU_DEP_2) | instskip(SKIP_1) | instid1(VALU_DEP_3)
	v_mul_hi_u32 v32, s0, v6
	v_mul_lo_u32 v51, s3, v6
	v_mul_lo_u32 v50, s0, v31
	s_delay_alu instid0(VALU_DEP_1) | instskip(SKIP_1) | instid1(VALU_DEP_2)
	v_add_nc_u32_e32 v32, v32, v50
	v_mul_lo_u32 v50, s0, v6
	v_add_nc_u32_e32 v32, v32, v51
	s_delay_alu instid0(VALU_DEP_2) | instskip(NEXT) | instid1(VALU_DEP_2)
	v_mul_hi_u32 v51, v6, v50
	v_mul_lo_u32 v52, v6, v32
	v_mul_hi_u32 v53, v6, v32
	v_mul_hi_u32 v55, v31, v50
	v_mul_lo_u32 v50, v31, v50
	v_mul_hi_u32 v56, v31, v32
	v_mul_lo_u32 v32, v31, v32
	v_add_co_u32 v51, vcc_lo, v51, v52
	v_add_co_ci_u32_e32 v52, vcc_lo, 0, v53, vcc_lo
	s_delay_alu instid0(VALU_DEP_2) | instskip(NEXT) | instid1(VALU_DEP_2)
	v_add_co_u32 v50, vcc_lo, v51, v50
	v_add_co_ci_u32_e32 v50, vcc_lo, v52, v55, vcc_lo
	v_add_co_ci_u32_e32 v51, vcc_lo, 0, v56, vcc_lo
	v_add_co_u32 v52, vcc_lo, v48, v54
	v_add_co_ci_u32_e32 v49, vcc_lo, v49, v54, vcc_lo
	s_delay_alu instid0(VALU_DEP_4) | instskip(NEXT) | instid1(VALU_DEP_4)
	v_add_co_u32 v32, vcc_lo, v50, v32
	v_add_co_ci_u32_e32 v50, vcc_lo, 0, v51, vcc_lo
	s_delay_alu instid0(VALU_DEP_4) | instskip(NEXT) | instid1(VALU_DEP_3)
	v_xor_b32_e32 v53, v52, v54
	v_add_co_u32 v6, vcc_lo, v6, v32
	s_delay_alu instid0(VALU_DEP_3) | instskip(SKIP_1) | instid1(VALU_DEP_3)
	v_add_co_ci_u32_e32 v55, vcc_lo, v31, v50, vcc_lo
	v_xor_b32_e32 v56, v49, v54
	v_mul_hi_u32 v57, v53, v6
	s_delay_alu instid0(VALU_DEP_3) | instskip(NEXT) | instid1(VALU_DEP_3)
	v_mad_u64_u32 v[31:32], null, v53, v55, 0
	v_mad_u64_u32 v[49:50], null, v56, v6, 0
	;; [unrolled: 1-line block ×3, first 2 shown]
	s_delay_alu instid0(VALU_DEP_3) | instskip(NEXT) | instid1(VALU_DEP_4)
	v_add_co_u32 v6, vcc_lo, v57, v31
	v_add_co_ci_u32_e32 v31, vcc_lo, 0, v32, vcc_lo
	s_delay_alu instid0(VALU_DEP_2) | instskip(NEXT) | instid1(VALU_DEP_2)
	v_add_co_u32 v6, vcc_lo, v6, v49
	v_add_co_ci_u32_e32 v6, vcc_lo, v31, v50, vcc_lo
	v_add_co_ci_u32_e32 v31, vcc_lo, 0, v52, vcc_lo
	s_delay_alu instid0(VALU_DEP_2) | instskip(NEXT) | instid1(VALU_DEP_2)
	v_add_co_u32 v6, vcc_lo, v6, v51
	v_add_co_ci_u32_e32 v49, vcc_lo, 0, v31, vcc_lo
	s_delay_alu instid0(VALU_DEP_2) | instskip(SKIP_1) | instid1(VALU_DEP_3)
	v_mul_lo_u32 v50, s17, v6
	v_mad_u64_u32 v[31:32], null, s16, v6, 0
	v_mul_lo_u32 v51, s16, v49
	s_delay_alu instid0(VALU_DEP_2) | instskip(NEXT) | instid1(VALU_DEP_2)
	v_sub_co_u32 v31, vcc_lo, v53, v31
	v_add3_u32 v32, v32, v51, v50
	s_delay_alu instid0(VALU_DEP_1) | instskip(NEXT) | instid1(VALU_DEP_1)
	v_sub_nc_u32_e32 v50, v56, v32
	v_subrev_co_ci_u32_e64 v50, s0, s17, v50, vcc_lo
	v_add_co_u32 v51, s0, v6, 2
	s_delay_alu instid0(VALU_DEP_1) | instskip(SKIP_3) | instid1(VALU_DEP_3)
	v_add_co_ci_u32_e64 v52, s0, 0, v49, s0
	v_sub_co_u32 v53, s0, v31, s16
	v_sub_co_ci_u32_e32 v32, vcc_lo, v56, v32, vcc_lo
	v_subrev_co_ci_u32_e64 v50, s0, 0, v50, s0
	v_cmp_le_u32_e32 vcc_lo, s16, v53
	s_delay_alu instid0(VALU_DEP_3) | instskip(SKIP_1) | instid1(VALU_DEP_4)
	v_cmp_eq_u32_e64 s0, s17, v32
	v_cndmask_b32_e64 v53, 0, -1, vcc_lo
	v_cmp_le_u32_e32 vcc_lo, s17, v50
	v_cndmask_b32_e64 v55, 0, -1, vcc_lo
	v_cmp_le_u32_e32 vcc_lo, s16, v31
	;; [unrolled: 2-line block ×3, first 2 shown]
	v_cndmask_b32_e64 v56, 0, -1, vcc_lo
	v_cmp_eq_u32_e32 vcc_lo, s17, v50
	s_delay_alu instid0(VALU_DEP_2) | instskip(SKIP_3) | instid1(VALU_DEP_3)
	v_cndmask_b32_e64 v31, v56, v31, s0
	v_cndmask_b32_e32 v50, v55, v53, vcc_lo
	v_add_co_u32 v53, vcc_lo, v6, 1
	v_add_co_ci_u32_e32 v55, vcc_lo, 0, v49, vcc_lo
	v_cmp_ne_u32_e32 vcc_lo, 0, v50
	s_delay_alu instid0(VALU_DEP_2) | instskip(NEXT) | instid1(VALU_DEP_4)
	v_cndmask_b32_e32 v32, v55, v52, vcc_lo
	v_cndmask_b32_e32 v50, v53, v51, vcc_lo
	v_cmp_ne_u32_e32 vcc_lo, 0, v31
	v_xor_b32_e32 v51, s2, v54
	s_delay_alu instid0(VALU_DEP_3) | instskip(NEXT) | instid1(VALU_DEP_1)
	v_dual_cndmask_b32 v6, v6, v50 :: v_dual_cndmask_b32 v31, v49, v32
	v_xor_b32_e32 v6, v6, v51
	s_delay_alu instid0(VALU_DEP_2) | instskip(NEXT) | instid1(VALU_DEP_2)
	v_xor_b32_e32 v32, v31, v51
	v_sub_co_u32 v31, vcc_lo, v6, v51
	s_delay_alu instid0(VALU_DEP_2)
	v_sub_co_ci_u32_e32 v32, vcc_lo, v32, v51, vcc_lo
.LBB139_16:                             ;   in Loop: Header=BB139_14 Depth=2
	s_and_not1_saveexec_b32 s0, s28
	s_cbranch_execz .LBB139_18
; %bb.17:                               ;   in Loop: Header=BB139_14 Depth=2
	v_cvt_f32_u32_e32 v6, s8
	s_delay_alu instid0(VALU_DEP_1) | instskip(SKIP_2) | instid1(VALU_DEP_1)
	v_rcp_iflag_f32_e32 v6, v6
	s_waitcnt_depctr 0xfff
	v_mul_f32_e32 v6, 0x4f7ffffe, v6
	v_cvt_u32_f32_e32 v6, v6
	s_delay_alu instid0(VALU_DEP_1) | instskip(NEXT) | instid1(VALU_DEP_1)
	v_mul_lo_u32 v31, s26, v6
	v_mul_hi_u32 v31, v6, v31
	s_delay_alu instid0(VALU_DEP_1) | instskip(NEXT) | instid1(VALU_DEP_1)
	v_add_nc_u32_e32 v6, v6, v31
	v_mul_hi_u32 v6, v48, v6
	s_delay_alu instid0(VALU_DEP_1) | instskip(SKIP_1) | instid1(VALU_DEP_2)
	v_mul_lo_u32 v31, v6, s8
	v_add_nc_u32_e32 v32, 1, v6
	v_sub_nc_u32_e32 v31, v48, v31
	s_delay_alu instid0(VALU_DEP_1) | instskip(SKIP_1) | instid1(VALU_DEP_2)
	v_subrev_nc_u32_e32 v49, s8, v31
	v_cmp_le_u32_e32 vcc_lo, s8, v31
	v_dual_cndmask_b32 v31, v31, v49 :: v_dual_cndmask_b32 v6, v6, v32
	s_delay_alu instid0(VALU_DEP_1) | instskip(NEXT) | instid1(VALU_DEP_2)
	v_cmp_le_u32_e32 vcc_lo, s8, v31
	v_add_nc_u32_e32 v32, 1, v6
	s_delay_alu instid0(VALU_DEP_1)
	v_dual_cndmask_b32 v31, v6, v32 :: v_dual_mov_b32 v32, v5
.LBB139_18:                             ;   in Loop: Header=BB139_14 Depth=2
	s_or_b32 exec_lo, exec_lo, s0
	s_delay_alu instid0(VALU_DEP_1)
	v_cmp_eq_u64_e32 vcc_lo, v[31:32], v[22:23]
	s_mov_b32 s3, exec_lo
	v_cmpx_ne_u64_e64 v[31:32], v[22:23]
	s_xor_b32 s3, exec_lo, s3
; %bb.19:                               ;   in Loop: Header=BB139_14 Depth=2
	v_cmp_lt_i64_e64 s0, v[31:32], v[18:19]
                                        ; implicit-def: $vgpr48
                                        ; implicit-def: $vgpr29_vgpr30
	s_delay_alu instid0(VALU_DEP_1)
	v_cndmask_b32_e64 v19, v19, v32, s0
	v_cndmask_b32_e64 v18, v18, v31, s0
; %bb.20:                               ;   in Loop: Header=BB139_14 Depth=2
	s_or_saveexec_b32 s0, s3
	v_dual_mov_b32 v32, v21 :: v_dual_mov_b32 v31, v20
	s_xor_b32 exec_lo, exec_lo, s0
	s_cbranch_execz .LBB139_13
; %bb.21:                               ;   in Loop: Header=BB139_14 Depth=2
	global_load_b64 v[49:50], v[25:26], off
	v_sub_nc_u32_e32 v6, v48, v24
	v_dual_mov_b32 v32, v30 :: v_dual_mov_b32 v31, v29
	s_delay_alu instid0(VALU_DEP_2)
	v_add_lshl_u32 v6, v0, v6, 3
	ds_store_b8 v33, v47 offset:8192
	s_waitcnt vmcnt(0)
	ds_store_b64 v6, v[49:50]
	s_branch .LBB139_13
.LBB139_22:                             ;   in Loop: Header=BB139_11 Depth=1
	s_or_b32 exec_lo, exec_lo, s27
.LBB139_23:                             ;   in Loop: Header=BB139_11 Depth=1
	s_delay_alu instid0(SALU_CYCLE_1)
	s_or_b32 exec_lo, exec_lo, s1
	ds_bpermute_b32 v20, v36, v31
	ds_bpermute_b32 v21, v36, v32
	s_waitcnt lgkmcnt(0)
	buffer_gl0_inv
	ds_load_u8 v6, v33 offset:8192
	s_mov_b32 s3, exec_lo
	v_cmp_lt_i64_e32 vcc_lo, v[20:21], v[31:32]
	s_waitcnt lgkmcnt(0)
	v_dual_cndmask_b32 v21, v32, v21 :: v_dual_and_b32 v6, 1, v6
	v_cndmask_b32_e32 v20, v31, v20, vcc_lo
	ds_bpermute_b32 v25, v37, v21
	ds_bpermute_b32 v24, v37, v20
	s_waitcnt lgkmcnt(0)
	v_cmp_lt_i64_e32 vcc_lo, v[24:25], v[20:21]
	v_dual_cndmask_b32 v21, v21, v25 :: v_dual_cndmask_b32 v20, v20, v24
	v_mov_b32_e32 v24, 0
	v_mov_b32_e32 v25, 0
	ds_bpermute_b32 v21, v38, v21
	ds_bpermute_b32 v20, v38, v20
	v_cmpx_eq_u32_e32 1, v6
	s_cbranch_execz .LBB139_10
; %bb.24:                               ;   in Loop: Header=BB139_11 Depth=1
	v_mul_lo_u32 v6, s21, v3
	v_mul_lo_u32 v28, s20, v4
	v_mad_u64_u32 v[24:25], null, s20, v3, 0
	v_lshlrev_b64 v[26:27], 3, v[3:4]
	s_delay_alu instid0(VALU_DEP_2) | instskip(SKIP_2) | instid1(VALU_DEP_3)
	v_add3_u32 v25, v25, v28, v6
	v_add_co_u32 v28, vcc_lo, v22, s19
	v_add_co_ci_u32_e32 v29, vcc_lo, 0, v23, vcc_lo
	v_lshlrev_b64 v[24:25], 3, v[24:25]
	v_add_co_u32 v30, vcc_lo, s4, v26
	v_add_co_ci_u32_e32 v31, vcc_lo, s5, v27, vcc_lo
	s_delay_alu instid0(VALU_DEP_3) | instskip(NEXT) | instid1(VALU_DEP_4)
	v_add_co_u32 v23, vcc_lo, v34, v24
	v_add_co_ci_u32_e32 v26, vcc_lo, v35, v25, vcc_lo
	v_add_co_u32 v6, vcc_lo, v39, v24
	v_add_co_ci_u32_e32 v22, vcc_lo, v40, v25, vcc_lo
	global_store_b64 v[30:31], v[28:29], off
	s_and_saveexec_b32 s0, s23
	s_cbranch_execz .LBB139_28
; %bb.25:                               ;   in Loop: Header=BB139_11 Depth=1
	s_and_b32 vcc_lo, exec_lo, s22
	s_cbranch_vccz .LBB139_39
; %bb.26:                               ;   in Loop: Header=BB139_11 Depth=1
	ds_load_b64 v[24:25], v46
	v_add_co_u32 v27, vcc_lo, v23, v10
	v_add_co_ci_u32_e32 v28, vcc_lo, v26, v11, vcc_lo
	s_waitcnt lgkmcnt(0)
	global_store_b64 v[27:28], v[24:25], off
	s_cbranch_execnz .LBB139_28
.LBB139_27:                             ;   in Loop: Header=BB139_11 Depth=1
	ds_load_b64 v[24:25], v46
	v_lshlrev_b32_e32 v27, 3, v7
	s_delay_alu instid0(VALU_DEP_1)
	v_add_co_u32 v27, vcc_lo, v6, v27
	v_add_co_ci_u32_e32 v28, vcc_lo, 0, v22, vcc_lo
	s_waitcnt lgkmcnt(0)
	global_store_b64 v[27:28], v[24:25], off
.LBB139_28:                             ;   in Loop: Header=BB139_11 Depth=1
	s_or_b32 exec_lo, exec_lo, s0
	s_and_saveexec_b32 s0, s24
	s_cbranch_execz .LBB139_32
; %bb.29:                               ;   in Loop: Header=BB139_11 Depth=1
	s_and_not1_b32 vcc_lo, exec_lo, s22
	s_cbranch_vccnz .LBB139_40
; %bb.30:                               ;   in Loop: Header=BB139_11 Depth=1
	ds_load_b64 v[24:25], v46 offset:32
	v_add_co_u32 v27, vcc_lo, v23, v12
	v_add_co_ci_u32_e32 v28, vcc_lo, v26, v13, vcc_lo
	s_waitcnt lgkmcnt(0)
	global_store_b64 v[27:28], v[24:25], off
	s_cbranch_execnz .LBB139_32
.LBB139_31:                             ;   in Loop: Header=BB139_11 Depth=1
	ds_load_b64 v[24:25], v46 offset:32
	v_lshlrev_b32_e32 v27, 3, v7
	s_delay_alu instid0(VALU_DEP_1)
	v_add_co_u32 v27, vcc_lo, v6, v27
	v_add_co_ci_u32_e32 v28, vcc_lo, 0, v22, vcc_lo
	s_waitcnt lgkmcnt(0)
	global_store_b64 v[27:28], v[24:25], off offset:32
.LBB139_32:                             ;   in Loop: Header=BB139_11 Depth=1
	s_or_b32 exec_lo, exec_lo, s0
	s_and_saveexec_b32 s0, s25
	s_cbranch_execz .LBB139_36
; %bb.33:                               ;   in Loop: Header=BB139_11 Depth=1
	s_and_not1_b32 vcc_lo, exec_lo, s22
	s_cbranch_vccnz .LBB139_41
; %bb.34:                               ;   in Loop: Header=BB139_11 Depth=1
	ds_load_b64 v[24:25], v46 offset:64
	v_add_co_u32 v27, vcc_lo, v23, v14
	v_add_co_ci_u32_e32 v28, vcc_lo, v26, v15, vcc_lo
	s_waitcnt lgkmcnt(0)
	global_store_b64 v[27:28], v[24:25], off
	s_cbranch_execnz .LBB139_36
.LBB139_35:                             ;   in Loop: Header=BB139_11 Depth=1
	ds_load_b64 v[24:25], v46 offset:64
	v_lshlrev_b32_e32 v27, 3, v7
	s_delay_alu instid0(VALU_DEP_1)
	v_add_co_u32 v27, vcc_lo, v6, v27
	v_add_co_ci_u32_e32 v28, vcc_lo, 0, v22, vcc_lo
	s_waitcnt lgkmcnt(0)
	global_store_b64 v[27:28], v[24:25], off offset:64
.LBB139_36:                             ;   in Loop: Header=BB139_11 Depth=1
	s_or_b32 exec_lo, exec_lo, s0
	v_mov_b32_e32 v24, 1
	v_mov_b32_e32 v25, 0
	s_and_saveexec_b32 s16, s11
	s_cbranch_execz .LBB139_9
; %bb.37:                               ;   in Loop: Header=BB139_11 Depth=1
	s_and_not1_b32 vcc_lo, exec_lo, s22
	s_cbranch_vccnz .LBB139_42
; %bb.38:                               ;   in Loop: Header=BB139_11 Depth=1
	ds_load_b64 v[24:25], v46 offset:96
	v_add_co_u32 v27, vcc_lo, v23, v16
	v_add_co_ci_u32_e32 v28, vcc_lo, v26, v17, vcc_lo
	s_mov_b64 s[0:1], 1
	s_waitcnt lgkmcnt(0)
	global_store_b64 v[27:28], v[24:25], off
	s_cbranch_execnz .LBB139_8
	s_branch .LBB139_43
.LBB139_39:                             ;   in Loop: Header=BB139_11 Depth=1
	s_branch .LBB139_27
.LBB139_40:                             ;   in Loop: Header=BB139_11 Depth=1
	s_branch .LBB139_31
.LBB139_41:                             ;   in Loop: Header=BB139_11 Depth=1
	s_branch .LBB139_35
.LBB139_42:                             ;   in Loop: Header=BB139_11 Depth=1
                                        ; implicit-def: $sgpr0_sgpr1
.LBB139_43:                             ;   in Loop: Header=BB139_11 Depth=1
	ds_load_b64 v[23:24], v46 offset:96
	v_lshlrev_b32_e32 v25, 3, v7
	s_mov_b64 s[0:1], 1
	s_delay_alu instid0(VALU_DEP_1)
	v_add_co_u32 v25, vcc_lo, v6, v25
	v_add_co_ci_u32_e32 v26, vcc_lo, 0, v22, vcc_lo
	s_waitcnt lgkmcnt(0)
	global_store_b64 v[25:26], v[23:24], off offset:96
	s_branch .LBB139_8
.LBB139_44:
	s_endpgm
	.section	.rodata,"a",@progbits
	.p2align	6, 0x0
	.amdhsa_kernel _ZN9rocsparseL42csr2bsr_wavefront_per_row_multipass_kernelILj256ELj64ELj16EdllEEv20rocsparse_direction_T4_S2_S2_S2_S2_21rocsparse_index_base_PKT2_PKT3_PKS2_S3_PS4_PS7_PS2_
		.amdhsa_group_segment_fixed_size 8200
		.amdhsa_private_segment_fixed_size 0
		.amdhsa_kernarg_size 112
		.amdhsa_user_sgpr_count 15
		.amdhsa_user_sgpr_dispatch_ptr 0
		.amdhsa_user_sgpr_queue_ptr 0
		.amdhsa_user_sgpr_kernarg_segment_ptr 1
		.amdhsa_user_sgpr_dispatch_id 0
		.amdhsa_user_sgpr_private_segment_size 0
		.amdhsa_wavefront_size32 1
		.amdhsa_uses_dynamic_stack 0
		.amdhsa_enable_private_segment 0
		.amdhsa_system_sgpr_workgroup_id_x 1
		.amdhsa_system_sgpr_workgroup_id_y 0
		.amdhsa_system_sgpr_workgroup_id_z 0
		.amdhsa_system_sgpr_workgroup_info 0
		.amdhsa_system_vgpr_workitem_id 0
		.amdhsa_next_free_vgpr 58
		.amdhsa_next_free_sgpr 29
		.amdhsa_reserve_vcc 1
		.amdhsa_float_round_mode_32 0
		.amdhsa_float_round_mode_16_64 0
		.amdhsa_float_denorm_mode_32 3
		.amdhsa_float_denorm_mode_16_64 3
		.amdhsa_dx10_clamp 1
		.amdhsa_ieee_mode 1
		.amdhsa_fp16_overflow 0
		.amdhsa_workgroup_processor_mode 1
		.amdhsa_memory_ordered 1
		.amdhsa_forward_progress 0
		.amdhsa_shared_vgpr_count 0
		.amdhsa_exception_fp_ieee_invalid_op 0
		.amdhsa_exception_fp_denorm_src 0
		.amdhsa_exception_fp_ieee_div_zero 0
		.amdhsa_exception_fp_ieee_overflow 0
		.amdhsa_exception_fp_ieee_underflow 0
		.amdhsa_exception_fp_ieee_inexact 0
		.amdhsa_exception_int_div_zero 0
	.end_amdhsa_kernel
	.section	.text._ZN9rocsparseL42csr2bsr_wavefront_per_row_multipass_kernelILj256ELj64ELj16EdllEEv20rocsparse_direction_T4_S2_S2_S2_S2_21rocsparse_index_base_PKT2_PKT3_PKS2_S3_PS4_PS7_PS2_,"axG",@progbits,_ZN9rocsparseL42csr2bsr_wavefront_per_row_multipass_kernelILj256ELj64ELj16EdllEEv20rocsparse_direction_T4_S2_S2_S2_S2_21rocsparse_index_base_PKT2_PKT3_PKS2_S3_PS4_PS7_PS2_,comdat
.Lfunc_end139:
	.size	_ZN9rocsparseL42csr2bsr_wavefront_per_row_multipass_kernelILj256ELj64ELj16EdllEEv20rocsparse_direction_T4_S2_S2_S2_S2_21rocsparse_index_base_PKT2_PKT3_PKS2_S3_PS4_PS7_PS2_, .Lfunc_end139-_ZN9rocsparseL42csr2bsr_wavefront_per_row_multipass_kernelILj256ELj64ELj16EdllEEv20rocsparse_direction_T4_S2_S2_S2_S2_21rocsparse_index_base_PKT2_PKT3_PKS2_S3_PS4_PS7_PS2_
                                        ; -- End function
	.section	.AMDGPU.csdata,"",@progbits
; Kernel info:
; codeLenInByte = 3304
; NumSgprs: 31
; NumVgprs: 58
; ScratchSize: 0
; MemoryBound: 0
; FloatMode: 240
; IeeeMode: 1
; LDSByteSize: 8200 bytes/workgroup (compile time only)
; SGPRBlocks: 3
; VGPRBlocks: 7
; NumSGPRsForWavesPerEU: 31
; NumVGPRsForWavesPerEU: 58
; Occupancy: 16
; WaveLimiterHint : 0
; COMPUTE_PGM_RSRC2:SCRATCH_EN: 0
; COMPUTE_PGM_RSRC2:USER_SGPR: 15
; COMPUTE_PGM_RSRC2:TRAP_HANDLER: 0
; COMPUTE_PGM_RSRC2:TGID_X_EN: 1
; COMPUTE_PGM_RSRC2:TGID_Y_EN: 0
; COMPUTE_PGM_RSRC2:TGID_Z_EN: 0
; COMPUTE_PGM_RSRC2:TIDIG_COMP_CNT: 0
	.section	.text._ZN9rocsparseL42csr2bsr_wavefront_per_row_multipass_kernelILj256ELj32ELj16EdllEEv20rocsparse_direction_T4_S2_S2_S2_S2_21rocsparse_index_base_PKT2_PKT3_PKS2_S3_PS4_PS7_PS2_,"axG",@progbits,_ZN9rocsparseL42csr2bsr_wavefront_per_row_multipass_kernelILj256ELj32ELj16EdllEEv20rocsparse_direction_T4_S2_S2_S2_S2_21rocsparse_index_base_PKT2_PKT3_PKS2_S3_PS4_PS7_PS2_,comdat
	.globl	_ZN9rocsparseL42csr2bsr_wavefront_per_row_multipass_kernelILj256ELj32ELj16EdllEEv20rocsparse_direction_T4_S2_S2_S2_S2_21rocsparse_index_base_PKT2_PKT3_PKS2_S3_PS4_PS7_PS2_ ; -- Begin function _ZN9rocsparseL42csr2bsr_wavefront_per_row_multipass_kernelILj256ELj32ELj16EdllEEv20rocsparse_direction_T4_S2_S2_S2_S2_21rocsparse_index_base_PKT2_PKT3_PKS2_S3_PS4_PS7_PS2_
	.p2align	8
	.type	_ZN9rocsparseL42csr2bsr_wavefront_per_row_multipass_kernelILj256ELj32ELj16EdllEEv20rocsparse_direction_T4_S2_S2_S2_S2_21rocsparse_index_base_PKT2_PKT3_PKS2_S3_PS4_PS7_PS2_,@function
_ZN9rocsparseL42csr2bsr_wavefront_per_row_multipass_kernelILj256ELj32ELj16EdllEEv20rocsparse_direction_T4_S2_S2_S2_S2_21rocsparse_index_base_PKT2_PKT3_PKS2_S3_PS4_PS7_PS2_: ; @_ZN9rocsparseL42csr2bsr_wavefront_per_row_multipass_kernelILj256ELj32ELj16EdllEEv20rocsparse_direction_T4_S2_S2_S2_S2_21rocsparse_index_base_PKT2_PKT3_PKS2_S3_PS4_PS7_PS2_
; %bb.0:
	s_load_b64 s[12:13], s[0:1], 0x28
	v_lshrrev_b32_e32 v39, 5, v0
	s_mov_b32 s4, s15
	s_ashr_i32 s5, s15, 31
	s_clause 0x1
	s_load_b64 s[14:15], s[0:1], 0x8
	s_load_b128 s[8:11], s[0:1], 0x18
	s_lshl_b64 s[2:3], s[4:5], 3
	v_mov_b32_e32 v7, 0
	v_or_b32_e32 v1, s2, v39
	v_bfe_u32 v6, v0, 1, 4
	s_clause 0x1
	s_load_b32 s20, s[0:1], 0x30
	s_load_b64 s[6:7], s[0:1], 0x40
	s_waitcnt lgkmcnt(0)
	v_mul_lo_u32 v2, v1, s13
	v_mad_u64_u32 v[3:4], null, v1, s12, v[6:7]
	s_mul_i32 s2, s3, s12
	s_delay_alu instid0(VALU_DEP_1) | instid1(SALU_CYCLE_1)
	v_add3_u32 v4, s2, v4, v2
	v_mov_b32_e32 v1, 0
	v_mov_b32_e32 v2, 0
	v_cmp_gt_i64_e64 s2, s[12:13], v[6:7]
	s_delay_alu instid0(VALU_DEP_4) | instskip(NEXT) | instid1(VALU_DEP_3)
	v_cmp_gt_i64_e32 vcc_lo, s[14:15], v[3:4]
	v_dual_mov_b32 v25, v2 :: v_dual_mov_b32 v24, v1
	s_delay_alu instid0(VALU_DEP_3) | instskip(NEXT) | instid1(SALU_CYCLE_1)
	s_and_b32 s3, s2, vcc_lo
	s_and_saveexec_b32 s5, s3
	s_cbranch_execz .LBB140_2
; %bb.1:
	v_lshlrev_b64 v[7:8], 3, v[3:4]
	s_delay_alu instid0(VALU_DEP_1) | instskip(NEXT) | instid1(VALU_DEP_2)
	v_add_co_u32 v7, vcc_lo, s6, v7
	v_add_co_ci_u32_e32 v8, vcc_lo, s7, v8, vcc_lo
	global_load_b64 v[7:8], v[7:8], off
	s_waitcnt vmcnt(0)
	v_sub_co_u32 v24, vcc_lo, v7, s20
	v_subrev_co_ci_u32_e32 v25, vcc_lo, 0, v8, vcc_lo
.LBB140_2:
	s_or_b32 exec_lo, exec_lo, s5
	s_and_saveexec_b32 s5, s3
	s_cbranch_execz .LBB140_4
; %bb.3:
	v_lshlrev_b64 v[1:2], 3, v[3:4]
	s_delay_alu instid0(VALU_DEP_1) | instskip(NEXT) | instid1(VALU_DEP_2)
	v_add_co_u32 v1, vcc_lo, s6, v1
	v_add_co_ci_u32_e32 v2, vcc_lo, s7, v2, vcc_lo
	global_load_b64 v[1:2], v[1:2], off offset:8
	s_waitcnt vmcnt(0)
	v_sub_co_u32 v1, vcc_lo, v1, s20
	v_subrev_co_ci_u32_e32 v2, vcc_lo, 0, v2, vcc_lo
.LBB140_4:
	s_or_b32 exec_lo, exec_lo, s5
	s_load_b32 s21, s[0:1], 0x50
	v_dual_mov_b32 v8, 0 :: v_dual_mov_b32 v3, 0
	v_lshl_or_b32 v7, s4, 3, v39
	v_mov_b32_e32 v4, 0
	s_mov_b32 s3, exec_lo
	s_delay_alu instid0(VALU_DEP_2)
	v_cmpx_gt_i64_e64 s[8:9], v[7:8]
	s_cbranch_execz .LBB140_6
; %bb.5:
	s_load_b64 s[4:5], s[0:1], 0x60
	v_lshlrev_b64 v[3:4], 3, v[7:8]
	s_waitcnt lgkmcnt(0)
	s_delay_alu instid0(VALU_DEP_1) | instskip(NEXT) | instid1(VALU_DEP_2)
	v_add_co_u32 v3, vcc_lo, s4, v3
	v_add_co_ci_u32_e32 v4, vcc_lo, s5, v4, vcc_lo
	global_load_b64 v[3:4], v[3:4], off
	s_waitcnt vmcnt(0)
	v_sub_co_u32 v3, vcc_lo, v3, s21
	v_subrev_co_ci_u32_e32 v4, vcc_lo, 0, v4, vcc_lo
.LBB140_6:
	s_or_b32 exec_lo, exec_lo, s3
	v_cmp_lt_i64_e64 s3, s[10:11], 1
	s_delay_alu instid0(VALU_DEP_1)
	s_and_b32 vcc_lo, exec_lo, s3
	s_cbranch_vccnz .LBB140_64
; %bb.7:
	s_clause 0x1
	s_load_b64 s[4:5], s[0:1], 0x58
	s_load_b64 s[8:9], s[0:1], 0x68
	v_mad_u64_u32 v[9:10], null, v6, s12, 0
	v_lshlrev_b32_e32 v8, 3, v6
	v_mbcnt_lo_u32_b32 v12, -1, 0
	s_clause 0x2
	s_load_b64 s[14:15], s[0:1], 0x48
	s_load_b64 s[16:17], s[0:1], 0x38
	s_load_b32 s0, s[0:1], 0x0
	v_mov_b32_e32 v5, 0
	s_mul_i32 s3, s12, s13
	s_mul_hi_u32 s6, s12, s12
	v_mov_b32_e32 v7, v10
	v_xor_b32_e32 v13, 1, v12
	s_add_i32 s6, s6, s3
	v_lshl_or_b32 v43, v12, 2, 4
	s_add_i32 s22, s6, s3
	v_mad_u64_u32 v[10:11], null, v6, s13, v[7:8]
	v_cmp_gt_i32_e32 vcc_lo, 32, v13
	v_and_b32_e32 v7, 1, v0
	s_mov_b32 s18, 0
	s_waitcnt lgkmcnt(0)
	v_add_co_u32 v40, s1, s4, v8
	v_lshlrev_b32_e32 v8, 8, v39
	v_lshlrev_b64 v[9:10], 3, v[9:10]
	v_dual_cndmask_b32 v11, v12, v13 :: v_dual_mov_b32 v16, v5
	s_cmp_lg_u32 s0, 0
	s_delay_alu instid0(VALU_DEP_3) | instskip(SKIP_1) | instid1(VALU_DEP_4)
	v_lshl_or_b32 v0, v6, 4, v8
	v_xor_b32_e32 v6, 16, v12
	v_add_co_u32 v44, vcc_lo, s4, v9
	v_add_co_ci_u32_e32 v45, vcc_lo, s5, v10, vcc_lo
	v_xor_b32_e32 v9, 8, v12
	s_delay_alu instid0(VALU_DEP_4)
	v_cmp_gt_i32_e32 vcc_lo, 32, v6
	v_xor_b32_e32 v10, 4, v12
	v_mov_b32_e32 v8, v5
	v_add_co_ci_u32_e64 v41, null, s5, 0, s1
	v_cndmask_b32_e32 v6, v12, v6, vcc_lo
	v_cmp_gt_i32_e32 vcc_lo, 32, v9
	v_lshlrev_b32_e32 v42, 2, v11
	v_xor_b32_e32 v11, 2, v12
	v_or_b32_e32 v15, 6, v7
	v_mul_lo_u32 v22, v7, s13
	v_cndmask_b32_e32 v9, v12, v9, vcc_lo
	v_cmp_gt_i32_e32 vcc_lo, 32, v10
	v_mul_lo_u32 v21, v7, s12
	v_mad_u64_u32 v[19:20], null, v15, s12, 0
	s_delay_alu instid0(VALU_DEP_4)
	v_dual_cndmask_b32 v10, v12, v10 :: v_dual_lshlrev_b32 v47, 2, v9
	v_cmp_gt_i32_e32 vcc_lo, 32, v11
	v_or_b32_e32 v9, 2, v7
	v_lshlrev_b32_e32 v46, 2, v6
	v_or_b32_e32 v6, v0, v7
	v_dual_cndmask_b32 v11, v12, v11 :: v_dual_lshlrev_b32 v48, 2, v10
	s_delay_alu instid0(VALU_DEP_4) | instskip(NEXT) | instid1(VALU_DEP_3)
	v_mad_u64_u32 v[13:14], null, v9, s12, 0
	v_lshlrev_b32_e32 v51, 3, v6
	v_cmp_gt_u64_e32 vcc_lo, s[12:13], v[7:8]
	s_delay_alu instid0(VALU_DEP_4)
	v_dual_mov_b32 v50, 0x7c :: v_dual_lshlrev_b32 v49, 2, v11
	v_or_b32_e32 v11, 4, v7
	v_mov_b32_e32 v10, v5
	v_mov_b32_e32 v6, v14
	v_cmp_gt_u64_e64 s3, s[12:13], v[15:16]
	s_mul_i32 s23, s12, s12
	v_mad_u64_u32 v[17:18], null, v11, s12, 0
	s_delay_alu instid0(VALU_DEP_3)
	v_mad_u64_u32 v[26:27], null, v9, s13, v[6:7]
	v_mov_b32_e32 v6, v20
	v_cmp_gt_u64_e64 s0, s[12:13], v[9:10]
	v_or_b32_e32 v10, 10, v7
	s_cselect_b32 s24, -1, 0
	v_mov_b32_e32 v8, v18
	s_and_b32 s25, s2, vcc_lo
	v_mov_b32_e32 v14, v26
	v_mad_u64_u32 v[30:31], null, v10, s12, 0
	s_delay_alu instid0(VALU_DEP_3)
	v_mad_u64_u32 v[27:28], null, v11, s13, v[8:9]
	v_mad_u64_u32 v[28:29], null, v15, s13, v[6:7]
	v_or_b32_e32 v8, 8, v7
	v_or_b32_e32 v15, 12, v7
	v_mov_b32_e32 v9, v5
	v_dual_mov_b32 v29, v5 :: v_dual_mov_b32 v18, v27
	s_delay_alu instid0(VALU_DEP_4)
	v_mad_u64_u32 v[26:27], null, v8, s12, 0
	v_mov_b32_e32 v20, v28
	v_or_b32_e32 v28, 14, v7
	v_mad_u64_u32 v[32:33], null, v15, s12, 0
	v_cmp_gt_u64_e64 s4, s[12:13], v[8:9]
	v_mov_b32_e32 v9, v31
	s_delay_alu instid0(VALU_DEP_4)
	v_mad_u64_u32 v[34:35], null, v28, s12, 0
	v_mov_b32_e32 v6, v27
	v_cmp_gt_u64_e64 s7, s[12:13], v[28:29]
	s_and_b32 s26, s2, s0
	s_and_b32 s28, s2, s3
	;; [unrolled: 1-line block ×3, first 2 shown]
	v_mad_u64_u32 v[36:37], null, v8, s13, v[6:7]
	v_mov_b32_e32 v6, v33
	v_mov_b32_e32 v8, v35
	v_mad_u64_u32 v[37:38], null, v10, s13, v[9:10]
	v_mov_b32_e32 v12, v5
	s_delay_alu instid0(VALU_DEP_4) | instskip(SKIP_2) | instid1(VALU_DEP_4)
	v_mad_u64_u32 v[52:53], null, v15, s13, v[6:7]
	v_mov_b32_e32 v27, v36
	v_mad_u64_u32 v[53:54], null, v28, s13, v[8:9]
	v_cmp_gt_u64_e64 s1, s[12:13], v[11:12]
	v_mov_b32_e32 v11, v5
	v_mov_b32_e32 v31, v37
	;; [unrolled: 1-line block ×3, first 2 shown]
	v_cmp_gt_u64_e64 s6, s[12:13], v[15:16]
	v_dual_mov_b32 v28, 0 :: v_dual_mov_b32 v35, v53
	v_cmp_gt_u64_e64 s5, s[12:13], v[10:11]
	v_mov_b32_e32 v29, 0
	v_lshlrev_b64 v[8:9], 3, v[21:22]
	v_lshlrev_b64 v[10:11], 3, v[13:14]
	;; [unrolled: 1-line block ×8, first 2 shown]
	v_mov_b32_e32 v52, 1
	s_and_b32 s27, s2, s1
	s_and_b32 s30, s2, s5
	;; [unrolled: 1-line block ×4, first 2 shown]
	s_mov_b32 s19, s18
	s_ashr_i32 s2, s13, 31
	s_sub_i32 s31, 0, s12
	s_mov_b32 s33, s18
	s_branch .LBB140_11
.LBB140_8:                              ;   in Loop: Header=BB140_11 Depth=1
	v_dual_mov_b32 v31, s1 :: v_dual_mov_b32 v30, s0
.LBB140_9:                              ;   in Loop: Header=BB140_11 Depth=1
	s_or_b32 exec_lo, exec_lo, s4
.LBB140_10:                             ;   in Loop: Header=BB140_11 Depth=1
	s_delay_alu instid0(SALU_CYCLE_1) | instskip(SKIP_3) | instid1(VALU_DEP_1)
	s_or_b32 exec_lo, exec_lo, s3
	ds_bpermute_b32 v28, v46, v26
	ds_bpermute_b32 v29, v46, v27
	v_add_co_u32 v3, s0, v30, v3
	v_add_co_ci_u32_e64 v4, s0, v31, v4, s0
	s_waitcnt lgkmcnt(0)
	s_waitcnt_vscnt null, 0x0
	buffer_gl0_inv
	buffer_gl0_inv
	v_cmp_lt_i64_e32 vcc_lo, v[28:29], v[26:27]
	v_dual_cndmask_b32 v27, v27, v29 :: v_dual_cndmask_b32 v26, v26, v28
	ds_bpermute_b32 v29, v47, v27
	ds_bpermute_b32 v28, v47, v26
	s_waitcnt lgkmcnt(0)
	v_cmp_lt_i64_e32 vcc_lo, v[28:29], v[26:27]
	v_dual_cndmask_b32 v27, v27, v29 :: v_dual_cndmask_b32 v26, v26, v28
	ds_bpermute_b32 v29, v48, v27
	ds_bpermute_b32 v28, v48, v26
	s_waitcnt lgkmcnt(0)
	v_cmp_lt_i64_e32 vcc_lo, v[28:29], v[26:27]
	v_dual_cndmask_b32 v27, v27, v29 :: v_dual_cndmask_b32 v26, v26, v28
	ds_bpermute_b32 v29, v49, v27
	ds_bpermute_b32 v28, v49, v26
	s_waitcnt lgkmcnt(0)
	v_cmp_lt_i64_e32 vcc_lo, v[28:29], v[26:27]
	v_dual_cndmask_b32 v27, v27, v29 :: v_dual_cndmask_b32 v26, v26, v28
	ds_bpermute_b32 v29, v42, v27
	ds_bpermute_b32 v28, v42, v26
	s_waitcnt lgkmcnt(0)
	v_cmp_lt_i64_e32 vcc_lo, v[28:29], v[26:27]
	v_cndmask_b32_e32 v6, v27, v29, vcc_lo
	v_cndmask_b32_e32 v26, v26, v28, vcc_lo
	ds_bpermute_b32 v29, v50, v6
	ds_bpermute_b32 v28, v50, v26
	s_waitcnt lgkmcnt(0)
	v_cmp_le_i64_e32 vcc_lo, s[10:11], v[28:29]
	s_or_b32 s33, vcc_lo, s33
	s_delay_alu instid0(SALU_CYCLE_1)
	s_and_not1_b32 exec_lo, exec_lo, s33
	s_cbranch_execz .LBB140_64
.LBB140_11:                             ; =>This Loop Header: Depth=1
                                        ;     Child Loop BB140_14 Depth 2
	v_add_co_u32 v24, vcc_lo, v24, v7
	v_dual_mov_b32 v31, s19 :: v_dual_mov_b32 v30, s18
	v_add_co_ci_u32_e32 v25, vcc_lo, 0, v25, vcc_lo
	v_dual_mov_b32 v27, s11 :: v_dual_mov_b32 v26, s10
	v_dual_mov_b32 v38, v2 :: v_dual_mov_b32 v37, v1
	s_mov_b32 s1, exec_lo
	ds_store_b8 v39, v5 offset:16384
	ds_store_2addr_b64 v51, v[30:31], v[30:31] offset1:2
	ds_store_2addr_b64 v51, v[30:31], v[30:31] offset0:4 offset1:6
	ds_store_2addr_b64 v51, v[30:31], v[30:31] offset0:8 offset1:10
	ds_store_2addr_b64 v51, v[30:31], v[30:31] offset0:12 offset1:14
	s_waitcnt lgkmcnt(0)
	buffer_gl0_inv
	v_cmpx_lt_i64_e64 v[24:25], v[1:2]
	s_cbranch_execz .LBB140_23
; %bb.12:                               ;   in Loop: Header=BB140_11 Depth=1
	v_lshlrev_b64 v[26:27], 3, v[24:25]
	v_mad_u64_u32 v[30:31], null, v28, s12, 0
	v_dual_mov_b32 v36, v2 :: v_dual_mov_b32 v35, v1
	s_mov_b32 s34, 0
	s_delay_alu instid0(VALU_DEP_3) | instskip(NEXT) | instid1(VALU_DEP_4)
	v_add_co_u32 v31, vcc_lo, s16, v26
	v_add_co_ci_u32_e32 v32, vcc_lo, s17, v27, vcc_lo
	v_add_co_u32 v33, vcc_lo, s14, v26
	v_add_co_ci_u32_e32 v34, vcc_lo, s15, v27, vcc_lo
	v_dual_mov_b32 v27, s11 :: v_dual_mov_b32 v26, s10
	s_branch .LBB140_14
.LBB140_13:                             ;   in Loop: Header=BB140_14 Depth=2
	s_or_b32 exec_lo, exec_lo, s0
	v_add_co_u32 v24, s0, v24, 2
	s_delay_alu instid0(VALU_DEP_1) | instskip(SKIP_2) | instid1(VALU_DEP_2)
	v_add_co_ci_u32_e64 v25, s0, 0, v25, s0
	s_xor_b32 s3, vcc_lo, -1
	v_add_co_u32 v31, vcc_lo, v31, 16
	v_cmp_ge_i64_e64 s0, v[24:25], v[1:2]
	v_add_co_ci_u32_e32 v32, vcc_lo, 0, v32, vcc_lo
	v_add_co_u32 v33, vcc_lo, v33, 16
	v_add_co_ci_u32_e32 v34, vcc_lo, 0, v34, vcc_lo
	s_delay_alu instid0(VALU_DEP_4) | instskip(SKIP_2) | instid1(SALU_CYCLE_1)
	s_or_b32 s0, s3, s0
	v_dual_mov_b32 v35, v37 :: v_dual_mov_b32 v36, v38
	s_and_b32 s0, exec_lo, s0
	s_or_b32 s34, s0, s34
	s_delay_alu instid0(SALU_CYCLE_1)
	s_and_not1_b32 exec_lo, exec_lo, s34
	s_cbranch_execz .LBB140_22
.LBB140_14:                             ;   Parent Loop BB140_11 Depth=1
                                        ; =>  This Inner Loop Header: Depth=2
	global_load_b64 v[37:38], v[33:34], off
	s_mov_b32 s0, exec_lo
	s_waitcnt vmcnt(0)
	v_sub_co_u32 v53, vcc_lo, v37, s20
	v_subrev_co_ci_u32_e32 v54, vcc_lo, 0, v38, vcc_lo
                                        ; implicit-def: $vgpr37_vgpr38
	s_delay_alu instid0(VALU_DEP_1) | instskip(NEXT) | instid1(VALU_DEP_1)
	v_or_b32_e32 v6, s13, v54
	v_cmpx_ne_u64_e32 0, v[5:6]
	s_xor_b32 s35, exec_lo, s0
	s_cbranch_execz .LBB140_16
; %bb.15:                               ;   in Loop: Header=BB140_14 Depth=2
	s_add_u32 s4, s12, s2
	s_mov_b32 s3, s2
	s_addc_u32 s5, s13, s2
	s_delay_alu instid0(SALU_CYCLE_1) | instskip(NEXT) | instid1(SALU_CYCLE_1)
	s_xor_b64 s[4:5], s[4:5], s[2:3]
	v_cvt_f32_u32_e32 v6, s4
	v_cvt_f32_u32_e32 v37, s5
	s_sub_u32 s0, 0, s4
	s_subb_u32 s3, 0, s5
	s_delay_alu instid0(VALU_DEP_1) | instskip(NEXT) | instid1(VALU_DEP_1)
	v_fmac_f32_e32 v6, 0x4f800000, v37
	v_rcp_f32_e32 v6, v6
	s_waitcnt_depctr 0xfff
	v_mul_f32_e32 v6, 0x5f7ffffc, v6
	s_delay_alu instid0(VALU_DEP_1) | instskip(NEXT) | instid1(VALU_DEP_1)
	v_mul_f32_e32 v37, 0x2f800000, v6
	v_trunc_f32_e32 v37, v37
	s_delay_alu instid0(VALU_DEP_1) | instskip(SKIP_1) | instid1(VALU_DEP_2)
	v_fmac_f32_e32 v6, 0xcf800000, v37
	v_cvt_u32_f32_e32 v37, v37
	v_cvt_u32_f32_e32 v6, v6
	s_delay_alu instid0(VALU_DEP_2) | instskip(NEXT) | instid1(VALU_DEP_2)
	v_mul_lo_u32 v38, s0, v37
	v_mul_hi_u32 v55, s0, v6
	v_mul_lo_u32 v56, s3, v6
	s_delay_alu instid0(VALU_DEP_2) | instskip(SKIP_1) | instid1(VALU_DEP_2)
	v_add_nc_u32_e32 v38, v55, v38
	v_mul_lo_u32 v55, s0, v6
	v_add_nc_u32_e32 v38, v38, v56
	s_delay_alu instid0(VALU_DEP_2) | instskip(NEXT) | instid1(VALU_DEP_2)
	v_mul_hi_u32 v56, v6, v55
	v_mul_lo_u32 v57, v6, v38
	v_mul_hi_u32 v58, v6, v38
	v_mul_hi_u32 v59, v37, v55
	v_mul_lo_u32 v55, v37, v55
	v_mul_hi_u32 v60, v37, v38
	v_mul_lo_u32 v38, v37, v38
	v_add_co_u32 v56, vcc_lo, v56, v57
	v_add_co_ci_u32_e32 v57, vcc_lo, 0, v58, vcc_lo
	s_delay_alu instid0(VALU_DEP_2) | instskip(NEXT) | instid1(VALU_DEP_2)
	v_add_co_u32 v55, vcc_lo, v56, v55
	v_add_co_ci_u32_e32 v55, vcc_lo, v57, v59, vcc_lo
	v_add_co_ci_u32_e32 v56, vcc_lo, 0, v60, vcc_lo
	v_ashrrev_i32_e32 v59, 31, v54
	s_delay_alu instid0(VALU_DEP_3) | instskip(NEXT) | instid1(VALU_DEP_3)
	v_add_co_u32 v38, vcc_lo, v55, v38
	v_add_co_ci_u32_e32 v55, vcc_lo, 0, v56, vcc_lo
	s_delay_alu instid0(VALU_DEP_2) | instskip(NEXT) | instid1(VALU_DEP_2)
	v_add_co_u32 v6, vcc_lo, v6, v38
	v_add_co_ci_u32_e32 v37, vcc_lo, v37, v55, vcc_lo
	s_delay_alu instid0(VALU_DEP_2) | instskip(SKIP_1) | instid1(VALU_DEP_3)
	v_mul_hi_u32 v38, s0, v6
	v_mul_lo_u32 v56, s3, v6
	v_mul_lo_u32 v55, s0, v37
	s_delay_alu instid0(VALU_DEP_1) | instskip(SKIP_1) | instid1(VALU_DEP_2)
	v_add_nc_u32_e32 v38, v38, v55
	v_mul_lo_u32 v55, s0, v6
	v_add_nc_u32_e32 v38, v38, v56
	s_delay_alu instid0(VALU_DEP_2) | instskip(NEXT) | instid1(VALU_DEP_2)
	v_mul_hi_u32 v56, v6, v55
	v_mul_lo_u32 v57, v6, v38
	v_mul_hi_u32 v58, v6, v38
	v_mul_hi_u32 v60, v37, v55
	v_mul_lo_u32 v55, v37, v55
	v_mul_hi_u32 v61, v37, v38
	v_mul_lo_u32 v38, v37, v38
	v_add_co_u32 v56, vcc_lo, v56, v57
	v_add_co_ci_u32_e32 v57, vcc_lo, 0, v58, vcc_lo
	s_delay_alu instid0(VALU_DEP_2) | instskip(NEXT) | instid1(VALU_DEP_2)
	v_add_co_u32 v55, vcc_lo, v56, v55
	v_add_co_ci_u32_e32 v55, vcc_lo, v57, v60, vcc_lo
	v_add_co_ci_u32_e32 v56, vcc_lo, 0, v61, vcc_lo
	v_add_co_u32 v57, vcc_lo, v53, v59
	v_add_co_ci_u32_e32 v54, vcc_lo, v54, v59, vcc_lo
	s_delay_alu instid0(VALU_DEP_4) | instskip(NEXT) | instid1(VALU_DEP_4)
	v_add_co_u32 v38, vcc_lo, v55, v38
	v_add_co_ci_u32_e32 v55, vcc_lo, 0, v56, vcc_lo
	s_delay_alu instid0(VALU_DEP_4) | instskip(NEXT) | instid1(VALU_DEP_3)
	v_xor_b32_e32 v58, v57, v59
	v_add_co_u32 v6, vcc_lo, v6, v38
	s_delay_alu instid0(VALU_DEP_3) | instskip(SKIP_1) | instid1(VALU_DEP_3)
	v_add_co_ci_u32_e32 v60, vcc_lo, v37, v55, vcc_lo
	v_xor_b32_e32 v61, v54, v59
	v_mul_hi_u32 v62, v58, v6
	s_delay_alu instid0(VALU_DEP_3) | instskip(NEXT) | instid1(VALU_DEP_3)
	v_mad_u64_u32 v[37:38], null, v58, v60, 0
	v_mad_u64_u32 v[54:55], null, v61, v6, 0
	;; [unrolled: 1-line block ×3, first 2 shown]
	s_delay_alu instid0(VALU_DEP_3) | instskip(NEXT) | instid1(VALU_DEP_4)
	v_add_co_u32 v6, vcc_lo, v62, v37
	v_add_co_ci_u32_e32 v37, vcc_lo, 0, v38, vcc_lo
	s_delay_alu instid0(VALU_DEP_2) | instskip(NEXT) | instid1(VALU_DEP_2)
	v_add_co_u32 v6, vcc_lo, v6, v54
	v_add_co_ci_u32_e32 v6, vcc_lo, v37, v55, vcc_lo
	v_add_co_ci_u32_e32 v37, vcc_lo, 0, v57, vcc_lo
	s_delay_alu instid0(VALU_DEP_2) | instskip(NEXT) | instid1(VALU_DEP_2)
	v_add_co_u32 v6, vcc_lo, v6, v56
	v_add_co_ci_u32_e32 v54, vcc_lo, 0, v37, vcc_lo
	s_delay_alu instid0(VALU_DEP_2) | instskip(SKIP_1) | instid1(VALU_DEP_3)
	v_mul_lo_u32 v55, s5, v6
	v_mad_u64_u32 v[37:38], null, s4, v6, 0
	v_mul_lo_u32 v56, s4, v54
	s_delay_alu instid0(VALU_DEP_2) | instskip(NEXT) | instid1(VALU_DEP_2)
	v_sub_co_u32 v37, vcc_lo, v58, v37
	v_add3_u32 v38, v38, v56, v55
	s_delay_alu instid0(VALU_DEP_1) | instskip(NEXT) | instid1(VALU_DEP_1)
	v_sub_nc_u32_e32 v55, v61, v38
	v_subrev_co_ci_u32_e64 v55, s0, s5, v55, vcc_lo
	v_add_co_u32 v56, s0, v6, 2
	s_delay_alu instid0(VALU_DEP_1) | instskip(SKIP_3) | instid1(VALU_DEP_3)
	v_add_co_ci_u32_e64 v57, s0, 0, v54, s0
	v_sub_co_u32 v58, s0, v37, s4
	v_sub_co_ci_u32_e32 v38, vcc_lo, v61, v38, vcc_lo
	v_subrev_co_ci_u32_e64 v55, s0, 0, v55, s0
	v_cmp_le_u32_e32 vcc_lo, s4, v58
	s_delay_alu instid0(VALU_DEP_3) | instskip(SKIP_1) | instid1(VALU_DEP_4)
	v_cmp_eq_u32_e64 s0, s5, v38
	v_cndmask_b32_e64 v58, 0, -1, vcc_lo
	v_cmp_le_u32_e32 vcc_lo, s5, v55
	v_cndmask_b32_e64 v60, 0, -1, vcc_lo
	v_cmp_le_u32_e32 vcc_lo, s4, v37
	;; [unrolled: 2-line block ×3, first 2 shown]
	v_cndmask_b32_e64 v61, 0, -1, vcc_lo
	v_cmp_eq_u32_e32 vcc_lo, s5, v55
	s_delay_alu instid0(VALU_DEP_2) | instskip(SKIP_3) | instid1(VALU_DEP_3)
	v_cndmask_b32_e64 v37, v61, v37, s0
	v_cndmask_b32_e32 v55, v60, v58, vcc_lo
	v_add_co_u32 v58, vcc_lo, v6, 1
	v_add_co_ci_u32_e32 v60, vcc_lo, 0, v54, vcc_lo
	v_cmp_ne_u32_e32 vcc_lo, 0, v55
	s_delay_alu instid0(VALU_DEP_2) | instskip(SKIP_2) | instid1(VALU_DEP_3)
	v_dual_cndmask_b32 v38, v60, v57 :: v_dual_cndmask_b32 v55, v58, v56
	v_cmp_ne_u32_e32 vcc_lo, 0, v37
	v_xor_b32_e32 v56, s2, v59
	v_cndmask_b32_e32 v37, v54, v38, vcc_lo
	s_delay_alu instid0(VALU_DEP_4) | instskip(NEXT) | instid1(VALU_DEP_2)
	v_cndmask_b32_e32 v6, v6, v55, vcc_lo
	v_xor_b32_e32 v38, v37, v56
	s_delay_alu instid0(VALU_DEP_2) | instskip(NEXT) | instid1(VALU_DEP_1)
	v_xor_b32_e32 v6, v6, v56
	v_sub_co_u32 v37, vcc_lo, v6, v56
	s_delay_alu instid0(VALU_DEP_3)
	v_sub_co_ci_u32_e32 v38, vcc_lo, v38, v56, vcc_lo
.LBB140_16:                             ;   in Loop: Header=BB140_14 Depth=2
	s_and_not1_saveexec_b32 s0, s35
	s_cbranch_execz .LBB140_18
; %bb.17:                               ;   in Loop: Header=BB140_14 Depth=2
	v_cvt_f32_u32_e32 v6, s12
	s_delay_alu instid0(VALU_DEP_1) | instskip(SKIP_2) | instid1(VALU_DEP_1)
	v_rcp_iflag_f32_e32 v6, v6
	s_waitcnt_depctr 0xfff
	v_mul_f32_e32 v6, 0x4f7ffffe, v6
	v_cvt_u32_f32_e32 v6, v6
	s_delay_alu instid0(VALU_DEP_1) | instskip(NEXT) | instid1(VALU_DEP_1)
	v_mul_lo_u32 v37, s31, v6
	v_mul_hi_u32 v37, v6, v37
	s_delay_alu instid0(VALU_DEP_1) | instskip(NEXT) | instid1(VALU_DEP_1)
	v_add_nc_u32_e32 v6, v6, v37
	v_mul_hi_u32 v6, v53, v6
	s_delay_alu instid0(VALU_DEP_1) | instskip(SKIP_1) | instid1(VALU_DEP_2)
	v_mul_lo_u32 v37, v6, s12
	v_add_nc_u32_e32 v38, 1, v6
	v_sub_nc_u32_e32 v37, v53, v37
	s_delay_alu instid0(VALU_DEP_1) | instskip(SKIP_1) | instid1(VALU_DEP_2)
	v_subrev_nc_u32_e32 v54, s12, v37
	v_cmp_le_u32_e32 vcc_lo, s12, v37
	v_cndmask_b32_e32 v37, v37, v54, vcc_lo
	v_cndmask_b32_e32 v6, v6, v38, vcc_lo
	s_delay_alu instid0(VALU_DEP_2) | instskip(NEXT) | instid1(VALU_DEP_2)
	v_cmp_le_u32_e32 vcc_lo, s12, v37
	v_add_nc_u32_e32 v38, 1, v6
	s_delay_alu instid0(VALU_DEP_1)
	v_dual_cndmask_b32 v37, v6, v38 :: v_dual_mov_b32 v38, v5
.LBB140_18:                             ;   in Loop: Header=BB140_14 Depth=2
	s_or_b32 exec_lo, exec_lo, s0
	s_delay_alu instid0(VALU_DEP_1)
	v_cmp_eq_u64_e32 vcc_lo, v[37:38], v[28:29]
	s_mov_b32 s3, exec_lo
	v_cmpx_ne_u64_e64 v[37:38], v[28:29]
	s_xor_b32 s3, exec_lo, s3
; %bb.19:                               ;   in Loop: Header=BB140_14 Depth=2
	v_cmp_lt_i64_e64 s0, v[37:38], v[26:27]
                                        ; implicit-def: $vgpr53
                                        ; implicit-def: $vgpr35_vgpr36
	s_delay_alu instid0(VALU_DEP_1)
	v_cndmask_b32_e64 v27, v27, v38, s0
	v_cndmask_b32_e64 v26, v26, v37, s0
; %bb.20:                               ;   in Loop: Header=BB140_14 Depth=2
	s_or_saveexec_b32 s0, s3
	v_dual_mov_b32 v38, v25 :: v_dual_mov_b32 v37, v24
	s_xor_b32 exec_lo, exec_lo, s0
	s_cbranch_execz .LBB140_13
; %bb.21:                               ;   in Loop: Header=BB140_14 Depth=2
	global_load_b64 v[54:55], v[31:32], off
	v_sub_nc_u32_e32 v6, v53, v30
	v_dual_mov_b32 v38, v36 :: v_dual_mov_b32 v37, v35
	s_delay_alu instid0(VALU_DEP_2)
	v_add_lshl_u32 v6, v0, v6, 3
	ds_store_b8 v39, v52 offset:16384
	s_waitcnt vmcnt(0)
	ds_store_b64 v6, v[54:55]
	s_branch .LBB140_13
.LBB140_22:                             ;   in Loop: Header=BB140_11 Depth=1
	s_or_b32 exec_lo, exec_lo, s34
.LBB140_23:                             ;   in Loop: Header=BB140_11 Depth=1
	s_delay_alu instid0(SALU_CYCLE_1)
	s_or_b32 exec_lo, exec_lo, s1
	ds_bpermute_b32 v24, v42, v37
	ds_bpermute_b32 v25, v42, v38
	s_waitcnt lgkmcnt(0)
	buffer_gl0_inv
	ds_load_u8 v6, v39 offset:16384
	v_mov_b32_e32 v30, 0
	s_mov_b32 s3, exec_lo
	v_mov_b32_e32 v31, 0
	v_cmp_lt_i64_e32 vcc_lo, v[24:25], v[37:38]
	s_waitcnt lgkmcnt(0)
	v_dual_cndmask_b32 v25, v38, v25 :: v_dual_and_b32 v6, 1, v6
	v_cndmask_b32_e32 v24, v37, v24, vcc_lo
	ds_bpermute_b32 v25, v43, v25
	ds_bpermute_b32 v24, v43, v24
	v_cmpx_eq_u32_e32 1, v6
	s_cbranch_execz .LBB140_10
; %bb.24:                               ;   in Loop: Header=BB140_11 Depth=1
	v_mul_lo_u32 v6, s22, v3
	v_mul_lo_u32 v34, s23, v4
	v_mad_u64_u32 v[30:31], null, s23, v3, 0
	v_lshlrev_b64 v[32:33], 3, v[3:4]
	s_delay_alu instid0(VALU_DEP_2) | instskip(SKIP_2) | instid1(VALU_DEP_3)
	v_add3_u32 v31, v31, v34, v6
	v_add_co_u32 v34, vcc_lo, v28, s21
	v_add_co_ci_u32_e32 v35, vcc_lo, 0, v29, vcc_lo
	v_lshlrev_b64 v[30:31], 3, v[30:31]
	v_add_co_u32 v36, vcc_lo, s8, v32
	v_add_co_ci_u32_e32 v37, vcc_lo, s9, v33, vcc_lo
	s_delay_alu instid0(VALU_DEP_3) | instskip(NEXT) | instid1(VALU_DEP_4)
	v_add_co_u32 v29, vcc_lo, v40, v30
	v_add_co_ci_u32_e32 v32, vcc_lo, v41, v31, vcc_lo
	v_add_co_u32 v6, vcc_lo, v44, v30
	v_add_co_ci_u32_e32 v28, vcc_lo, v45, v31, vcc_lo
	global_store_b64 v[36:37], v[34:35], off
	s_and_saveexec_b32 s0, s25
	s_cbranch_execz .LBB140_28
; %bb.25:                               ;   in Loop: Header=BB140_11 Depth=1
	s_and_b32 vcc_lo, exec_lo, s24
	s_cbranch_vccz .LBB140_55
; %bb.26:                               ;   in Loop: Header=BB140_11 Depth=1
	ds_load_b64 v[30:31], v51
	v_add_co_u32 v33, vcc_lo, v29, v8
	v_add_co_ci_u32_e32 v34, vcc_lo, v32, v9, vcc_lo
	s_waitcnt lgkmcnt(0)
	global_store_b64 v[33:34], v[30:31], off
	s_cbranch_execnz .LBB140_28
.LBB140_27:                             ;   in Loop: Header=BB140_11 Depth=1
	ds_load_b64 v[30:31], v51
	v_lshlrev_b32_e32 v33, 3, v7
	s_delay_alu instid0(VALU_DEP_1)
	v_add_co_u32 v33, vcc_lo, v6, v33
	v_add_co_ci_u32_e32 v34, vcc_lo, 0, v28, vcc_lo
	s_waitcnt lgkmcnt(0)
	global_store_b64 v[33:34], v[30:31], off
.LBB140_28:                             ;   in Loop: Header=BB140_11 Depth=1
	s_or_b32 exec_lo, exec_lo, s0
	s_and_saveexec_b32 s0, s26
	s_cbranch_execz .LBB140_32
; %bb.29:                               ;   in Loop: Header=BB140_11 Depth=1
	s_and_not1_b32 vcc_lo, exec_lo, s24
	s_cbranch_vccnz .LBB140_56
; %bb.30:                               ;   in Loop: Header=BB140_11 Depth=1
	ds_load_b64 v[30:31], v51 offset:16
	v_add_co_u32 v33, vcc_lo, v29, v10
	v_add_co_ci_u32_e32 v34, vcc_lo, v32, v11, vcc_lo
	s_waitcnt lgkmcnt(0)
	global_store_b64 v[33:34], v[30:31], off
	s_cbranch_execnz .LBB140_32
.LBB140_31:                             ;   in Loop: Header=BB140_11 Depth=1
	ds_load_b64 v[30:31], v51 offset:16
	v_lshlrev_b32_e32 v33, 3, v7
	s_delay_alu instid0(VALU_DEP_1)
	v_add_co_u32 v33, vcc_lo, v6, v33
	v_add_co_ci_u32_e32 v34, vcc_lo, 0, v28, vcc_lo
	s_waitcnt lgkmcnt(0)
	global_store_b64 v[33:34], v[30:31], off offset:16
.LBB140_32:                             ;   in Loop: Header=BB140_11 Depth=1
	s_or_b32 exec_lo, exec_lo, s0
	s_and_saveexec_b32 s0, s27
	s_cbranch_execz .LBB140_36
; %bb.33:                               ;   in Loop: Header=BB140_11 Depth=1
	s_and_not1_b32 vcc_lo, exec_lo, s24
	s_cbranch_vccnz .LBB140_57
; %bb.34:                               ;   in Loop: Header=BB140_11 Depth=1
	ds_load_b64 v[30:31], v51 offset:32
	v_add_co_u32 v33, vcc_lo, v29, v12
	v_add_co_ci_u32_e32 v34, vcc_lo, v32, v13, vcc_lo
	s_waitcnt lgkmcnt(0)
	global_store_b64 v[33:34], v[30:31], off
	s_cbranch_execnz .LBB140_36
.LBB140_35:                             ;   in Loop: Header=BB140_11 Depth=1
	ds_load_b64 v[30:31], v51 offset:32
	v_lshlrev_b32_e32 v33, 3, v7
	s_delay_alu instid0(VALU_DEP_1)
	v_add_co_u32 v33, vcc_lo, v6, v33
	v_add_co_ci_u32_e32 v34, vcc_lo, 0, v28, vcc_lo
	s_waitcnt lgkmcnt(0)
	global_store_b64 v[33:34], v[30:31], off offset:32
.LBB140_36:                             ;   in Loop: Header=BB140_11 Depth=1
	s_or_b32 exec_lo, exec_lo, s0
	s_and_saveexec_b32 s0, s28
	s_cbranch_execz .LBB140_40
; %bb.37:                               ;   in Loop: Header=BB140_11 Depth=1
	s_and_not1_b32 vcc_lo, exec_lo, s24
	s_cbranch_vccnz .LBB140_58
; %bb.38:                               ;   in Loop: Header=BB140_11 Depth=1
	ds_load_b64 v[30:31], v51 offset:48
	v_add_co_u32 v33, vcc_lo, v29, v14
	v_add_co_ci_u32_e32 v34, vcc_lo, v32, v15, vcc_lo
	s_waitcnt lgkmcnt(0)
	global_store_b64 v[33:34], v[30:31], off
	s_cbranch_execnz .LBB140_40
.LBB140_39:                             ;   in Loop: Header=BB140_11 Depth=1
	ds_load_b64 v[30:31], v51 offset:48
	v_lshlrev_b32_e32 v33, 3, v7
	s_delay_alu instid0(VALU_DEP_1)
	v_add_co_u32 v33, vcc_lo, v6, v33
	v_add_co_ci_u32_e32 v34, vcc_lo, 0, v28, vcc_lo
	s_waitcnt lgkmcnt(0)
	global_store_b64 v[33:34], v[30:31], off offset:48
.LBB140_40:                             ;   in Loop: Header=BB140_11 Depth=1
	s_or_b32 exec_lo, exec_lo, s0
	s_and_saveexec_b32 s0, s29
	s_cbranch_execz .LBB140_44
; %bb.41:                               ;   in Loop: Header=BB140_11 Depth=1
	s_and_not1_b32 vcc_lo, exec_lo, s24
	s_cbranch_vccnz .LBB140_59
; %bb.42:                               ;   in Loop: Header=BB140_11 Depth=1
	ds_load_b64 v[30:31], v51 offset:64
	v_add_co_u32 v33, vcc_lo, v29, v16
	v_add_co_ci_u32_e32 v34, vcc_lo, v32, v17, vcc_lo
	s_waitcnt lgkmcnt(0)
	global_store_b64 v[33:34], v[30:31], off
	s_cbranch_execnz .LBB140_44
.LBB140_43:                             ;   in Loop: Header=BB140_11 Depth=1
	ds_load_b64 v[30:31], v51 offset:64
	v_lshlrev_b32_e32 v33, 3, v7
	s_delay_alu instid0(VALU_DEP_1)
	v_add_co_u32 v33, vcc_lo, v6, v33
	v_add_co_ci_u32_e32 v34, vcc_lo, 0, v28, vcc_lo
	s_waitcnt lgkmcnt(0)
	global_store_b64 v[33:34], v[30:31], off offset:64
.LBB140_44:                             ;   in Loop: Header=BB140_11 Depth=1
	s_or_b32 exec_lo, exec_lo, s0
	s_and_saveexec_b32 s0, s30
	s_cbranch_execz .LBB140_48
; %bb.45:                               ;   in Loop: Header=BB140_11 Depth=1
	s_and_not1_b32 vcc_lo, exec_lo, s24
	s_cbranch_vccnz .LBB140_60
; %bb.46:                               ;   in Loop: Header=BB140_11 Depth=1
	ds_load_b64 v[30:31], v51 offset:80
	v_add_co_u32 v33, vcc_lo, v29, v18
	v_add_co_ci_u32_e32 v34, vcc_lo, v32, v19, vcc_lo
	s_waitcnt lgkmcnt(0)
	global_store_b64 v[33:34], v[30:31], off
	s_cbranch_execnz .LBB140_48
.LBB140_47:                             ;   in Loop: Header=BB140_11 Depth=1
	ds_load_b64 v[30:31], v51 offset:80
	v_lshlrev_b32_e32 v33, 3, v7
	s_delay_alu instid0(VALU_DEP_1)
	v_add_co_u32 v33, vcc_lo, v6, v33
	v_add_co_ci_u32_e32 v34, vcc_lo, 0, v28, vcc_lo
	s_waitcnt lgkmcnt(0)
	global_store_b64 v[33:34], v[30:31], off offset:80
.LBB140_48:                             ;   in Loop: Header=BB140_11 Depth=1
	s_or_b32 exec_lo, exec_lo, s0
	s_and_saveexec_b32 s0, s6
	s_cbranch_execz .LBB140_52
; %bb.49:                               ;   in Loop: Header=BB140_11 Depth=1
	s_and_not1_b32 vcc_lo, exec_lo, s24
	s_cbranch_vccnz .LBB140_61
; %bb.50:                               ;   in Loop: Header=BB140_11 Depth=1
	ds_load_b64 v[30:31], v51 offset:96
	v_add_co_u32 v33, vcc_lo, v29, v20
	v_add_co_ci_u32_e32 v34, vcc_lo, v32, v21, vcc_lo
	s_waitcnt lgkmcnt(0)
	global_store_b64 v[33:34], v[30:31], off
	s_cbranch_execnz .LBB140_52
.LBB140_51:                             ;   in Loop: Header=BB140_11 Depth=1
	ds_load_b64 v[30:31], v51 offset:96
	v_lshlrev_b32_e32 v33, 3, v7
	s_delay_alu instid0(VALU_DEP_1)
	v_add_co_u32 v33, vcc_lo, v6, v33
	v_add_co_ci_u32_e32 v34, vcc_lo, 0, v28, vcc_lo
	s_waitcnt lgkmcnt(0)
	global_store_b64 v[33:34], v[30:31], off offset:96
.LBB140_52:                             ;   in Loop: Header=BB140_11 Depth=1
	s_or_b32 exec_lo, exec_lo, s0
	v_mov_b32_e32 v30, 1
	v_mov_b32_e32 v31, 0
	s_and_saveexec_b32 s4, s7
	s_cbranch_execz .LBB140_9
; %bb.53:                               ;   in Loop: Header=BB140_11 Depth=1
	s_and_not1_b32 vcc_lo, exec_lo, s24
	s_cbranch_vccnz .LBB140_62
; %bb.54:                               ;   in Loop: Header=BB140_11 Depth=1
	ds_load_b64 v[30:31], v51 offset:112
	v_add_co_u32 v33, vcc_lo, v29, v22
	v_add_co_ci_u32_e32 v34, vcc_lo, v32, v23, vcc_lo
	s_mov_b64 s[0:1], 1
	s_waitcnt lgkmcnt(0)
	global_store_b64 v[33:34], v[30:31], off
	s_cbranch_execnz .LBB140_8
	s_branch .LBB140_63
.LBB140_55:                             ;   in Loop: Header=BB140_11 Depth=1
	s_branch .LBB140_27
.LBB140_56:                             ;   in Loop: Header=BB140_11 Depth=1
	s_branch .LBB140_31
.LBB140_57:                             ;   in Loop: Header=BB140_11 Depth=1
	s_branch .LBB140_35
.LBB140_58:                             ;   in Loop: Header=BB140_11 Depth=1
	s_branch .LBB140_39
.LBB140_59:                             ;   in Loop: Header=BB140_11 Depth=1
	s_branch .LBB140_43
.LBB140_60:                             ;   in Loop: Header=BB140_11 Depth=1
	s_branch .LBB140_47
.LBB140_61:                             ;   in Loop: Header=BB140_11 Depth=1
	s_branch .LBB140_51
.LBB140_62:                             ;   in Loop: Header=BB140_11 Depth=1
                                        ; implicit-def: $sgpr0_sgpr1
.LBB140_63:                             ;   in Loop: Header=BB140_11 Depth=1
	ds_load_b64 v[29:30], v51 offset:112
	v_lshlrev_b32_e32 v31, 3, v7
	s_mov_b64 s[0:1], 1
	s_delay_alu instid0(VALU_DEP_1)
	v_add_co_u32 v31, vcc_lo, v6, v31
	v_add_co_ci_u32_e32 v32, vcc_lo, 0, v28, vcc_lo
	s_waitcnt lgkmcnt(0)
	global_store_b64 v[31:32], v[29:30], off offset:112
	s_branch .LBB140_8
.LBB140_64:
	s_endpgm
	.section	.rodata,"a",@progbits
	.p2align	6, 0x0
	.amdhsa_kernel _ZN9rocsparseL42csr2bsr_wavefront_per_row_multipass_kernelILj256ELj32ELj16EdllEEv20rocsparse_direction_T4_S2_S2_S2_S2_21rocsparse_index_base_PKT2_PKT3_PKS2_S3_PS4_PS7_PS2_
		.amdhsa_group_segment_fixed_size 16392
		.amdhsa_private_segment_fixed_size 0
		.amdhsa_kernarg_size 112
		.amdhsa_user_sgpr_count 15
		.amdhsa_user_sgpr_dispatch_ptr 0
		.amdhsa_user_sgpr_queue_ptr 0
		.amdhsa_user_sgpr_kernarg_segment_ptr 1
		.amdhsa_user_sgpr_dispatch_id 0
		.amdhsa_user_sgpr_private_segment_size 0
		.amdhsa_wavefront_size32 1
		.amdhsa_uses_dynamic_stack 0
		.amdhsa_enable_private_segment 0
		.amdhsa_system_sgpr_workgroup_id_x 1
		.amdhsa_system_sgpr_workgroup_id_y 0
		.amdhsa_system_sgpr_workgroup_id_z 0
		.amdhsa_system_sgpr_workgroup_info 0
		.amdhsa_system_vgpr_workitem_id 0
		.amdhsa_next_free_vgpr 63
		.amdhsa_next_free_sgpr 36
		.amdhsa_reserve_vcc 1
		.amdhsa_float_round_mode_32 0
		.amdhsa_float_round_mode_16_64 0
		.amdhsa_float_denorm_mode_32 3
		.amdhsa_float_denorm_mode_16_64 3
		.amdhsa_dx10_clamp 1
		.amdhsa_ieee_mode 1
		.amdhsa_fp16_overflow 0
		.amdhsa_workgroup_processor_mode 1
		.amdhsa_memory_ordered 1
		.amdhsa_forward_progress 0
		.amdhsa_shared_vgpr_count 0
		.amdhsa_exception_fp_ieee_invalid_op 0
		.amdhsa_exception_fp_denorm_src 0
		.amdhsa_exception_fp_ieee_div_zero 0
		.amdhsa_exception_fp_ieee_overflow 0
		.amdhsa_exception_fp_ieee_underflow 0
		.amdhsa_exception_fp_ieee_inexact 0
		.amdhsa_exception_int_div_zero 0
	.end_amdhsa_kernel
	.section	.text._ZN9rocsparseL42csr2bsr_wavefront_per_row_multipass_kernelILj256ELj32ELj16EdllEEv20rocsparse_direction_T4_S2_S2_S2_S2_21rocsparse_index_base_PKT2_PKT3_PKS2_S3_PS4_PS7_PS2_,"axG",@progbits,_ZN9rocsparseL42csr2bsr_wavefront_per_row_multipass_kernelILj256ELj32ELj16EdllEEv20rocsparse_direction_T4_S2_S2_S2_S2_21rocsparse_index_base_PKT2_PKT3_PKS2_S3_PS4_PS7_PS2_,comdat
.Lfunc_end140:
	.size	_ZN9rocsparseL42csr2bsr_wavefront_per_row_multipass_kernelILj256ELj32ELj16EdllEEv20rocsparse_direction_T4_S2_S2_S2_S2_21rocsparse_index_base_PKT2_PKT3_PKS2_S3_PS4_PS7_PS2_, .Lfunc_end140-_ZN9rocsparseL42csr2bsr_wavefront_per_row_multipass_kernelILj256ELj32ELj16EdllEEv20rocsparse_direction_T4_S2_S2_S2_S2_21rocsparse_index_base_PKT2_PKT3_PKS2_S3_PS4_PS7_PS2_
                                        ; -- End function
	.section	.AMDGPU.csdata,"",@progbits
; Kernel info:
; codeLenInByte = 3848
; NumSgprs: 38
; NumVgprs: 63
; ScratchSize: 0
; MemoryBound: 0
; FloatMode: 240
; IeeeMode: 1
; LDSByteSize: 16392 bytes/workgroup (compile time only)
; SGPRBlocks: 4
; VGPRBlocks: 7
; NumSGPRsForWavesPerEU: 38
; NumVGPRsForWavesPerEU: 63
; Occupancy: 14
; WaveLimiterHint : 0
; COMPUTE_PGM_RSRC2:SCRATCH_EN: 0
; COMPUTE_PGM_RSRC2:USER_SGPR: 15
; COMPUTE_PGM_RSRC2:TRAP_HANDLER: 0
; COMPUTE_PGM_RSRC2:TGID_X_EN: 1
; COMPUTE_PGM_RSRC2:TGID_Y_EN: 0
; COMPUTE_PGM_RSRC2:TGID_Z_EN: 0
; COMPUTE_PGM_RSRC2:TIDIG_COMP_CNT: 0
	.section	.text._ZN9rocsparseL38csr2bsr_block_per_row_multipass_kernelILj256ELj32EdllEEv20rocsparse_direction_T3_S2_S2_S2_S2_21rocsparse_index_base_PKT1_PKT2_PKS2_S3_PS4_PS7_PS2_,"axG",@progbits,_ZN9rocsparseL38csr2bsr_block_per_row_multipass_kernelILj256ELj32EdllEEv20rocsparse_direction_T3_S2_S2_S2_S2_21rocsparse_index_base_PKT1_PKT2_PKS2_S3_PS4_PS7_PS2_,comdat
	.globl	_ZN9rocsparseL38csr2bsr_block_per_row_multipass_kernelILj256ELj32EdllEEv20rocsparse_direction_T3_S2_S2_S2_S2_21rocsparse_index_base_PKT1_PKT2_PKS2_S3_PS4_PS7_PS2_ ; -- Begin function _ZN9rocsparseL38csr2bsr_block_per_row_multipass_kernelILj256ELj32EdllEEv20rocsparse_direction_T3_S2_S2_S2_S2_21rocsparse_index_base_PKT1_PKT2_PKS2_S3_PS4_PS7_PS2_
	.p2align	8
	.type	_ZN9rocsparseL38csr2bsr_block_per_row_multipass_kernelILj256ELj32EdllEEv20rocsparse_direction_T3_S2_S2_S2_S2_21rocsparse_index_base_PKT1_PKT2_PKS2_S3_PS4_PS7_PS2_,@function
_ZN9rocsparseL38csr2bsr_block_per_row_multipass_kernelILj256ELj32EdllEEv20rocsparse_direction_T3_S2_S2_S2_S2_21rocsparse_index_base_PKT1_PKT2_PKS2_S3_PS4_PS7_PS2_: ; @_ZN9rocsparseL38csr2bsr_block_per_row_multipass_kernelILj256ELj32EdllEEv20rocsparse_direction_T3_S2_S2_S2_S2_21rocsparse_index_base_PKT1_PKT2_PKS2_S3_PS4_PS7_PS2_
; %bb.0:
	s_mov_b32 s2, s15
	s_clause 0x1
	s_load_b128 s[12:15], s[0:1], 0x20
	s_load_b64 s[6:7], s[0:1], 0x8
	v_mov_b32_e32 v5, 0
	v_lshrrev_b32_e32 v4, 3, v0
	v_mov_b32_e32 v1, 0
	v_mov_b32_e32 v2, 0
	s_clause 0x1
	s_load_b32 s28, s[0:1], 0x30
	s_load_b64 s[4:5], s[0:1], 0x40
	s_ashr_i32 s3, s2, 31
	v_dual_mov_b32 v17, v2 :: v_dual_mov_b32 v16, v1
	s_waitcnt lgkmcnt(0)
	v_mad_u64_u32 v[6:7], null, s2, s14, v[4:5]
	s_mul_i32 s8, s2, s15
	s_mul_i32 s9, s3, s14
	s_delay_alu instid0(VALU_DEP_1) | instid1(SALU_CYCLE_1)
	v_add3_u32 v7, s8, s9, v7
	v_cmp_gt_i64_e64 s9, s[14:15], v[4:5]
	s_delay_alu instid0(VALU_DEP_2) | instskip(NEXT) | instid1(VALU_DEP_2)
	v_cmp_gt_i64_e32 vcc_lo, s[6:7], v[6:7]
	s_and_b32 s6, s9, vcc_lo
	s_delay_alu instid0(SALU_CYCLE_1)
	s_and_saveexec_b32 s7, s6
	s_cbranch_execnz .LBB141_3
; %bb.1:
	s_or_b32 exec_lo, exec_lo, s7
	s_and_saveexec_b32 s7, s6
	s_cbranch_execnz .LBB141_4
.LBB141_2:
	s_or_b32 exec_lo, exec_lo, s7
	v_cmp_lt_i64_e64 s4, s[12:13], 1
	s_delay_alu instid0(VALU_DEP_1)
	s_and_b32 vcc_lo, exec_lo, s4
	s_cbranch_vccz .LBB141_5
	s_branch .LBB141_45
.LBB141_3:
	v_lshlrev_b64 v[8:9], 3, v[6:7]
	s_delay_alu instid0(VALU_DEP_1) | instskip(NEXT) | instid1(VALU_DEP_2)
	v_add_co_u32 v8, vcc_lo, s4, v8
	v_add_co_ci_u32_e32 v9, vcc_lo, s5, v9, vcc_lo
	global_load_b64 v[8:9], v[8:9], off
	s_waitcnt vmcnt(0)
	v_sub_co_u32 v16, vcc_lo, v8, s28
	v_subrev_co_ci_u32_e32 v17, vcc_lo, 0, v9, vcc_lo
	s_or_b32 exec_lo, exec_lo, s7
	s_and_saveexec_b32 s7, s6
	s_cbranch_execz .LBB141_2
.LBB141_4:
	v_lshlrev_b64 v[1:2], 3, v[6:7]
	s_delay_alu instid0(VALU_DEP_1) | instskip(NEXT) | instid1(VALU_DEP_2)
	v_add_co_u32 v1, vcc_lo, s4, v1
	v_add_co_ci_u32_e32 v2, vcc_lo, s5, v2, vcc_lo
	global_load_b64 v[1:2], v[1:2], off offset:8
	s_waitcnt vmcnt(0)
	v_sub_co_u32 v1, vcc_lo, v1, s28
	v_subrev_co_ci_u32_e32 v2, vcc_lo, 0, v2, vcc_lo
	s_or_b32 exec_lo, exec_lo, s7
	v_cmp_lt_i64_e64 s4, s[12:13], 1
	s_delay_alu instid0(VALU_DEP_1)
	s_and_b32 vcc_lo, exec_lo, s4
	s_cbranch_vccnz .LBB141_45
.LBB141_5:
	v_mbcnt_lo_u32_b32 v11, -1, 0
	v_mad_u64_u32 v[7:8], null, v4, s14, 0
	v_and_b32_e32 v5, 7, v0
	s_clause 0x2
	s_load_b128 s[4:7], s[0:1], 0x58
	s_load_b64 s[16:17], s[0:1], 0x68
	s_load_b32 s29, s[0:1], 0x50
	v_xor_b32_e32 v9, 4, v11
	v_xor_b32_e32 v12, 2, v11
	;; [unrolled: 1-line block ×3, first 2 shown]
	v_dual_mov_b32 v3, 0 :: v_dual_lshlrev_b32 v10, 3, v4
	v_mov_b32_e32 v6, v8
	v_cmp_gt_i32_e32 vcc_lo, 32, v9
	v_lshlrev_b32_e32 v28, 5, v4
	s_mul_i32 s8, s14, s15
	s_mul_hi_u32 s10, s14, s14
	v_dual_cndmask_b32 v14, v11, v9 :: v_dual_lshlrev_b32 v37, 3, v0
	v_mad_u64_u32 v[8:9], null, v4, s15, v[6:7]
	v_cmp_gt_i32_e32 vcc_lo, 32, v12
	s_clause 0x2
	s_load_b64 s[18:19], s[0:1], 0x48
	s_load_b64 s[20:21], s[0:1], 0x38
	s_load_b32 s11, s[0:1], 0x0
	v_lshlrev_b32_e32 v29, 2, v14
	s_lshl_b64 s[0:1], s[2:3], 3
	s_add_i32 s2, s10, s8
	v_cndmask_b32_e32 v4, v11, v12, vcc_lo
	v_lshlrev_b64 v[7:8], 3, v[7:8]
	v_cmp_gt_i32_e32 vcc_lo, 32, v13
	s_add_i32 s31, s2, s8
	s_waitcnt lgkmcnt(0)
	s_add_u32 s0, s6, s0
	v_lshlrev_b32_e32 v30, 2, v4
	v_lshlrev_b32_e32 v4, 3, v5
	v_cndmask_b32_e32 v9, v11, v13, vcc_lo
	v_add_co_u32 v7, vcc_lo, s4, v7
	v_add_co_ci_u32_e32 v8, vcc_lo, s5, v8, vcc_lo
	v_lshl_or_b32 v34, v11, 2, 28
	v_mov_b32_e32 v11, v3
	s_delay_alu instid0(VALU_DEP_4)
	v_add_co_u32 v35, vcc_lo, v7, v4
	s_addc_u32 s1, s7, s1
	v_dual_mov_b32 v6, v3 :: v_dual_lshlrev_b32 v33, 2, v9
	v_add_co_ci_u32_e32 v36, vcc_lo, 0, v8, vcc_lo
	v_mad_u64_u32 v[8:9], null, v5, s14, 0
	s_load_b64 s[0:1], s[0:1], 0x0
	v_add_co_u32 v31, s2, s4, v10
	v_cmp_gt_i64_e32 vcc_lo, s[14:15], v[5:6]
	v_or_b32_e32 v6, 8, v5
	v_or_b32_e32 v7, v28, v5
	v_mov_b32_e32 v4, v9
	v_add_co_ci_u32_e64 v32, null, s5, 0, s2
	s_delay_alu instid0(VALU_DEP_4) | instskip(NEXT) | instid1(VALU_DEP_3)
	v_mad_u64_u32 v[12:13], null, v6, s14, 0
	v_mad_u64_u32 v[9:10], null, v5, s15, v[4:5]
	v_or_b32_e32 v10, 16, v5
	v_cmp_gt_u32_e64 s2, 64, v0
	v_cmp_gt_u32_e64 s3, 32, v0
	;; [unrolled: 1-line block ×4, first 2 shown]
	v_mad_u64_u32 v[18:19], null, v10, s14, 0
	s_waitcnt lgkmcnt(0)
	s_sub_u32 s22, s0, s29
	s_subb_u32 s23, s1, 0
	v_cmp_gt_u32_e64 s1, 0x80, v0
	v_cmp_gt_u32_e64 s6, 4, v0
	;; [unrolled: 1-line block ×3, first 2 shown]
	v_cmp_eq_u32_e64 s8, 0, v0
	v_dual_mov_b32 v15, v3 :: v_dual_lshlrev_b32 v0, 3, v7
	v_or_b32_e32 v14, 24, v5
	v_mov_b32_e32 v7, v3
	s_cmp_eq_u32 s11, 0
	v_mov_b32_e32 v4, v13
	s_cselect_b32 s0, -1, 0
	s_and_b32 s33, s9, vcc_lo
	v_mad_u64_u32 v[20:21], null, v14, s14, 0
	v_cmp_gt_i64_e32 vcc_lo, s[14:15], v[6:7]
	v_mov_b32_e32 v7, v19
	v_mad_u64_u32 v[22:23], null, v6, s15, v[4:5]
	s_mov_b32 s24, 0
	v_cmp_gt_i64_e64 s10, s[14:15], v[10:11]
	s_delay_alu instid0(VALU_DEP_3) | instskip(SKIP_2) | instid1(VALU_DEP_4)
	v_mad_u64_u32 v[23:24], null, v10, s15, v[7:8]
	v_mov_b32_e32 v4, v21
	s_mov_b32 s25, s24
	v_mov_b32_e32 v13, v22
	s_and_b32 s34, s9, vcc_lo
	v_cmp_gt_i64_e32 vcc_lo, s[14:15], v[14:15]
	v_lshlrev_b64 v[8:9], 3, v[8:9]
	v_mov_b32_e32 v19, v23
	v_mad_u64_u32 v[6:7], null, v14, s15, v[4:5]
	v_lshlrev_b64 v[10:11], 3, v[12:13]
	v_mov_b32_e32 v38, 1
	s_delay_alu instid0(VALU_DEP_4) | instskip(SKIP_3) | instid1(VALU_DEP_4)
	v_lshlrev_b64 v[12:13], 3, v[18:19]
	s_mul_i32 s30, s14, s14
	s_and_b32 s35, s9, s10
	s_and_b32 s36, s9, vcc_lo
	v_dual_mov_b32 v21, v6 :: v_dual_mov_b32 v6, s24
	v_mov_b32_e32 v7, s25
	s_mov_b64 s[24:25], 0
	s_ashr_i32 s10, s15, 31
	s_delay_alu instid0(VALU_DEP_2)
	v_lshlrev_b64 v[14:15], 3, v[20:21]
	s_branch .LBB141_7
.LBB141_6:                              ;   in Loop: Header=BB141_7 Depth=1
	s_or_b32 exec_lo, exec_lo, s9
	s_waitcnt lgkmcnt(0)
	s_barrier
	buffer_gl0_inv
	ds_load_b64 v[18:19], v3
	s_add_u32 s22, s26, s22
	s_addc_u32 s23, s27, s23
	s_waitcnt lgkmcnt(0)
	s_barrier
	buffer_gl0_inv
	v_cmp_gt_i64_e32 vcc_lo, s[12:13], v[18:19]
	v_readfirstlane_b32 s24, v18
	v_readfirstlane_b32 s25, v19
	s_cbranch_vccz .LBB141_45
.LBB141_7:                              ; =>This Loop Header: Depth=1
                                        ;     Child Loop BB141_10 Depth 2
	v_add_co_u32 v16, vcc_lo, v16, v5
	v_add_co_ci_u32_e32 v17, vcc_lo, 0, v17, vcc_lo
	v_dual_mov_b32 v19, s13 :: v_dual_mov_b32 v18, s12
	v_dual_mov_b32 v27, v2 :: v_dual_mov_b32 v26, v1
	s_mov_b32 s37, exec_lo
	ds_store_b8 v3, v3 offset:8192
	ds_store_2addr_b64 v0, v[6:7], v[6:7] offset1:8
	ds_store_2addr_b64 v0, v[6:7], v[6:7] offset0:16 offset1:24
	s_waitcnt lgkmcnt(0)
	s_barrier
	buffer_gl0_inv
	v_cmpx_lt_i64_e64 v[16:17], v[1:2]
	s_cbranch_execz .LBB141_19
; %bb.8:                                ;   in Loop: Header=BB141_7 Depth=1
	v_lshlrev_b64 v[18:19], 3, v[16:17]
	v_dual_mov_b32 v25, v2 :: v_dual_mov_b32 v24, v1
	s_mul_i32 s39, s24, s14
	s_mov_b32 s38, 0
	s_delay_alu instid0(VALU_DEP_2) | instskip(NEXT) | instid1(VALU_DEP_3)
	v_add_co_u32 v20, vcc_lo, s20, v18
	v_add_co_ci_u32_e32 v21, vcc_lo, s21, v19, vcc_lo
	v_add_co_u32 v22, vcc_lo, s18, v18
	v_add_co_ci_u32_e32 v23, vcc_lo, s19, v19, vcc_lo
	v_dual_mov_b32 v19, s13 :: v_dual_mov_b32 v18, s12
	s_branch .LBB141_10
.LBB141_9:                              ;   in Loop: Header=BB141_10 Depth=2
	s_or_b32 exec_lo, exec_lo, s9
	v_add_co_u32 v16, s9, v16, 8
	s_delay_alu instid0(VALU_DEP_1) | instskip(SKIP_2) | instid1(VALU_DEP_2)
	v_add_co_ci_u32_e64 v17, s9, 0, v17, s9
	s_xor_b32 s11, vcc_lo, -1
	v_add_co_u32 v20, vcc_lo, v20, 64
	v_cmp_ge_i64_e64 s9, v[16:17], v[1:2]
	v_add_co_ci_u32_e32 v21, vcc_lo, 0, v21, vcc_lo
	v_add_co_u32 v22, vcc_lo, v22, 64
	v_add_co_ci_u32_e32 v23, vcc_lo, 0, v23, vcc_lo
	s_delay_alu instid0(VALU_DEP_4) | instskip(SKIP_2) | instid1(SALU_CYCLE_1)
	s_or_b32 s9, s11, s9
	v_dual_mov_b32 v24, v26 :: v_dual_mov_b32 v25, v27
	s_and_b32 s9, exec_lo, s9
	s_or_b32 s38, s9, s38
	s_delay_alu instid0(SALU_CYCLE_1)
	s_and_not1_b32 exec_lo, exec_lo, s38
	s_cbranch_execz .LBB141_18
.LBB141_10:                             ;   Parent Loop BB141_7 Depth=1
                                        ; =>  This Inner Loop Header: Depth=2
	global_load_b64 v[26:27], v[22:23], off
	s_mov_b32 s9, exec_lo
	s_waitcnt vmcnt(0)
	v_sub_co_u32 v39, vcc_lo, v26, s28
	v_subrev_co_ci_u32_e32 v40, vcc_lo, 0, v27, vcc_lo
                                        ; implicit-def: $vgpr26_vgpr27
	s_delay_alu instid0(VALU_DEP_1) | instskip(NEXT) | instid1(VALU_DEP_1)
	v_or_b32_e32 v4, s15, v40
	v_cmpx_ne_u64_e32 0, v[3:4]
	s_xor_b32 s40, exec_lo, s9
	s_cbranch_execz .LBB141_12
; %bb.11:                               ;   in Loop: Header=BB141_10 Depth=2
	s_add_u32 s26, s14, s10
	s_mov_b32 s11, s10
	s_addc_u32 s27, s15, s10
	s_delay_alu instid0(SALU_CYCLE_1) | instskip(NEXT) | instid1(SALU_CYCLE_1)
	s_xor_b64 s[26:27], s[26:27], s[10:11]
	v_cvt_f32_u32_e32 v4, s26
	v_cvt_f32_u32_e32 v26, s27
	s_sub_u32 s9, 0, s26
	s_subb_u32 s11, 0, s27
	s_delay_alu instid0(VALU_DEP_1) | instskip(NEXT) | instid1(VALU_DEP_1)
	v_fmac_f32_e32 v4, 0x4f800000, v26
	v_rcp_f32_e32 v4, v4
	s_waitcnt_depctr 0xfff
	v_mul_f32_e32 v4, 0x5f7ffffc, v4
	s_delay_alu instid0(VALU_DEP_1) | instskip(NEXT) | instid1(VALU_DEP_1)
	v_mul_f32_e32 v26, 0x2f800000, v4
	v_trunc_f32_e32 v26, v26
	s_delay_alu instid0(VALU_DEP_1) | instskip(SKIP_1) | instid1(VALU_DEP_2)
	v_fmac_f32_e32 v4, 0xcf800000, v26
	v_cvt_u32_f32_e32 v26, v26
	v_cvt_u32_f32_e32 v4, v4
	s_delay_alu instid0(VALU_DEP_2) | instskip(NEXT) | instid1(VALU_DEP_2)
	v_mul_lo_u32 v27, s9, v26
	v_mul_hi_u32 v41, s9, v4
	v_mul_lo_u32 v42, s11, v4
	s_delay_alu instid0(VALU_DEP_2) | instskip(SKIP_1) | instid1(VALU_DEP_2)
	v_add_nc_u32_e32 v27, v41, v27
	v_mul_lo_u32 v41, s9, v4
	v_add_nc_u32_e32 v27, v27, v42
	s_delay_alu instid0(VALU_DEP_2) | instskip(NEXT) | instid1(VALU_DEP_2)
	v_mul_hi_u32 v42, v4, v41
	v_mul_lo_u32 v43, v4, v27
	v_mul_hi_u32 v44, v4, v27
	v_mul_hi_u32 v45, v26, v41
	v_mul_lo_u32 v41, v26, v41
	v_mul_hi_u32 v46, v26, v27
	v_mul_lo_u32 v27, v26, v27
	v_add_co_u32 v42, vcc_lo, v42, v43
	v_add_co_ci_u32_e32 v43, vcc_lo, 0, v44, vcc_lo
	s_delay_alu instid0(VALU_DEP_2) | instskip(NEXT) | instid1(VALU_DEP_2)
	v_add_co_u32 v41, vcc_lo, v42, v41
	v_add_co_ci_u32_e32 v41, vcc_lo, v43, v45, vcc_lo
	v_add_co_ci_u32_e32 v42, vcc_lo, 0, v46, vcc_lo
	v_ashrrev_i32_e32 v45, 31, v40
	s_delay_alu instid0(VALU_DEP_3) | instskip(NEXT) | instid1(VALU_DEP_3)
	v_add_co_u32 v27, vcc_lo, v41, v27
	v_add_co_ci_u32_e32 v41, vcc_lo, 0, v42, vcc_lo
	s_delay_alu instid0(VALU_DEP_2) | instskip(NEXT) | instid1(VALU_DEP_2)
	v_add_co_u32 v4, vcc_lo, v4, v27
	v_add_co_ci_u32_e32 v26, vcc_lo, v26, v41, vcc_lo
	s_delay_alu instid0(VALU_DEP_2) | instskip(SKIP_1) | instid1(VALU_DEP_3)
	v_mul_hi_u32 v27, s9, v4
	v_mul_lo_u32 v42, s11, v4
	v_mul_lo_u32 v41, s9, v26
	s_delay_alu instid0(VALU_DEP_1) | instskip(SKIP_1) | instid1(VALU_DEP_2)
	v_add_nc_u32_e32 v27, v27, v41
	v_mul_lo_u32 v41, s9, v4
	v_add_nc_u32_e32 v27, v27, v42
	s_delay_alu instid0(VALU_DEP_2) | instskip(NEXT) | instid1(VALU_DEP_2)
	v_mul_hi_u32 v42, v4, v41
	v_mul_lo_u32 v43, v4, v27
	v_mul_hi_u32 v44, v4, v27
	v_mul_hi_u32 v46, v26, v41
	v_mul_lo_u32 v41, v26, v41
	v_mul_hi_u32 v47, v26, v27
	v_mul_lo_u32 v27, v26, v27
	v_add_co_u32 v42, vcc_lo, v42, v43
	v_add_co_ci_u32_e32 v43, vcc_lo, 0, v44, vcc_lo
	s_delay_alu instid0(VALU_DEP_2) | instskip(NEXT) | instid1(VALU_DEP_2)
	v_add_co_u32 v41, vcc_lo, v42, v41
	v_add_co_ci_u32_e32 v41, vcc_lo, v43, v46, vcc_lo
	v_add_co_ci_u32_e32 v42, vcc_lo, 0, v47, vcc_lo
	v_add_co_u32 v43, vcc_lo, v39, v45
	v_add_co_ci_u32_e32 v40, vcc_lo, v40, v45, vcc_lo
	s_delay_alu instid0(VALU_DEP_4) | instskip(NEXT) | instid1(VALU_DEP_4)
	v_add_co_u32 v27, vcc_lo, v41, v27
	v_add_co_ci_u32_e32 v41, vcc_lo, 0, v42, vcc_lo
	s_delay_alu instid0(VALU_DEP_4) | instskip(NEXT) | instid1(VALU_DEP_3)
	v_xor_b32_e32 v44, v43, v45
	v_add_co_u32 v4, vcc_lo, v4, v27
	s_delay_alu instid0(VALU_DEP_3) | instskip(SKIP_1) | instid1(VALU_DEP_3)
	v_add_co_ci_u32_e32 v46, vcc_lo, v26, v41, vcc_lo
	v_xor_b32_e32 v47, v40, v45
	v_mul_hi_u32 v48, v44, v4
	s_delay_alu instid0(VALU_DEP_3) | instskip(NEXT) | instid1(VALU_DEP_3)
	v_mad_u64_u32 v[26:27], null, v44, v46, 0
	v_mad_u64_u32 v[40:41], null, v47, v4, 0
	;; [unrolled: 1-line block ×3, first 2 shown]
	s_delay_alu instid0(VALU_DEP_3) | instskip(NEXT) | instid1(VALU_DEP_4)
	v_add_co_u32 v4, vcc_lo, v48, v26
	v_add_co_ci_u32_e32 v26, vcc_lo, 0, v27, vcc_lo
	s_delay_alu instid0(VALU_DEP_2) | instskip(NEXT) | instid1(VALU_DEP_2)
	v_add_co_u32 v4, vcc_lo, v4, v40
	v_add_co_ci_u32_e32 v4, vcc_lo, v26, v41, vcc_lo
	v_add_co_ci_u32_e32 v26, vcc_lo, 0, v43, vcc_lo
	s_delay_alu instid0(VALU_DEP_2) | instskip(NEXT) | instid1(VALU_DEP_2)
	v_add_co_u32 v4, vcc_lo, v4, v42
	v_add_co_ci_u32_e32 v40, vcc_lo, 0, v26, vcc_lo
	s_delay_alu instid0(VALU_DEP_2) | instskip(SKIP_1) | instid1(VALU_DEP_3)
	v_mul_lo_u32 v41, s27, v4
	v_mad_u64_u32 v[26:27], null, s26, v4, 0
	v_mul_lo_u32 v42, s26, v40
	s_delay_alu instid0(VALU_DEP_2) | instskip(NEXT) | instid1(VALU_DEP_2)
	v_sub_co_u32 v26, vcc_lo, v44, v26
	v_add3_u32 v27, v27, v42, v41
	s_delay_alu instid0(VALU_DEP_1) | instskip(NEXT) | instid1(VALU_DEP_1)
	v_sub_nc_u32_e32 v41, v47, v27
	v_subrev_co_ci_u32_e64 v41, s9, s27, v41, vcc_lo
	v_add_co_u32 v42, s9, v4, 2
	s_delay_alu instid0(VALU_DEP_1) | instskip(SKIP_3) | instid1(VALU_DEP_3)
	v_add_co_ci_u32_e64 v43, s9, 0, v40, s9
	v_sub_co_u32 v44, s9, v26, s26
	v_sub_co_ci_u32_e32 v27, vcc_lo, v47, v27, vcc_lo
	v_subrev_co_ci_u32_e64 v41, s9, 0, v41, s9
	v_cmp_le_u32_e32 vcc_lo, s26, v44
	s_delay_alu instid0(VALU_DEP_3) | instskip(SKIP_1) | instid1(VALU_DEP_4)
	v_cmp_eq_u32_e64 s9, s27, v27
	v_cndmask_b32_e64 v44, 0, -1, vcc_lo
	v_cmp_le_u32_e32 vcc_lo, s27, v41
	v_cndmask_b32_e64 v46, 0, -1, vcc_lo
	v_cmp_le_u32_e32 vcc_lo, s26, v26
	;; [unrolled: 2-line block ×3, first 2 shown]
	v_cndmask_b32_e64 v47, 0, -1, vcc_lo
	v_cmp_eq_u32_e32 vcc_lo, s27, v41
	s_delay_alu instid0(VALU_DEP_2) | instskip(SKIP_3) | instid1(VALU_DEP_3)
	v_cndmask_b32_e64 v26, v47, v26, s9
	v_cndmask_b32_e32 v41, v46, v44, vcc_lo
	v_add_co_u32 v44, vcc_lo, v4, 1
	v_add_co_ci_u32_e32 v46, vcc_lo, 0, v40, vcc_lo
	v_cmp_ne_u32_e32 vcc_lo, 0, v41
	s_delay_alu instid0(VALU_DEP_2) | instskip(NEXT) | instid1(VALU_DEP_4)
	v_cndmask_b32_e32 v27, v46, v43, vcc_lo
	v_cndmask_b32_e32 v41, v44, v42, vcc_lo
	v_cmp_ne_u32_e32 vcc_lo, 0, v26
	v_xor_b32_e32 v42, s10, v45
	s_delay_alu instid0(VALU_DEP_3) | instskip(SKIP_1) | instid1(VALU_DEP_2)
	v_cndmask_b32_e32 v4, v4, v41, vcc_lo
	v_cndmask_b32_e32 v26, v40, v27, vcc_lo
	v_xor_b32_e32 v4, v4, v42
	s_delay_alu instid0(VALU_DEP_2) | instskip(NEXT) | instid1(VALU_DEP_2)
	v_xor_b32_e32 v27, v26, v42
	v_sub_co_u32 v26, vcc_lo, v4, v42
	s_delay_alu instid0(VALU_DEP_2)
	v_sub_co_ci_u32_e32 v27, vcc_lo, v27, v42, vcc_lo
.LBB141_12:                             ;   in Loop: Header=BB141_10 Depth=2
	s_and_not1_saveexec_b32 s9, s40
	s_cbranch_execz .LBB141_14
; %bb.13:                               ;   in Loop: Header=BB141_10 Depth=2
	v_cvt_f32_u32_e32 v4, s14
	s_sub_i32 s11, 0, s14
	s_delay_alu instid0(VALU_DEP_1) | instskip(SKIP_2) | instid1(VALU_DEP_1)
	v_rcp_iflag_f32_e32 v4, v4
	s_waitcnt_depctr 0xfff
	v_mul_f32_e32 v4, 0x4f7ffffe, v4
	v_cvt_u32_f32_e32 v4, v4
	s_delay_alu instid0(VALU_DEP_1) | instskip(NEXT) | instid1(VALU_DEP_1)
	v_mul_lo_u32 v26, s11, v4
	v_mul_hi_u32 v26, v4, v26
	s_delay_alu instid0(VALU_DEP_1) | instskip(NEXT) | instid1(VALU_DEP_1)
	v_add_nc_u32_e32 v4, v4, v26
	v_mul_hi_u32 v4, v39, v4
	s_delay_alu instid0(VALU_DEP_1) | instskip(SKIP_1) | instid1(VALU_DEP_2)
	v_mul_lo_u32 v26, v4, s14
	v_add_nc_u32_e32 v27, 1, v4
	v_sub_nc_u32_e32 v26, v39, v26
	s_delay_alu instid0(VALU_DEP_1) | instskip(SKIP_1) | instid1(VALU_DEP_2)
	v_subrev_nc_u32_e32 v40, s14, v26
	v_cmp_le_u32_e32 vcc_lo, s14, v26
	v_cndmask_b32_e32 v26, v26, v40, vcc_lo
	v_cndmask_b32_e32 v4, v4, v27, vcc_lo
	s_delay_alu instid0(VALU_DEP_2) | instskip(NEXT) | instid1(VALU_DEP_2)
	v_cmp_le_u32_e32 vcc_lo, s14, v26
	v_add_nc_u32_e32 v27, 1, v4
	s_delay_alu instid0(VALU_DEP_1)
	v_dual_cndmask_b32 v26, v4, v27 :: v_dual_mov_b32 v27, v3
.LBB141_14:                             ;   in Loop: Header=BB141_10 Depth=2
	s_or_b32 exec_lo, exec_lo, s9
	s_delay_alu instid0(VALU_DEP_1)
	v_cmp_eq_u64_e32 vcc_lo, s[24:25], v[26:27]
	s_mov_b32 s11, exec_lo
	v_cmpx_ne_u64_e64 s[24:25], v[26:27]
	s_xor_b32 s11, exec_lo, s11
; %bb.15:                               ;   in Loop: Header=BB141_10 Depth=2
	v_cmp_lt_i64_e64 s9, v[26:27], v[18:19]
                                        ; implicit-def: $vgpr39
                                        ; implicit-def: $vgpr24_vgpr25
	s_delay_alu instid0(VALU_DEP_1)
	v_cndmask_b32_e64 v19, v19, v27, s9
	v_cndmask_b32_e64 v18, v18, v26, s9
; %bb.16:                               ;   in Loop: Header=BB141_10 Depth=2
	s_or_saveexec_b32 s9, s11
	v_dual_mov_b32 v27, v17 :: v_dual_mov_b32 v26, v16
	s_xor_b32 exec_lo, exec_lo, s9
	s_cbranch_execz .LBB141_9
; %bb.17:                               ;   in Loop: Header=BB141_10 Depth=2
	global_load_b64 v[40:41], v[20:21], off
	v_subrev_nc_u32_e32 v4, s39, v39
	v_dual_mov_b32 v27, v25 :: v_dual_mov_b32 v26, v24
	s_delay_alu instid0(VALU_DEP_2)
	v_add_lshl_u32 v4, v28, v4, 3
	ds_store_b8 v3, v38 offset:8192
	s_waitcnt vmcnt(0)
	ds_store_b64 v4, v[40:41]
	s_branch .LBB141_9
.LBB141_18:                             ;   in Loop: Header=BB141_7 Depth=1
	s_or_b32 exec_lo, exec_lo, s38
.LBB141_19:                             ;   in Loop: Header=BB141_7 Depth=1
	s_delay_alu instid0(SALU_CYCLE_1)
	s_or_b32 exec_lo, exec_lo, s37
	ds_bpermute_b32 v16, v29, v26
	ds_bpermute_b32 v17, v29, v27
	s_waitcnt lgkmcnt(0)
	s_barrier
	buffer_gl0_inv
	ds_load_u8 v4, v3 offset:8192
	s_mov_b64 s[26:27], 0
	v_cmp_lt_i64_e32 vcc_lo, v[16:17], v[26:27]
	v_dual_cndmask_b32 v17, v27, v17 :: v_dual_cndmask_b32 v16, v26, v16
	ds_bpermute_b32 v21, v30, v17
	ds_bpermute_b32 v20, v30, v16
	s_waitcnt lgkmcnt(0)
	v_cmp_lt_i64_e32 vcc_lo, v[20:21], v[16:17]
	v_dual_cndmask_b32 v17, v17, v21 :: v_dual_cndmask_b32 v16, v16, v20
	ds_bpermute_b32 v21, v33, v17
	ds_bpermute_b32 v20, v33, v16
	s_waitcnt lgkmcnt(0)
	v_cmp_lt_i64_e32 vcc_lo, v[20:21], v[16:17]
	v_dual_cndmask_b32 v17, v17, v21 :: v_dual_cndmask_b32 v16, v16, v20
	v_cmp_eq_u32_e32 vcc_lo, 0, v4
	ds_bpermute_b32 v17, v34, v17
	ds_bpermute_b32 v16, v34, v16
	s_cbranch_vccnz .LBB141_26
; %bb.20:                               ;   in Loop: Header=BB141_7 Depth=1
	s_add_u32 s24, s24, s29
	s_addc_u32 s25, s25, 0
	s_lshl_b64 s[26:27], s[22:23], 3
	s_mul_i32 s9, s30, s23
	s_mul_hi_u32 s11, s30, s22
	s_add_u32 s26, s16, s26
	s_addc_u32 s27, s17, s27
	s_add_i32 s9, s11, s9
	s_mul_i32 s11, s31, s22
	s_mul_i32 s38, s30, s22
	s_add_i32 s39, s9, s11
	v_dual_mov_b32 v23, s24 :: v_dual_mov_b32 v24, s25
	s_lshl_b64 s[24:25], s[38:39], 3
	s_delay_alu instid0(SALU_CYCLE_1)
	v_add_co_u32 v4, vcc_lo, v31, s24
	v_add_co_ci_u32_e32 v20, vcc_lo, s25, v32, vcc_lo
	v_add_co_u32 v21, vcc_lo, v35, s24
	v_add_co_ci_u32_e32 v22, vcc_lo, s25, v36, vcc_lo
	global_store_b64 v3, v[23:24], s[26:27]
	s_and_saveexec_b32 s9, s33
	s_cbranch_execnz .LBB141_42
; %bb.21:                               ;   in Loop: Header=BB141_7 Depth=1
	s_or_b32 exec_lo, exec_lo, s9
	s_and_saveexec_b32 s9, s34
	s_cbranch_execnz .LBB141_43
.LBB141_22:                             ;   in Loop: Header=BB141_7 Depth=1
	s_or_b32 exec_lo, exec_lo, s9
	s_and_saveexec_b32 s9, s35
	s_cbranch_execnz .LBB141_44
.LBB141_23:                             ;   in Loop: Header=BB141_7 Depth=1
	s_or_b32 exec_lo, exec_lo, s9
	s_and_saveexec_b32 s9, s36
	s_cbranch_execz .LBB141_25
.LBB141_24:                             ;   in Loop: Header=BB141_7 Depth=1
	ds_load_b64 v[23:24], v0 offset:192
	v_add_co_u32 v25, vcc_lo, 0xc0, v21
	v_add_co_ci_u32_e32 v21, vcc_lo, 0, v22, vcc_lo
	v_add_co_u32 v4, vcc_lo, v4, v14
	v_add_co_ci_u32_e32 v20, vcc_lo, v20, v15, vcc_lo
	s_delay_alu instid0(VALU_DEP_1) | instskip(NEXT) | instid1(VALU_DEP_3)
	v_cndmask_b32_e64 v21, v20, v21, s0
	v_cndmask_b32_e64 v20, v4, v25, s0
	s_waitcnt lgkmcnt(0)
	global_store_b64 v[20:21], v[23:24], off
.LBB141_25:                             ;   in Loop: Header=BB141_7 Depth=1
	s_or_b32 exec_lo, exec_lo, s9
	s_mov_b64 s[26:27], 1
.LBB141_26:                             ;   in Loop: Header=BB141_7 Depth=1
	s_waitcnt lgkmcnt(0)
	s_waitcnt_vscnt null, 0x0
	s_barrier
	buffer_gl0_inv
	ds_store_b64 v37, v[18:19]
	s_waitcnt lgkmcnt(0)
	s_barrier
	buffer_gl0_inv
	s_and_saveexec_b32 s9, s1
	s_cbranch_execz .LBB141_28
; %bb.27:                               ;   in Loop: Header=BB141_7 Depth=1
	ds_load_2addr_stride64_b64 v[18:21], v37 offset1:2
	s_waitcnt lgkmcnt(0)
	v_cmp_lt_i64_e32 vcc_lo, v[20:21], v[18:19]
	v_dual_cndmask_b32 v19, v19, v21 :: v_dual_cndmask_b32 v18, v18, v20
	ds_store_b64 v37, v[18:19]
.LBB141_28:                             ;   in Loop: Header=BB141_7 Depth=1
	s_or_b32 exec_lo, exec_lo, s9
	s_waitcnt lgkmcnt(0)
	s_barrier
	buffer_gl0_inv
	s_and_saveexec_b32 s9, s2
	s_cbranch_execz .LBB141_30
; %bb.29:                               ;   in Loop: Header=BB141_7 Depth=1
	ds_load_2addr_stride64_b64 v[18:21], v37 offset1:1
	s_waitcnt lgkmcnt(0)
	v_cmp_lt_i64_e32 vcc_lo, v[20:21], v[18:19]
	v_dual_cndmask_b32 v19, v19, v21 :: v_dual_cndmask_b32 v18, v18, v20
	ds_store_b64 v37, v[18:19]
.LBB141_30:                             ;   in Loop: Header=BB141_7 Depth=1
	s_or_b32 exec_lo, exec_lo, s9
	s_waitcnt lgkmcnt(0)
	s_barrier
	buffer_gl0_inv
	s_and_saveexec_b32 s9, s3
	s_cbranch_execz .LBB141_32
; %bb.31:                               ;   in Loop: Header=BB141_7 Depth=1
	ds_load_2addr_b64 v[18:21], v37 offset1:32
	s_waitcnt lgkmcnt(0)
	v_cmp_lt_i64_e32 vcc_lo, v[20:21], v[18:19]
	v_dual_cndmask_b32 v19, v19, v21 :: v_dual_cndmask_b32 v18, v18, v20
	ds_store_b64 v37, v[18:19]
.LBB141_32:                             ;   in Loop: Header=BB141_7 Depth=1
	s_or_b32 exec_lo, exec_lo, s9
	s_waitcnt lgkmcnt(0)
	s_barrier
	buffer_gl0_inv
	s_and_saveexec_b32 s9, s4
	s_cbranch_execz .LBB141_34
; %bb.33:                               ;   in Loop: Header=BB141_7 Depth=1
	ds_load_2addr_b64 v[18:21], v37 offset1:16
	s_waitcnt lgkmcnt(0)
	v_cmp_lt_i64_e32 vcc_lo, v[20:21], v[18:19]
	v_dual_cndmask_b32 v19, v19, v21 :: v_dual_cndmask_b32 v18, v18, v20
	ds_store_b64 v37, v[18:19]
.LBB141_34:                             ;   in Loop: Header=BB141_7 Depth=1
	;; [unrolled: 13-line block ×5, first 2 shown]
	s_or_b32 exec_lo, exec_lo, s9
	s_waitcnt lgkmcnt(0)
	s_barrier
	buffer_gl0_inv
	s_and_saveexec_b32 s9, s8
	s_cbranch_execz .LBB141_6
; %bb.41:                               ;   in Loop: Header=BB141_7 Depth=1
	ds_load_b128 v[18:21], v3
	s_waitcnt lgkmcnt(0)
	v_cmp_lt_i64_e32 vcc_lo, v[20:21], v[18:19]
	v_dual_cndmask_b32 v19, v19, v21 :: v_dual_cndmask_b32 v18, v18, v20
	ds_store_b64 v3, v[18:19]
	s_branch .LBB141_6
.LBB141_42:                             ;   in Loop: Header=BB141_7 Depth=1
	ds_load_b64 v[23:24], v0
	v_add_co_u32 v25, vcc_lo, v4, v8
	v_add_co_ci_u32_e32 v26, vcc_lo, v20, v9, vcc_lo
	s_delay_alu instid0(VALU_DEP_2) | instskip(NEXT) | instid1(VALU_DEP_2)
	v_cndmask_b32_e64 v25, v25, v21, s0
	v_cndmask_b32_e64 v26, v26, v22, s0
	s_waitcnt lgkmcnt(0)
	global_store_b64 v[25:26], v[23:24], off
	s_or_b32 exec_lo, exec_lo, s9
	s_and_saveexec_b32 s9, s34
	s_cbranch_execz .LBB141_22
.LBB141_43:                             ;   in Loop: Header=BB141_7 Depth=1
	ds_load_b64 v[23:24], v0 offset:64
	v_add_co_u32 v25, vcc_lo, v21, 64
	v_add_co_ci_u32_e32 v26, vcc_lo, 0, v22, vcc_lo
	v_add_co_u32 v27, vcc_lo, v4, v10
	v_add_co_ci_u32_e32 v39, vcc_lo, v20, v11, vcc_lo
	s_delay_alu instid0(VALU_DEP_2) | instskip(NEXT) | instid1(VALU_DEP_2)
	v_cndmask_b32_e64 v25, v27, v25, s0
	v_cndmask_b32_e64 v26, v39, v26, s0
	s_waitcnt lgkmcnt(0)
	global_store_b64 v[25:26], v[23:24], off
	s_or_b32 exec_lo, exec_lo, s9
	s_and_saveexec_b32 s9, s35
	s_cbranch_execz .LBB141_23
.LBB141_44:                             ;   in Loop: Header=BB141_7 Depth=1
	ds_load_b64 v[23:24], v0 offset:128
	v_add_co_u32 v25, vcc_lo, 0x80, v21
	v_add_co_ci_u32_e32 v26, vcc_lo, 0, v22, vcc_lo
	v_add_co_u32 v27, vcc_lo, v4, v12
	v_add_co_ci_u32_e32 v39, vcc_lo, v20, v13, vcc_lo
	s_delay_alu instid0(VALU_DEP_2) | instskip(NEXT) | instid1(VALU_DEP_2)
	v_cndmask_b32_e64 v25, v27, v25, s0
	v_cndmask_b32_e64 v26, v39, v26, s0
	s_waitcnt lgkmcnt(0)
	global_store_b64 v[25:26], v[23:24], off
	s_or_b32 exec_lo, exec_lo, s9
	s_and_saveexec_b32 s9, s36
	s_cbranch_execnz .LBB141_24
	s_branch .LBB141_25
.LBB141_45:
	s_endpgm
	.section	.rodata,"a",@progbits
	.p2align	6, 0x0
	.amdhsa_kernel _ZN9rocsparseL38csr2bsr_block_per_row_multipass_kernelILj256ELj32EdllEEv20rocsparse_direction_T3_S2_S2_S2_S2_21rocsparse_index_base_PKT1_PKT2_PKS2_S3_PS4_PS7_PS2_
		.amdhsa_group_segment_fixed_size 8200
		.amdhsa_private_segment_fixed_size 0
		.amdhsa_kernarg_size 112
		.amdhsa_user_sgpr_count 15
		.amdhsa_user_sgpr_dispatch_ptr 0
		.amdhsa_user_sgpr_queue_ptr 0
		.amdhsa_user_sgpr_kernarg_segment_ptr 1
		.amdhsa_user_sgpr_dispatch_id 0
		.amdhsa_user_sgpr_private_segment_size 0
		.amdhsa_wavefront_size32 1
		.amdhsa_uses_dynamic_stack 0
		.amdhsa_enable_private_segment 0
		.amdhsa_system_sgpr_workgroup_id_x 1
		.amdhsa_system_sgpr_workgroup_id_y 0
		.amdhsa_system_sgpr_workgroup_id_z 0
		.amdhsa_system_sgpr_workgroup_info 0
		.amdhsa_system_vgpr_workitem_id 0
		.amdhsa_next_free_vgpr 49
		.amdhsa_next_free_sgpr 41
		.amdhsa_reserve_vcc 1
		.amdhsa_float_round_mode_32 0
		.amdhsa_float_round_mode_16_64 0
		.amdhsa_float_denorm_mode_32 3
		.amdhsa_float_denorm_mode_16_64 3
		.amdhsa_dx10_clamp 1
		.amdhsa_ieee_mode 1
		.amdhsa_fp16_overflow 0
		.amdhsa_workgroup_processor_mode 1
		.amdhsa_memory_ordered 1
		.amdhsa_forward_progress 0
		.amdhsa_shared_vgpr_count 0
		.amdhsa_exception_fp_ieee_invalid_op 0
		.amdhsa_exception_fp_denorm_src 0
		.amdhsa_exception_fp_ieee_div_zero 0
		.amdhsa_exception_fp_ieee_overflow 0
		.amdhsa_exception_fp_ieee_underflow 0
		.amdhsa_exception_fp_ieee_inexact 0
		.amdhsa_exception_int_div_zero 0
	.end_amdhsa_kernel
	.section	.text._ZN9rocsparseL38csr2bsr_block_per_row_multipass_kernelILj256ELj32EdllEEv20rocsparse_direction_T3_S2_S2_S2_S2_21rocsparse_index_base_PKT1_PKT2_PKS2_S3_PS4_PS7_PS2_,"axG",@progbits,_ZN9rocsparseL38csr2bsr_block_per_row_multipass_kernelILj256ELj32EdllEEv20rocsparse_direction_T3_S2_S2_S2_S2_21rocsparse_index_base_PKT1_PKT2_PKS2_S3_PS4_PS7_PS2_,comdat
.Lfunc_end141:
	.size	_ZN9rocsparseL38csr2bsr_block_per_row_multipass_kernelILj256ELj32EdllEEv20rocsparse_direction_T3_S2_S2_S2_S2_21rocsparse_index_base_PKT1_PKT2_PKS2_S3_PS4_PS7_PS2_, .Lfunc_end141-_ZN9rocsparseL38csr2bsr_block_per_row_multipass_kernelILj256ELj32EdllEEv20rocsparse_direction_T3_S2_S2_S2_S2_21rocsparse_index_base_PKT1_PKT2_PKS2_S3_PS4_PS7_PS2_
                                        ; -- End function
	.section	.AMDGPU.csdata,"",@progbits
; Kernel info:
; codeLenInByte = 3456
; NumSgprs: 43
; NumVgprs: 49
; ScratchSize: 0
; MemoryBound: 0
; FloatMode: 240
; IeeeMode: 1
; LDSByteSize: 8200 bytes/workgroup (compile time only)
; SGPRBlocks: 5
; VGPRBlocks: 6
; NumSGPRsForWavesPerEU: 43
; NumVGPRsForWavesPerEU: 49
; Occupancy: 16
; WaveLimiterHint : 1
; COMPUTE_PGM_RSRC2:SCRATCH_EN: 0
; COMPUTE_PGM_RSRC2:USER_SGPR: 15
; COMPUTE_PGM_RSRC2:TRAP_HANDLER: 0
; COMPUTE_PGM_RSRC2:TGID_X_EN: 1
; COMPUTE_PGM_RSRC2:TGID_Y_EN: 0
; COMPUTE_PGM_RSRC2:TGID_Z_EN: 0
; COMPUTE_PGM_RSRC2:TIDIG_COMP_CNT: 0
	.section	.text._ZN9rocsparseL38csr2bsr_block_per_row_multipass_kernelILj256ELj64EdllEEv20rocsparse_direction_T3_S2_S2_S2_S2_21rocsparse_index_base_PKT1_PKT2_PKS2_S3_PS4_PS7_PS2_,"axG",@progbits,_ZN9rocsparseL38csr2bsr_block_per_row_multipass_kernelILj256ELj64EdllEEv20rocsparse_direction_T3_S2_S2_S2_S2_21rocsparse_index_base_PKT1_PKT2_PKS2_S3_PS4_PS7_PS2_,comdat
	.globl	_ZN9rocsparseL38csr2bsr_block_per_row_multipass_kernelILj256ELj64EdllEEv20rocsparse_direction_T3_S2_S2_S2_S2_21rocsparse_index_base_PKT1_PKT2_PKS2_S3_PS4_PS7_PS2_ ; -- Begin function _ZN9rocsparseL38csr2bsr_block_per_row_multipass_kernelILj256ELj64EdllEEv20rocsparse_direction_T3_S2_S2_S2_S2_21rocsparse_index_base_PKT1_PKT2_PKS2_S3_PS4_PS7_PS2_
	.p2align	8
	.type	_ZN9rocsparseL38csr2bsr_block_per_row_multipass_kernelILj256ELj64EdllEEv20rocsparse_direction_T3_S2_S2_S2_S2_21rocsparse_index_base_PKT1_PKT2_PKS2_S3_PS4_PS7_PS2_,@function
_ZN9rocsparseL38csr2bsr_block_per_row_multipass_kernelILj256ELj64EdllEEv20rocsparse_direction_T3_S2_S2_S2_S2_21rocsparse_index_base_PKT1_PKT2_PKS2_S3_PS4_PS7_PS2_: ; @_ZN9rocsparseL38csr2bsr_block_per_row_multipass_kernelILj256ELj64EdllEEv20rocsparse_direction_T3_S2_S2_S2_S2_21rocsparse_index_base_PKT1_PKT2_PKS2_S3_PS4_PS7_PS2_
; %bb.0:
	s_mov_b32 s2, s15
	s_clause 0x1
	s_load_b128 s[12:15], s[0:1], 0x20
	s_load_b64 s[6:7], s[0:1], 0x8
	v_mov_b32_e32 v5, 0
	v_lshrrev_b32_e32 v4, 2, v0
	v_mov_b32_e32 v1, 0
	v_mov_b32_e32 v2, 0
	s_clause 0x1
	s_load_b32 s28, s[0:1], 0x30
	s_load_b64 s[4:5], s[0:1], 0x40
	s_ashr_i32 s3, s2, 31
	v_dual_mov_b32 v37, v2 :: v_dual_mov_b32 v36, v1
	s_waitcnt lgkmcnt(0)
	v_mad_u64_u32 v[6:7], null, s2, s14, v[4:5]
	s_mul_i32 s8, s2, s15
	s_mul_i32 s9, s3, s14
	s_delay_alu instid0(VALU_DEP_1) | instid1(SALU_CYCLE_1)
	v_add3_u32 v7, s8, s9, v7
	v_cmp_gt_i64_e64 s9, s[14:15], v[4:5]
	s_delay_alu instid0(VALU_DEP_2) | instskip(NEXT) | instid1(VALU_DEP_2)
	v_cmp_gt_i64_e32 vcc_lo, s[6:7], v[6:7]
	s_and_b32 s6, s9, vcc_lo
	s_delay_alu instid0(SALU_CYCLE_1)
	s_and_saveexec_b32 s7, s6
	s_cbranch_execnz .LBB142_3
; %bb.1:
	s_or_b32 exec_lo, exec_lo, s7
	s_and_saveexec_b32 s7, s6
	s_cbranch_execnz .LBB142_4
.LBB142_2:
	s_or_b32 exec_lo, exec_lo, s7
	v_cmp_lt_i64_e64 s4, s[12:13], 1
	s_delay_alu instid0(VALU_DEP_1)
	s_and_b32 vcc_lo, exec_lo, s4
	s_cbranch_vccz .LBB142_5
	s_branch .LBB142_69
.LBB142_3:
	v_lshlrev_b64 v[8:9], 3, v[6:7]
	s_delay_alu instid0(VALU_DEP_1) | instskip(NEXT) | instid1(VALU_DEP_2)
	v_add_co_u32 v8, vcc_lo, s4, v8
	v_add_co_ci_u32_e32 v9, vcc_lo, s5, v9, vcc_lo
	global_load_b64 v[8:9], v[8:9], off
	s_waitcnt vmcnt(0)
	v_sub_co_u32 v36, vcc_lo, v8, s28
	v_subrev_co_ci_u32_e32 v37, vcc_lo, 0, v9, vcc_lo
	s_or_b32 exec_lo, exec_lo, s7
	s_and_saveexec_b32 s7, s6
	s_cbranch_execz .LBB142_2
.LBB142_4:
	v_lshlrev_b64 v[1:2], 3, v[6:7]
	s_delay_alu instid0(VALU_DEP_1) | instskip(NEXT) | instid1(VALU_DEP_2)
	v_add_co_u32 v1, vcc_lo, s4, v1
	v_add_co_ci_u32_e32 v2, vcc_lo, s5, v2, vcc_lo
	global_load_b64 v[1:2], v[1:2], off offset:8
	s_waitcnt vmcnt(0)
	v_sub_co_u32 v1, vcc_lo, v1, s28
	v_subrev_co_ci_u32_e32 v2, vcc_lo, 0, v2, vcc_lo
	s_or_b32 exec_lo, exec_lo, s7
	v_cmp_lt_i64_e64 s4, s[12:13], 1
	s_delay_alu instid0(VALU_DEP_1)
	s_and_b32 vcc_lo, exec_lo, s4
	s_cbranch_vccnz .LBB142_69
.LBB142_5:
	s_clause 0x2
	s_load_b128 s[4:7], s[0:1], 0x58
	s_load_b64 s[16:17], s[0:1], 0x68
	s_load_b32 s29, s[0:1], 0x50
	v_mad_u64_u32 v[7:8], null, v4, s14, 0
	v_mbcnt_lo_u32_b32 v11, -1, 0
	v_and_b32_e32 v5, 3, v0
	s_mul_i32 s8, s14, s15
	s_mul_hi_u32 s10, s14, s14
	s_clause 0x2
	s_load_b64 s[18:19], s[0:1], 0x48
	s_load_b64 s[20:21], s[0:1], 0x38
	s_load_b32 s11, s[0:1], 0x0
	v_xor_b32_e32 v12, 2, v11
	v_mov_b32_e32 v6, v8
	s_lshl_b64 s[0:1], s[2:3], 3
	s_add_i32 s2, s10, s8
	v_dual_mov_b32 v3, 0 :: v_dual_lshlrev_b32 v10, 3, v4
	s_delay_alu instid0(VALU_DEP_2)
	v_mad_u64_u32 v[8:9], null, v4, s15, v[6:7]
	s_add_i32 s31, s2, s8
	v_xor_b32_e32 v9, 1, v11
	v_cmp_gt_i32_e32 vcc_lo, 32, v12
	s_waitcnt lgkmcnt(0)
	s_add_u32 s0, s6, s0
	s_addc_u32 s1, s7, s1
	v_lshlrev_b32_e32 v52, 6, v4
	s_load_b64 s[0:1], s[0:1], 0x0
	v_cndmask_b32_e32 v4, v11, v12, vcc_lo
	v_cmp_gt_i32_e32 vcc_lo, 32, v9
	v_lshlrev_b64 v[7:8], 3, v[7:8]
	v_mov_b32_e32 v6, v3
	v_lshl_or_b32 v53, v11, 2, 12
	v_add_co_u32 v56, s2, s4, v10
	v_cndmask_b32_e32 v9, v11, v9, vcc_lo
	v_lshlrev_b32_e32 v11, 3, v5
	v_or_b32_e32 v10, 4, v5
	v_add_co_ci_u32_e64 v57, null, s5, 0, s2
	s_delay_alu instid0(VALU_DEP_4) | instskip(SKIP_4) | instid1(VALU_DEP_3)
	v_lshlrev_b32_e32 v55, 2, v9
	v_lshlrev_b32_e32 v54, 2, v4
	v_add_co_u32 v4, vcc_lo, s4, v7
	v_add_co_ci_u32_e32 v7, vcc_lo, s5, v8, vcc_lo
	v_mad_u64_u32 v[8:9], null, v5, s14, 0
	v_add_co_u32 v58, vcc_lo, v4, v11
	v_mov_b32_e32 v11, v3
	v_or_b32_e32 v4, v52, v5
	v_mad_u64_u32 v[12:13], null, v10, s14, 0
	s_waitcnt lgkmcnt(0)
	s_sub_u32 s22, s0, s29
	s_subb_u32 s23, s1, 0
	v_dual_mov_b32 v15, v3 :: v_dual_lshlrev_b32 v60, 3, v0
	v_cmp_gt_u32_e64 s1, 0x80, v0
	v_cmp_gt_u32_e64 s2, 64, v0
	;; [unrolled: 1-line block ×7, first 2 shown]
	v_cmp_eq_u32_e64 s8, 0, v0
	v_lshlrev_b32_e32 v0, 3, v4
	v_or_b32_e32 v14, 8, v5
	v_mov_b32_e32 v4, v9
	v_add_co_ci_u32_e32 v59, vcc_lo, 0, v7, vcc_lo
	v_cmp_gt_i64_e32 vcc_lo, s[14:15], v[5:6]
	s_delay_alu instid0(VALU_DEP_4) | instskip(NEXT) | instid1(VALU_DEP_4)
	v_mad_u64_u32 v[16:17], null, v14, s14, 0
	v_mad_u64_u32 v[6:7], null, v5, s15, v[4:5]
	v_dual_mov_b32 v4, v13 :: v_dual_mov_b32 v7, v3
	s_cmp_eq_u32 s11, 0
	v_cmp_gt_i64_e64 s10, s[14:15], v[14:15]
	s_cselect_b32 s0, -1, 0
	s_delay_alu instid0(VALU_DEP_2) | instskip(NEXT) | instid1(VALU_DEP_4)
	v_mad_u64_u32 v[18:19], null, v10, s15, v[4:5]
	v_dual_mov_b32 v4, v17 :: v_dual_mov_b32 v9, v6
	v_or_b32_e32 v6, 12, v5
	s_and_b32 s33, s9, vcc_lo
	v_cmp_gt_i64_e32 vcc_lo, s[14:15], v[10:11]
	s_delay_alu instid0(VALU_DEP_3)
	v_mad_u64_u32 v[10:11], null, v14, s15, v[4:5]
	v_mov_b32_e32 v13, v18
	v_mad_u64_u32 v[14:15], null, v6, s14, 0
	v_or_b32_e32 v18, 16, v5
	s_and_b32 s34, s9, vcc_lo
	v_cmp_gt_i64_e32 vcc_lo, s[14:15], v[6:7]
	v_mov_b32_e32 v17, v10
	v_or_b32_e32 v10, 20, v5
	v_mad_u64_u32 v[20:21], null, v18, s14, 0
	v_mov_b32_e32 v4, v15
	v_mov_b32_e32 v19, v3
	s_delay_alu instid0(VALU_DEP_4) | instskip(SKIP_1) | instid1(VALU_DEP_3)
	v_mad_u64_u32 v[22:23], null, v10, s14, 0
	s_and_b32 s36, s9, vcc_lo
	v_mad_u64_u32 v[24:25], null, v6, s15, v[4:5]
	v_mov_b32_e32 v4, v21
	v_cmp_gt_i64_e32 vcc_lo, s[14:15], v[18:19]
	s_and_b32 s35, s9, s10
	v_or_b32_e32 v42, 60, v5
	s_mov_b32 s24, 0
	v_mad_u64_u32 v[6:7], null, v18, s15, v[4:5]
	v_mov_b32_e32 v4, v23
	v_or_b32_e32 v18, 24, v5
	v_mov_b32_e32 v15, v24
	s_and_b32 s37, s9, vcc_lo
	v_mad_u64_u32 v[46:47], null, v42, s14, 0
	v_mov_b32_e32 v21, v6
	v_mad_u64_u32 v[23:24], null, v10, s15, v[4:5]
	v_mad_u64_u32 v[24:25], null, v18, s14, 0
	v_mov_b32_e32 v11, v3
	v_or_b32_e32 v6, 28, v5
	v_cmp_gt_i64_e32 vcc_lo, s[14:15], v[18:19]
	s_mov_b32 s25, s24
	v_mov_b32_e32 v43, v3
	v_lshlrev_b64 v[14:15], 3, v[14:15]
	v_mov_b32_e32 v4, v25
	v_cmp_gt_i64_e64 s10, s[14:15], v[10:11]
	v_mad_u64_u32 v[26:27], null, v6, s14, 0
	v_or_b32_e32 v10, 32, v5
	s_delay_alu instid0(VALU_DEP_4) | instskip(SKIP_1) | instid1(VALU_DEP_4)
	v_mad_u64_u32 v[30:31], null, v18, s15, v[4:5]
	s_and_b32 s39, s9, vcc_lo
	s_and_b32 s38, s9, s10
	s_delay_alu instid0(VALU_DEP_2) | instskip(NEXT) | instid1(VALU_DEP_4)
	v_mad_u64_u32 v[28:29], null, v10, s14, 0
	v_mov_b32_e32 v4, v27
	v_mov_b32_e32 v7, v3
	s_delay_alu instid0(VALU_DEP_4)
	v_mov_b32_e32 v25, v30
	v_cmp_gt_i64_e64 s10, s[14:15], v[10:11]
	v_mov_b32_e32 v61, 1
	v_mad_u64_u32 v[18:19], null, v6, s15, v[4:5]
	v_mov_b32_e32 v4, v29
	v_cmp_gt_i64_e32 vcc_lo, s[14:15], v[6:7]
	v_or_b32_e32 v6, 36, v5
	v_mov_b32_e32 v19, v3
	s_and_b32 s41, s9, s10
	v_mad_u64_u32 v[29:30], null, v10, s15, v[4:5]
	s_delay_alu instid0(VALU_DEP_3)
	v_mad_u64_u32 v[30:31], null, v6, s14, 0
	v_or_b32_e32 v10, 40, v5
	v_mov_b32_e32 v27, v18
	v_or_b32_e32 v18, 44, v5
	s_and_b32 s40, s9, vcc_lo
	v_cmp_gt_i64_e32 vcc_lo, s[14:15], v[6:7]
	v_mad_u64_u32 v[32:33], null, v10, s14, 0
	v_mov_b32_e32 v4, v31
	v_mad_u64_u32 v[34:35], null, v18, s14, 0
	v_cmp_gt_i64_e64 s10, s[14:15], v[10:11]
	v_cmp_gt_i64_e64 s11, s[14:15], v[18:19]
	s_delay_alu instid0(VALU_DEP_4)
	v_mad_u64_u32 v[38:39], null, v6, s15, v[4:5]
	v_mov_b32_e32 v4, v33
	v_or_b32_e32 v6, 48, v5
	s_and_b32 s42, s9, vcc_lo
	s_and_b32 s43, s9, s10
	v_cmp_gt_i64_e64 s10, s[14:15], v[42:43]
	v_mad_u64_u32 v[39:40], null, v10, s15, v[4:5]
	v_dual_mov_b32 v4, v35 :: v_dual_mov_b32 v31, v38
	v_mad_u64_u32 v[40:41], null, v6, s14, 0
	v_cmp_gt_i64_e32 vcc_lo, s[14:15], v[6:7]
	s_delay_alu instid0(VALU_DEP_3)
	v_mad_u64_u32 v[10:11], null, v18, s15, v[4:5]
	v_mov_b32_e32 v33, v39
	v_mov_b32_e32 v11, v3
	s_mul_i32 s30, s14, s14
	v_mov_b32_e32 v4, v41
	s_and_b32 s45, s9, vcc_lo
	s_and_b32 s44, s9, s11
	s_delay_alu instid0(VALU_DEP_4) | instskip(SKIP_4) | instid1(VALU_DEP_3)
	v_mov_b32_e32 v35, v10
	v_or_b32_e32 v10, 52, v5
	v_mad_u64_u32 v[18:19], null, v6, s15, v[4:5]
	v_or_b32_e32 v6, 56, v5
	s_and_b32 s48, s9, s10
	v_mad_u64_u32 v[38:39], null, v10, s14, 0
	v_cmp_gt_i64_e32 vcc_lo, s[14:15], v[10:11]
	s_delay_alu instid0(VALU_DEP_3) | instskip(SKIP_2) | instid1(VALU_DEP_4)
	v_mad_u64_u32 v[44:45], null, v6, s14, 0
	v_mov_b32_e32 v41, v18
	s_mov_b64 s[10:11], 0
	v_mov_b32_e32 v4, v39
	s_and_b32 s46, s9, vcc_lo
	s_delay_alu instid0(VALU_DEP_3) | instskip(NEXT) | instid1(VALU_DEP_2)
	v_mov_b32_e32 v7, v45
	v_mad_u64_u32 v[18:19], null, v10, s15, v[4:5]
	v_mov_b32_e32 v4, v47
	s_delay_alu instid0(VALU_DEP_3) | instskip(SKIP_2) | instid1(VALU_DEP_4)
	v_mad_u64_u32 v[10:11], null, v6, s15, v[7:8]
	v_mov_b32_e32 v7, v3
	v_lshlrev_b64 v[8:9], 3, v[8:9]
	v_mad_u64_u32 v[47:48], null, v42, s15, v[4:5]
	v_mov_b32_e32 v39, v18
	s_delay_alu instid0(VALU_DEP_4)
	v_cmp_gt_i64_e32 vcc_lo, s[14:15], v[6:7]
	v_dual_mov_b32 v45, v10 :: v_dual_mov_b32 v6, s24
	v_lshlrev_b64 v[10:11], 3, v[12:13]
	v_lshlrev_b64 v[12:13], 3, v[16:17]
	;; [unrolled: 1-line block ×14, first 2 shown]
	v_mov_b32_e32 v7, s25
	s_and_b32 s47, s9, vcc_lo
	s_branch .LBB142_7
.LBB142_6:                              ;   in Loop: Header=BB142_7 Depth=1
	s_or_b32 exec_lo, exec_lo, s9
	s_waitcnt lgkmcnt(0)
	s_barrier
	buffer_gl0_inv
	ds_load_b64 v[42:43], v3
	s_add_u32 s22, s24, s22
	s_addc_u32 s23, s25, s23
	s_waitcnt lgkmcnt(0)
	s_barrier
	buffer_gl0_inv
	v_cmp_gt_i64_e32 vcc_lo, s[12:13], v[42:43]
	v_readfirstlane_b32 s10, v42
	v_readfirstlane_b32 s11, v43
	s_cbranch_vccz .LBB142_69
.LBB142_7:                              ; =>This Loop Header: Depth=1
                                        ;     Child Loop BB142_10 Depth 2
	v_add_co_u32 v36, vcc_lo, v36, v5
	v_add_co_ci_u32_e32 v37, vcc_lo, 0, v37, vcc_lo
	v_dual_mov_b32 v43, s13 :: v_dual_mov_b32 v42, s12
	v_dual_mov_b32 v51, v2 :: v_dual_mov_b32 v50, v1
	s_mov_b32 s49, exec_lo
	ds_store_b8 v3, v3 offset:32768
	ds_store_2addr_b64 v0, v[6:7], v[6:7] offset1:4
	ds_store_2addr_b64 v0, v[6:7], v[6:7] offset0:8 offset1:12
	ds_store_2addr_b64 v0, v[6:7], v[6:7] offset0:16 offset1:20
	;; [unrolled: 1-line block ×7, first 2 shown]
	s_waitcnt lgkmcnt(0)
	s_barrier
	buffer_gl0_inv
	v_cmpx_lt_i64_e64 v[36:37], v[1:2]
	s_cbranch_execz .LBB142_19
; %bb.8:                                ;   in Loop: Header=BB142_7 Depth=1
	v_lshlrev_b64 v[42:43], 3, v[36:37]
	v_dual_mov_b32 v49, v2 :: v_dual_mov_b32 v48, v1
	s_mul_i32 s51, s10, s14
	s_mov_b32 s50, 0
	s_delay_alu instid0(VALU_DEP_2) | instskip(NEXT) | instid1(VALU_DEP_3)
	v_add_co_u32 v44, vcc_lo, s20, v42
	v_add_co_ci_u32_e32 v45, vcc_lo, s21, v43, vcc_lo
	v_add_co_u32 v46, vcc_lo, s18, v42
	v_add_co_ci_u32_e32 v47, vcc_lo, s19, v43, vcc_lo
	v_dual_mov_b32 v43, s13 :: v_dual_mov_b32 v42, s12
	s_branch .LBB142_10
.LBB142_9:                              ;   in Loop: Header=BB142_10 Depth=2
	s_or_b32 exec_lo, exec_lo, s9
	v_add_co_u32 v36, s9, v36, 4
	s_delay_alu instid0(VALU_DEP_1) | instskip(SKIP_2) | instid1(VALU_DEP_2)
	v_add_co_ci_u32_e64 v37, s9, 0, v37, s9
	s_xor_b32 s24, vcc_lo, -1
	v_add_co_u32 v44, vcc_lo, v44, 32
	v_cmp_ge_i64_e64 s9, v[36:37], v[1:2]
	v_add_co_ci_u32_e32 v45, vcc_lo, 0, v45, vcc_lo
	v_add_co_u32 v46, vcc_lo, v46, 32
	v_add_co_ci_u32_e32 v47, vcc_lo, 0, v47, vcc_lo
	s_delay_alu instid0(VALU_DEP_4) | instskip(SKIP_2) | instid1(SALU_CYCLE_1)
	s_or_b32 s9, s24, s9
	v_dual_mov_b32 v48, v50 :: v_dual_mov_b32 v49, v51
	s_and_b32 s9, exec_lo, s9
	s_or_b32 s50, s9, s50
	s_delay_alu instid0(SALU_CYCLE_1)
	s_and_not1_b32 exec_lo, exec_lo, s50
	s_cbranch_execz .LBB142_18
.LBB142_10:                             ;   Parent Loop BB142_7 Depth=1
                                        ; =>  This Inner Loop Header: Depth=2
	global_load_b64 v[50:51], v[46:47], off
	s_mov_b32 s9, exec_lo
	s_waitcnt vmcnt(0)
	v_sub_co_u32 v62, vcc_lo, v50, s28
	v_subrev_co_ci_u32_e32 v63, vcc_lo, 0, v51, vcc_lo
                                        ; implicit-def: $vgpr50_vgpr51
	s_delay_alu instid0(VALU_DEP_1) | instskip(NEXT) | instid1(VALU_DEP_1)
	v_or_b32_e32 v4, s15, v63
	v_cmpx_ne_u64_e32 0, v[3:4]
	s_xor_b32 s52, exec_lo, s9
	s_cbranch_execz .LBB142_12
; %bb.11:                               ;   in Loop: Header=BB142_10 Depth=2
	s_ashr_i32 s24, s15, 31
	s_delay_alu instid0(SALU_CYCLE_1) | instskip(SKIP_2) | instid1(SALU_CYCLE_1)
	s_add_u32 s26, s14, s24
	s_mov_b32 s25, s24
	s_addc_u32 s27, s15, s24
	s_xor_b64 s[26:27], s[26:27], s[24:25]
	s_delay_alu instid0(SALU_CYCLE_1) | instskip(SKIP_3) | instid1(VALU_DEP_1)
	v_cvt_f32_u32_e32 v4, s26
	v_cvt_f32_u32_e32 v50, s27
	s_sub_u32 s9, 0, s26
	s_subb_u32 s25, 0, s27
	v_fmac_f32_e32 v4, 0x4f800000, v50
	s_delay_alu instid0(VALU_DEP_1) | instskip(SKIP_2) | instid1(VALU_DEP_1)
	v_rcp_f32_e32 v4, v4
	s_waitcnt_depctr 0xfff
	v_mul_f32_e32 v4, 0x5f7ffffc, v4
	v_mul_f32_e32 v50, 0x2f800000, v4
	s_delay_alu instid0(VALU_DEP_1) | instskip(NEXT) | instid1(VALU_DEP_1)
	v_trunc_f32_e32 v50, v50
	v_fmac_f32_e32 v4, 0xcf800000, v50
	v_cvt_u32_f32_e32 v50, v50
	s_delay_alu instid0(VALU_DEP_2) | instskip(NEXT) | instid1(VALU_DEP_2)
	v_cvt_u32_f32_e32 v4, v4
	v_mul_lo_u32 v51, s9, v50
	s_delay_alu instid0(VALU_DEP_2) | instskip(SKIP_1) | instid1(VALU_DEP_2)
	v_mul_hi_u32 v64, s9, v4
	v_mul_lo_u32 v65, s25, v4
	v_add_nc_u32_e32 v51, v64, v51
	v_mul_lo_u32 v64, s9, v4
	s_delay_alu instid0(VALU_DEP_2) | instskip(NEXT) | instid1(VALU_DEP_2)
	v_add_nc_u32_e32 v51, v51, v65
	v_mul_hi_u32 v65, v4, v64
	s_delay_alu instid0(VALU_DEP_2)
	v_mul_lo_u32 v66, v4, v51
	v_mul_hi_u32 v67, v4, v51
	v_mul_hi_u32 v68, v50, v64
	v_mul_lo_u32 v64, v50, v64
	v_mul_hi_u32 v69, v50, v51
	v_mul_lo_u32 v51, v50, v51
	v_add_co_u32 v65, vcc_lo, v65, v66
	v_add_co_ci_u32_e32 v66, vcc_lo, 0, v67, vcc_lo
	s_delay_alu instid0(VALU_DEP_2) | instskip(NEXT) | instid1(VALU_DEP_2)
	v_add_co_u32 v64, vcc_lo, v65, v64
	v_add_co_ci_u32_e32 v64, vcc_lo, v66, v68, vcc_lo
	v_add_co_ci_u32_e32 v65, vcc_lo, 0, v69, vcc_lo
	v_ashrrev_i32_e32 v68, 31, v63
	s_delay_alu instid0(VALU_DEP_3) | instskip(NEXT) | instid1(VALU_DEP_3)
	v_add_co_u32 v51, vcc_lo, v64, v51
	v_add_co_ci_u32_e32 v64, vcc_lo, 0, v65, vcc_lo
	s_delay_alu instid0(VALU_DEP_2) | instskip(NEXT) | instid1(VALU_DEP_2)
	v_add_co_u32 v4, vcc_lo, v4, v51
	v_add_co_ci_u32_e32 v50, vcc_lo, v50, v64, vcc_lo
	s_delay_alu instid0(VALU_DEP_2) | instskip(SKIP_1) | instid1(VALU_DEP_3)
	v_mul_hi_u32 v51, s9, v4
	v_mul_lo_u32 v65, s25, v4
	v_mul_lo_u32 v64, s9, v50
	s_delay_alu instid0(VALU_DEP_1) | instskip(SKIP_1) | instid1(VALU_DEP_2)
	v_add_nc_u32_e32 v51, v51, v64
	v_mul_lo_u32 v64, s9, v4
	v_add_nc_u32_e32 v51, v51, v65
	s_delay_alu instid0(VALU_DEP_2) | instskip(NEXT) | instid1(VALU_DEP_2)
	v_mul_hi_u32 v65, v4, v64
	v_mul_lo_u32 v66, v4, v51
	v_mul_hi_u32 v67, v4, v51
	v_mul_hi_u32 v69, v50, v64
	v_mul_lo_u32 v64, v50, v64
	v_mul_hi_u32 v70, v50, v51
	v_mul_lo_u32 v51, v50, v51
	v_add_co_u32 v65, vcc_lo, v65, v66
	v_add_co_ci_u32_e32 v66, vcc_lo, 0, v67, vcc_lo
	s_delay_alu instid0(VALU_DEP_2) | instskip(NEXT) | instid1(VALU_DEP_2)
	v_add_co_u32 v64, vcc_lo, v65, v64
	v_add_co_ci_u32_e32 v64, vcc_lo, v66, v69, vcc_lo
	v_add_co_ci_u32_e32 v65, vcc_lo, 0, v70, vcc_lo
	v_add_co_u32 v66, vcc_lo, v62, v68
	v_add_co_ci_u32_e32 v63, vcc_lo, v63, v68, vcc_lo
	s_delay_alu instid0(VALU_DEP_4) | instskip(NEXT) | instid1(VALU_DEP_4)
	v_add_co_u32 v51, vcc_lo, v64, v51
	v_add_co_ci_u32_e32 v64, vcc_lo, 0, v65, vcc_lo
	s_delay_alu instid0(VALU_DEP_4) | instskip(NEXT) | instid1(VALU_DEP_3)
	v_xor_b32_e32 v67, v66, v68
	v_add_co_u32 v4, vcc_lo, v4, v51
	s_delay_alu instid0(VALU_DEP_3) | instskip(SKIP_1) | instid1(VALU_DEP_3)
	v_add_co_ci_u32_e32 v69, vcc_lo, v50, v64, vcc_lo
	v_xor_b32_e32 v70, v63, v68
	v_mul_hi_u32 v71, v67, v4
	s_delay_alu instid0(VALU_DEP_3) | instskip(NEXT) | instid1(VALU_DEP_3)
	v_mad_u64_u32 v[50:51], null, v67, v69, 0
	v_mad_u64_u32 v[63:64], null, v70, v4, 0
	;; [unrolled: 1-line block ×3, first 2 shown]
	s_delay_alu instid0(VALU_DEP_3) | instskip(NEXT) | instid1(VALU_DEP_4)
	v_add_co_u32 v4, vcc_lo, v71, v50
	v_add_co_ci_u32_e32 v50, vcc_lo, 0, v51, vcc_lo
	s_delay_alu instid0(VALU_DEP_2) | instskip(NEXT) | instid1(VALU_DEP_2)
	v_add_co_u32 v4, vcc_lo, v4, v63
	v_add_co_ci_u32_e32 v4, vcc_lo, v50, v64, vcc_lo
	v_add_co_ci_u32_e32 v50, vcc_lo, 0, v66, vcc_lo
	s_delay_alu instid0(VALU_DEP_2) | instskip(NEXT) | instid1(VALU_DEP_2)
	v_add_co_u32 v4, vcc_lo, v4, v65
	v_add_co_ci_u32_e32 v63, vcc_lo, 0, v50, vcc_lo
	s_delay_alu instid0(VALU_DEP_2) | instskip(SKIP_1) | instid1(VALU_DEP_3)
	v_mul_lo_u32 v64, s27, v4
	v_mad_u64_u32 v[50:51], null, s26, v4, 0
	v_mul_lo_u32 v65, s26, v63
	s_delay_alu instid0(VALU_DEP_2) | instskip(NEXT) | instid1(VALU_DEP_2)
	v_sub_co_u32 v50, vcc_lo, v67, v50
	v_add3_u32 v51, v51, v65, v64
	s_delay_alu instid0(VALU_DEP_1) | instskip(NEXT) | instid1(VALU_DEP_1)
	v_sub_nc_u32_e32 v64, v70, v51
	v_subrev_co_ci_u32_e64 v64, s9, s27, v64, vcc_lo
	v_add_co_u32 v65, s9, v4, 2
	s_delay_alu instid0(VALU_DEP_1) | instskip(SKIP_3) | instid1(VALU_DEP_3)
	v_add_co_ci_u32_e64 v66, s9, 0, v63, s9
	v_sub_co_u32 v67, s9, v50, s26
	v_sub_co_ci_u32_e32 v51, vcc_lo, v70, v51, vcc_lo
	v_subrev_co_ci_u32_e64 v64, s9, 0, v64, s9
	v_cmp_le_u32_e32 vcc_lo, s26, v67
	s_delay_alu instid0(VALU_DEP_3) | instskip(SKIP_1) | instid1(VALU_DEP_4)
	v_cmp_eq_u32_e64 s9, s27, v51
	v_cndmask_b32_e64 v67, 0, -1, vcc_lo
	v_cmp_le_u32_e32 vcc_lo, s27, v64
	v_cndmask_b32_e64 v69, 0, -1, vcc_lo
	v_cmp_le_u32_e32 vcc_lo, s26, v50
	;; [unrolled: 2-line block ×3, first 2 shown]
	v_cndmask_b32_e64 v70, 0, -1, vcc_lo
	v_cmp_eq_u32_e32 vcc_lo, s27, v64
	s_delay_alu instid0(VALU_DEP_2) | instskip(SKIP_3) | instid1(VALU_DEP_3)
	v_cndmask_b32_e64 v50, v70, v50, s9
	v_cndmask_b32_e32 v64, v69, v67, vcc_lo
	v_add_co_u32 v67, vcc_lo, v4, 1
	v_add_co_ci_u32_e32 v69, vcc_lo, 0, v63, vcc_lo
	v_cmp_ne_u32_e32 vcc_lo, 0, v64
	s_delay_alu instid0(VALU_DEP_2) | instskip(SKIP_2) | instid1(VALU_DEP_3)
	v_dual_cndmask_b32 v51, v69, v66 :: v_dual_cndmask_b32 v64, v67, v65
	v_cmp_ne_u32_e32 vcc_lo, 0, v50
	v_xor_b32_e32 v65, s24, v68
	v_cndmask_b32_e32 v4, v4, v64, vcc_lo
	s_delay_alu instid0(VALU_DEP_4) | instskip(NEXT) | instid1(VALU_DEP_2)
	v_cndmask_b32_e32 v50, v63, v51, vcc_lo
	v_xor_b32_e32 v4, v4, v65
	s_delay_alu instid0(VALU_DEP_2) | instskip(NEXT) | instid1(VALU_DEP_2)
	v_xor_b32_e32 v51, v50, v65
	v_sub_co_u32 v50, vcc_lo, v4, v65
	s_delay_alu instid0(VALU_DEP_2)
	v_sub_co_ci_u32_e32 v51, vcc_lo, v51, v65, vcc_lo
.LBB142_12:                             ;   in Loop: Header=BB142_10 Depth=2
	s_and_not1_saveexec_b32 s9, s52
	s_cbranch_execz .LBB142_14
; %bb.13:                               ;   in Loop: Header=BB142_10 Depth=2
	v_cvt_f32_u32_e32 v4, s14
	s_sub_i32 s24, 0, s14
	s_delay_alu instid0(VALU_DEP_1) | instskip(SKIP_2) | instid1(VALU_DEP_1)
	v_rcp_iflag_f32_e32 v4, v4
	s_waitcnt_depctr 0xfff
	v_mul_f32_e32 v4, 0x4f7ffffe, v4
	v_cvt_u32_f32_e32 v4, v4
	s_delay_alu instid0(VALU_DEP_1) | instskip(NEXT) | instid1(VALU_DEP_1)
	v_mul_lo_u32 v50, s24, v4
	v_mul_hi_u32 v50, v4, v50
	s_delay_alu instid0(VALU_DEP_1) | instskip(NEXT) | instid1(VALU_DEP_1)
	v_add_nc_u32_e32 v4, v4, v50
	v_mul_hi_u32 v4, v62, v4
	s_delay_alu instid0(VALU_DEP_1) | instskip(NEXT) | instid1(VALU_DEP_1)
	v_mul_lo_u32 v50, v4, s14
	v_sub_nc_u32_e32 v50, v62, v50
	s_delay_alu instid0(VALU_DEP_1) | instskip(SKIP_1) | instid1(VALU_DEP_2)
	v_subrev_nc_u32_e32 v63, s14, v50
	v_cmp_le_u32_e32 vcc_lo, s14, v50
	v_dual_cndmask_b32 v50, v50, v63 :: v_dual_add_nc_u32 v51, 1, v4
	s_delay_alu instid0(VALU_DEP_1) | instskip(NEXT) | instid1(VALU_DEP_2)
	v_cndmask_b32_e32 v4, v4, v51, vcc_lo
	v_cmp_le_u32_e32 vcc_lo, s14, v50
	s_delay_alu instid0(VALU_DEP_2) | instskip(NEXT) | instid1(VALU_DEP_1)
	v_add_nc_u32_e32 v51, 1, v4
	v_dual_cndmask_b32 v50, v4, v51 :: v_dual_mov_b32 v51, v3
.LBB142_14:                             ;   in Loop: Header=BB142_10 Depth=2
	s_or_b32 exec_lo, exec_lo, s9
	s_delay_alu instid0(VALU_DEP_1)
	v_cmp_eq_u64_e32 vcc_lo, s[10:11], v[50:51]
	s_mov_b32 s24, exec_lo
	v_cmpx_ne_u64_e64 s[10:11], v[50:51]
	s_xor_b32 s24, exec_lo, s24
; %bb.15:                               ;   in Loop: Header=BB142_10 Depth=2
	v_cmp_lt_i64_e64 s9, v[50:51], v[42:43]
                                        ; implicit-def: $vgpr62
                                        ; implicit-def: $vgpr48_vgpr49
	s_delay_alu instid0(VALU_DEP_1)
	v_cndmask_b32_e64 v43, v43, v51, s9
	v_cndmask_b32_e64 v42, v42, v50, s9
; %bb.16:                               ;   in Loop: Header=BB142_10 Depth=2
	s_or_saveexec_b32 s9, s24
	v_dual_mov_b32 v51, v37 :: v_dual_mov_b32 v50, v36
	s_xor_b32 exec_lo, exec_lo, s9
	s_cbranch_execz .LBB142_9
; %bb.17:                               ;   in Loop: Header=BB142_10 Depth=2
	global_load_b64 v[63:64], v[44:45], off
	v_subrev_nc_u32_e32 v4, s51, v62
	v_dual_mov_b32 v51, v49 :: v_dual_mov_b32 v50, v48
	s_delay_alu instid0(VALU_DEP_2)
	v_add_lshl_u32 v4, v52, v4, 3
	ds_store_b8 v3, v61 offset:32768
	s_waitcnt vmcnt(0)
	ds_store_b64 v4, v[63:64]
	s_branch .LBB142_9
.LBB142_18:                             ;   in Loop: Header=BB142_7 Depth=1
	s_or_b32 exec_lo, exec_lo, s50
.LBB142_19:                             ;   in Loop: Header=BB142_7 Depth=1
	s_delay_alu instid0(SALU_CYCLE_1)
	s_or_b32 exec_lo, exec_lo, s49
	ds_bpermute_b32 v36, v54, v50
	ds_bpermute_b32 v37, v54, v51
	s_waitcnt lgkmcnt(0)
	s_barrier
	buffer_gl0_inv
	ds_load_u8 v4, v3 offset:32768
	s_mov_b64 s[24:25], 0
	v_cmp_lt_i64_e32 vcc_lo, v[36:37], v[50:51]
	v_dual_cndmask_b32 v37, v51, v37 :: v_dual_cndmask_b32 v36, v50, v36
	ds_bpermute_b32 v45, v55, v37
	ds_bpermute_b32 v44, v55, v36
	s_waitcnt lgkmcnt(0)
	v_cmp_lt_i64_e32 vcc_lo, v[44:45], v[36:37]
	v_dual_cndmask_b32 v37, v37, v45 :: v_dual_cndmask_b32 v36, v36, v44
	v_cmp_eq_u32_e32 vcc_lo, 0, v4
	ds_bpermute_b32 v37, v53, v37
	ds_bpermute_b32 v36, v53, v36
	s_cbranch_vccnz .LBB142_38
; %bb.20:                               ;   in Loop: Header=BB142_7 Depth=1
	s_add_u32 s10, s10, s29
	s_addc_u32 s11, s11, 0
	s_lshl_b64 s[24:25], s[22:23], 3
	s_mul_i32 s9, s30, s23
	s_mul_hi_u32 s26, s30, s22
	s_add_u32 s24, s16, s24
	s_addc_u32 s25, s17, s25
	s_add_i32 s9, s26, s9
	s_mul_i32 s26, s31, s22
	v_dual_mov_b32 v48, s11 :: v_dual_mov_b32 v47, s10
	s_add_i32 s27, s9, s26
	s_mul_i32 s26, s30, s22
	s_delay_alu instid0(SALU_CYCLE_1)
	s_lshl_b64 s[10:11], s[26:27], 3
	global_store_b64 v3, v[47:48], s[24:25]
	v_add_co_u32 v4, vcc_lo, v56, s10
	v_add_co_ci_u32_e32 v44, vcc_lo, s11, v57, vcc_lo
	v_add_co_u32 v45, vcc_lo, v58, s10
	v_add_co_ci_u32_e32 v46, vcc_lo, s11, v59, vcc_lo
	s_and_saveexec_b32 s9, s33
	s_cbranch_execnz .LBB142_54
; %bb.21:                               ;   in Loop: Header=BB142_7 Depth=1
	s_or_b32 exec_lo, exec_lo, s9
	s_and_saveexec_b32 s9, s34
	s_cbranch_execnz .LBB142_55
.LBB142_22:                             ;   in Loop: Header=BB142_7 Depth=1
	s_or_b32 exec_lo, exec_lo, s9
	s_and_saveexec_b32 s9, s35
	s_cbranch_execnz .LBB142_56
.LBB142_23:                             ;   in Loop: Header=BB142_7 Depth=1
	s_or_b32 exec_lo, exec_lo, s9
	s_and_saveexec_b32 s9, s36
	s_cbranch_execnz .LBB142_57
.LBB142_24:                             ;   in Loop: Header=BB142_7 Depth=1
	s_or_b32 exec_lo, exec_lo, s9
	s_and_saveexec_b32 s9, s37
	s_cbranch_execnz .LBB142_58
.LBB142_25:                             ;   in Loop: Header=BB142_7 Depth=1
	s_or_b32 exec_lo, exec_lo, s9
	s_and_saveexec_b32 s9, s38
	s_cbranch_execnz .LBB142_59
.LBB142_26:                             ;   in Loop: Header=BB142_7 Depth=1
	s_or_b32 exec_lo, exec_lo, s9
	s_and_saveexec_b32 s9, s39
	s_cbranch_execnz .LBB142_60
.LBB142_27:                             ;   in Loop: Header=BB142_7 Depth=1
	s_or_b32 exec_lo, exec_lo, s9
	s_and_saveexec_b32 s9, s40
	s_cbranch_execnz .LBB142_61
.LBB142_28:                             ;   in Loop: Header=BB142_7 Depth=1
	s_or_b32 exec_lo, exec_lo, s9
	s_and_saveexec_b32 s9, s41
	s_cbranch_execnz .LBB142_62
.LBB142_29:                             ;   in Loop: Header=BB142_7 Depth=1
	s_or_b32 exec_lo, exec_lo, s9
	s_and_saveexec_b32 s9, s42
	s_cbranch_execnz .LBB142_63
.LBB142_30:                             ;   in Loop: Header=BB142_7 Depth=1
	s_or_b32 exec_lo, exec_lo, s9
	s_and_saveexec_b32 s9, s43
	s_cbranch_execnz .LBB142_64
.LBB142_31:                             ;   in Loop: Header=BB142_7 Depth=1
	s_or_b32 exec_lo, exec_lo, s9
	s_and_saveexec_b32 s9, s44
	s_cbranch_execnz .LBB142_65
.LBB142_32:                             ;   in Loop: Header=BB142_7 Depth=1
	s_or_b32 exec_lo, exec_lo, s9
	s_and_saveexec_b32 s9, s45
	s_cbranch_execnz .LBB142_66
.LBB142_33:                             ;   in Loop: Header=BB142_7 Depth=1
	s_or_b32 exec_lo, exec_lo, s9
	s_and_saveexec_b32 s9, s46
	s_cbranch_execnz .LBB142_67
.LBB142_34:                             ;   in Loop: Header=BB142_7 Depth=1
	s_or_b32 exec_lo, exec_lo, s9
	s_and_saveexec_b32 s9, s47
	s_cbranch_execnz .LBB142_68
.LBB142_35:                             ;   in Loop: Header=BB142_7 Depth=1
	s_or_b32 exec_lo, exec_lo, s9
	s_and_saveexec_b32 s9, s48
	s_cbranch_execz .LBB142_37
.LBB142_36:                             ;   in Loop: Header=BB142_7 Depth=1
	ds_load_b64 v[47:48], v0 offset:480
	v_add_co_u32 v49, vcc_lo, 0x1e0, v45
	v_add_co_ci_u32_e32 v45, vcc_lo, 0, v46, vcc_lo
	v_add_co_u32 v4, vcc_lo, v4, v40
	v_add_co_ci_u32_e32 v44, vcc_lo, v44, v41, vcc_lo
	s_delay_alu instid0(VALU_DEP_1) | instskip(NEXT) | instid1(VALU_DEP_3)
	v_cndmask_b32_e64 v45, v44, v45, s0
	v_cndmask_b32_e64 v44, v4, v49, s0
	s_waitcnt lgkmcnt(0)
	global_store_b64 v[44:45], v[47:48], off
.LBB142_37:                             ;   in Loop: Header=BB142_7 Depth=1
	s_or_b32 exec_lo, exec_lo, s9
	s_mov_b64 s[24:25], 1
.LBB142_38:                             ;   in Loop: Header=BB142_7 Depth=1
	s_waitcnt lgkmcnt(0)
	s_waitcnt_vscnt null, 0x0
	s_barrier
	buffer_gl0_inv
	ds_store_b64 v60, v[42:43]
	s_waitcnt lgkmcnt(0)
	s_barrier
	buffer_gl0_inv
	s_and_saveexec_b32 s9, s1
	s_cbranch_execz .LBB142_40
; %bb.39:                               ;   in Loop: Header=BB142_7 Depth=1
	ds_load_2addr_stride64_b64 v[42:45], v60 offset1:2
	s_waitcnt lgkmcnt(0)
	v_cmp_lt_i64_e32 vcc_lo, v[44:45], v[42:43]
	v_dual_cndmask_b32 v43, v43, v45 :: v_dual_cndmask_b32 v42, v42, v44
	ds_store_b64 v60, v[42:43]
.LBB142_40:                             ;   in Loop: Header=BB142_7 Depth=1
	s_or_b32 exec_lo, exec_lo, s9
	s_waitcnt lgkmcnt(0)
	s_barrier
	buffer_gl0_inv
	s_and_saveexec_b32 s9, s2
	s_cbranch_execz .LBB142_42
; %bb.41:                               ;   in Loop: Header=BB142_7 Depth=1
	ds_load_2addr_stride64_b64 v[42:45], v60 offset1:1
	s_waitcnt lgkmcnt(0)
	v_cmp_lt_i64_e32 vcc_lo, v[44:45], v[42:43]
	v_dual_cndmask_b32 v43, v43, v45 :: v_dual_cndmask_b32 v42, v42, v44
	ds_store_b64 v60, v[42:43]
.LBB142_42:                             ;   in Loop: Header=BB142_7 Depth=1
	s_or_b32 exec_lo, exec_lo, s9
	s_waitcnt lgkmcnt(0)
	s_barrier
	buffer_gl0_inv
	s_and_saveexec_b32 s9, s3
	s_cbranch_execz .LBB142_44
; %bb.43:                               ;   in Loop: Header=BB142_7 Depth=1
	ds_load_2addr_b64 v[42:45], v60 offset1:32
	s_waitcnt lgkmcnt(0)
	v_cmp_lt_i64_e32 vcc_lo, v[44:45], v[42:43]
	v_dual_cndmask_b32 v43, v43, v45 :: v_dual_cndmask_b32 v42, v42, v44
	ds_store_b64 v60, v[42:43]
.LBB142_44:                             ;   in Loop: Header=BB142_7 Depth=1
	s_or_b32 exec_lo, exec_lo, s9
	s_waitcnt lgkmcnt(0)
	s_barrier
	buffer_gl0_inv
	s_and_saveexec_b32 s9, s4
	s_cbranch_execz .LBB142_46
; %bb.45:                               ;   in Loop: Header=BB142_7 Depth=1
	ds_load_2addr_b64 v[42:45], v60 offset1:16
	s_waitcnt lgkmcnt(0)
	v_cmp_lt_i64_e32 vcc_lo, v[44:45], v[42:43]
	v_dual_cndmask_b32 v43, v43, v45 :: v_dual_cndmask_b32 v42, v42, v44
	ds_store_b64 v60, v[42:43]
.LBB142_46:                             ;   in Loop: Header=BB142_7 Depth=1
	;; [unrolled: 13-line block ×5, first 2 shown]
	s_or_b32 exec_lo, exec_lo, s9
	s_waitcnt lgkmcnt(0)
	s_barrier
	buffer_gl0_inv
	s_and_saveexec_b32 s9, s8
	s_cbranch_execz .LBB142_6
; %bb.53:                               ;   in Loop: Header=BB142_7 Depth=1
	ds_load_b128 v[42:45], v3
	s_waitcnt lgkmcnt(0)
	v_cmp_lt_i64_e32 vcc_lo, v[44:45], v[42:43]
	v_dual_cndmask_b32 v43, v43, v45 :: v_dual_cndmask_b32 v42, v42, v44
	ds_store_b64 v3, v[42:43]
	s_branch .LBB142_6
.LBB142_54:                             ;   in Loop: Header=BB142_7 Depth=1
	ds_load_b64 v[47:48], v0
	v_add_co_u32 v49, vcc_lo, v4, v8
	v_add_co_ci_u32_e32 v50, vcc_lo, v44, v9, vcc_lo
	s_delay_alu instid0(VALU_DEP_2) | instskip(NEXT) | instid1(VALU_DEP_2)
	v_cndmask_b32_e64 v49, v49, v45, s0
	v_cndmask_b32_e64 v50, v50, v46, s0
	s_waitcnt lgkmcnt(0)
	global_store_b64 v[49:50], v[47:48], off
	s_or_b32 exec_lo, exec_lo, s9
	s_and_saveexec_b32 s9, s34
	s_cbranch_execz .LBB142_22
.LBB142_55:                             ;   in Loop: Header=BB142_7 Depth=1
	ds_load_b64 v[47:48], v0 offset:32
	v_add_co_u32 v49, vcc_lo, v45, 32
	v_add_co_ci_u32_e32 v50, vcc_lo, 0, v46, vcc_lo
	v_add_co_u32 v51, vcc_lo, v4, v10
	v_add_co_ci_u32_e32 v62, vcc_lo, v44, v11, vcc_lo
	s_delay_alu instid0(VALU_DEP_2) | instskip(NEXT) | instid1(VALU_DEP_2)
	v_cndmask_b32_e64 v49, v51, v49, s0
	v_cndmask_b32_e64 v50, v62, v50, s0
	s_waitcnt lgkmcnt(0)
	global_store_b64 v[49:50], v[47:48], off
	s_or_b32 exec_lo, exec_lo, s9
	s_and_saveexec_b32 s9, s35
	s_cbranch_execz .LBB142_23
.LBB142_56:                             ;   in Loop: Header=BB142_7 Depth=1
	ds_load_b64 v[47:48], v0 offset:64
	v_add_co_u32 v49, vcc_lo, v45, 64
	v_add_co_ci_u32_e32 v50, vcc_lo, 0, v46, vcc_lo
	v_add_co_u32 v51, vcc_lo, v4, v12
	v_add_co_ci_u32_e32 v62, vcc_lo, v44, v13, vcc_lo
	s_delay_alu instid0(VALU_DEP_2) | instskip(NEXT) | instid1(VALU_DEP_2)
	v_cndmask_b32_e64 v49, v51, v49, s0
	v_cndmask_b32_e64 v50, v62, v50, s0
	s_waitcnt lgkmcnt(0)
	global_store_b64 v[49:50], v[47:48], off
	s_or_b32 exec_lo, exec_lo, s9
	s_and_saveexec_b32 s9, s36
	s_cbranch_execz .LBB142_24
.LBB142_57:                             ;   in Loop: Header=BB142_7 Depth=1
	ds_load_b64 v[47:48], v0 offset:96
	v_add_co_u32 v49, vcc_lo, 0x60, v45
	v_add_co_ci_u32_e32 v50, vcc_lo, 0, v46, vcc_lo
	v_add_co_u32 v51, vcc_lo, v4, v14
	v_add_co_ci_u32_e32 v62, vcc_lo, v44, v15, vcc_lo
	s_delay_alu instid0(VALU_DEP_2) | instskip(NEXT) | instid1(VALU_DEP_2)
	v_cndmask_b32_e64 v49, v51, v49, s0
	v_cndmask_b32_e64 v50, v62, v50, s0
	s_waitcnt lgkmcnt(0)
	global_store_b64 v[49:50], v[47:48], off
	s_or_b32 exec_lo, exec_lo, s9
	s_and_saveexec_b32 s9, s37
	s_cbranch_execz .LBB142_25
.LBB142_58:                             ;   in Loop: Header=BB142_7 Depth=1
	ds_load_b64 v[47:48], v0 offset:128
	v_add_co_u32 v49, vcc_lo, 0x80, v45
	v_add_co_ci_u32_e32 v50, vcc_lo, 0, v46, vcc_lo
	v_add_co_u32 v51, vcc_lo, v4, v16
	v_add_co_ci_u32_e32 v62, vcc_lo, v44, v17, vcc_lo
	s_delay_alu instid0(VALU_DEP_2) | instskip(NEXT) | instid1(VALU_DEP_2)
	v_cndmask_b32_e64 v49, v51, v49, s0
	v_cndmask_b32_e64 v50, v62, v50, s0
	s_waitcnt lgkmcnt(0)
	global_store_b64 v[49:50], v[47:48], off
	s_or_b32 exec_lo, exec_lo, s9
	s_and_saveexec_b32 s9, s38
	s_cbranch_execz .LBB142_26
.LBB142_59:                             ;   in Loop: Header=BB142_7 Depth=1
	ds_load_b64 v[47:48], v0 offset:160
	v_add_co_u32 v49, vcc_lo, 0xa0, v45
	v_add_co_ci_u32_e32 v50, vcc_lo, 0, v46, vcc_lo
	v_add_co_u32 v51, vcc_lo, v4, v18
	v_add_co_ci_u32_e32 v62, vcc_lo, v44, v19, vcc_lo
	s_delay_alu instid0(VALU_DEP_2) | instskip(NEXT) | instid1(VALU_DEP_2)
	v_cndmask_b32_e64 v49, v51, v49, s0
	v_cndmask_b32_e64 v50, v62, v50, s0
	s_waitcnt lgkmcnt(0)
	global_store_b64 v[49:50], v[47:48], off
	s_or_b32 exec_lo, exec_lo, s9
	s_and_saveexec_b32 s9, s39
	s_cbranch_execz .LBB142_27
.LBB142_60:                             ;   in Loop: Header=BB142_7 Depth=1
	ds_load_b64 v[47:48], v0 offset:192
	v_add_co_u32 v49, vcc_lo, 0xc0, v45
	v_add_co_ci_u32_e32 v50, vcc_lo, 0, v46, vcc_lo
	v_add_co_u32 v51, vcc_lo, v4, v20
	v_add_co_ci_u32_e32 v62, vcc_lo, v44, v21, vcc_lo
	s_delay_alu instid0(VALU_DEP_2) | instskip(NEXT) | instid1(VALU_DEP_2)
	v_cndmask_b32_e64 v49, v51, v49, s0
	v_cndmask_b32_e64 v50, v62, v50, s0
	s_waitcnt lgkmcnt(0)
	global_store_b64 v[49:50], v[47:48], off
	s_or_b32 exec_lo, exec_lo, s9
	s_and_saveexec_b32 s9, s40
	s_cbranch_execz .LBB142_28
.LBB142_61:                             ;   in Loop: Header=BB142_7 Depth=1
	ds_load_b64 v[47:48], v0 offset:224
	v_add_co_u32 v49, vcc_lo, 0xe0, v45
	v_add_co_ci_u32_e32 v50, vcc_lo, 0, v46, vcc_lo
	v_add_co_u32 v51, vcc_lo, v4, v22
	v_add_co_ci_u32_e32 v62, vcc_lo, v44, v23, vcc_lo
	s_delay_alu instid0(VALU_DEP_2) | instskip(NEXT) | instid1(VALU_DEP_2)
	v_cndmask_b32_e64 v49, v51, v49, s0
	v_cndmask_b32_e64 v50, v62, v50, s0
	s_waitcnt lgkmcnt(0)
	global_store_b64 v[49:50], v[47:48], off
	s_or_b32 exec_lo, exec_lo, s9
	s_and_saveexec_b32 s9, s41
	s_cbranch_execz .LBB142_29
.LBB142_62:                             ;   in Loop: Header=BB142_7 Depth=1
	ds_load_b64 v[47:48], v0 offset:256
	v_add_co_u32 v49, vcc_lo, 0x100, v45
	v_add_co_ci_u32_e32 v50, vcc_lo, 0, v46, vcc_lo
	v_add_co_u32 v51, vcc_lo, v4, v24
	v_add_co_ci_u32_e32 v62, vcc_lo, v44, v25, vcc_lo
	s_delay_alu instid0(VALU_DEP_2) | instskip(NEXT) | instid1(VALU_DEP_2)
	v_cndmask_b32_e64 v49, v51, v49, s0
	v_cndmask_b32_e64 v50, v62, v50, s0
	s_waitcnt lgkmcnt(0)
	global_store_b64 v[49:50], v[47:48], off
	s_or_b32 exec_lo, exec_lo, s9
	s_and_saveexec_b32 s9, s42
	s_cbranch_execz .LBB142_30
.LBB142_63:                             ;   in Loop: Header=BB142_7 Depth=1
	ds_load_b64 v[47:48], v0 offset:288
	v_add_co_u32 v49, vcc_lo, 0x120, v45
	v_add_co_ci_u32_e32 v50, vcc_lo, 0, v46, vcc_lo
	v_add_co_u32 v51, vcc_lo, v4, v26
	v_add_co_ci_u32_e32 v62, vcc_lo, v44, v27, vcc_lo
	s_delay_alu instid0(VALU_DEP_2) | instskip(NEXT) | instid1(VALU_DEP_2)
	v_cndmask_b32_e64 v49, v51, v49, s0
	v_cndmask_b32_e64 v50, v62, v50, s0
	s_waitcnt lgkmcnt(0)
	global_store_b64 v[49:50], v[47:48], off
	s_or_b32 exec_lo, exec_lo, s9
	s_and_saveexec_b32 s9, s43
	s_cbranch_execz .LBB142_31
.LBB142_64:                             ;   in Loop: Header=BB142_7 Depth=1
	ds_load_b64 v[47:48], v0 offset:320
	v_add_co_u32 v49, vcc_lo, 0x140, v45
	v_add_co_ci_u32_e32 v50, vcc_lo, 0, v46, vcc_lo
	v_add_co_u32 v51, vcc_lo, v4, v28
	v_add_co_ci_u32_e32 v62, vcc_lo, v44, v29, vcc_lo
	s_delay_alu instid0(VALU_DEP_2) | instskip(NEXT) | instid1(VALU_DEP_2)
	v_cndmask_b32_e64 v49, v51, v49, s0
	v_cndmask_b32_e64 v50, v62, v50, s0
	s_waitcnt lgkmcnt(0)
	global_store_b64 v[49:50], v[47:48], off
	s_or_b32 exec_lo, exec_lo, s9
	s_and_saveexec_b32 s9, s44
	s_cbranch_execz .LBB142_32
.LBB142_65:                             ;   in Loop: Header=BB142_7 Depth=1
	ds_load_b64 v[47:48], v0 offset:352
	v_add_co_u32 v49, vcc_lo, 0x160, v45
	v_add_co_ci_u32_e32 v50, vcc_lo, 0, v46, vcc_lo
	v_add_co_u32 v51, vcc_lo, v4, v30
	v_add_co_ci_u32_e32 v62, vcc_lo, v44, v31, vcc_lo
	s_delay_alu instid0(VALU_DEP_2) | instskip(NEXT) | instid1(VALU_DEP_2)
	v_cndmask_b32_e64 v49, v51, v49, s0
	v_cndmask_b32_e64 v50, v62, v50, s0
	s_waitcnt lgkmcnt(0)
	global_store_b64 v[49:50], v[47:48], off
	s_or_b32 exec_lo, exec_lo, s9
	s_and_saveexec_b32 s9, s45
	s_cbranch_execz .LBB142_33
.LBB142_66:                             ;   in Loop: Header=BB142_7 Depth=1
	ds_load_b64 v[47:48], v0 offset:384
	v_add_co_u32 v49, vcc_lo, 0x180, v45
	v_add_co_ci_u32_e32 v50, vcc_lo, 0, v46, vcc_lo
	v_add_co_u32 v51, vcc_lo, v4, v32
	v_add_co_ci_u32_e32 v62, vcc_lo, v44, v33, vcc_lo
	s_delay_alu instid0(VALU_DEP_2) | instskip(NEXT) | instid1(VALU_DEP_2)
	v_cndmask_b32_e64 v49, v51, v49, s0
	v_cndmask_b32_e64 v50, v62, v50, s0
	s_waitcnt lgkmcnt(0)
	global_store_b64 v[49:50], v[47:48], off
	s_or_b32 exec_lo, exec_lo, s9
	s_and_saveexec_b32 s9, s46
	s_cbranch_execz .LBB142_34
.LBB142_67:                             ;   in Loop: Header=BB142_7 Depth=1
	ds_load_b64 v[47:48], v0 offset:416
	v_add_co_u32 v49, vcc_lo, 0x1a0, v45
	v_add_co_ci_u32_e32 v50, vcc_lo, 0, v46, vcc_lo
	v_add_co_u32 v51, vcc_lo, v4, v34
	v_add_co_ci_u32_e32 v62, vcc_lo, v44, v35, vcc_lo
	s_delay_alu instid0(VALU_DEP_2) | instskip(NEXT) | instid1(VALU_DEP_2)
	v_cndmask_b32_e64 v49, v51, v49, s0
	v_cndmask_b32_e64 v50, v62, v50, s0
	s_waitcnt lgkmcnt(0)
	global_store_b64 v[49:50], v[47:48], off
	s_or_b32 exec_lo, exec_lo, s9
	s_and_saveexec_b32 s9, s47
	s_cbranch_execz .LBB142_35
.LBB142_68:                             ;   in Loop: Header=BB142_7 Depth=1
	ds_load_b64 v[47:48], v0 offset:448
	v_add_co_u32 v49, vcc_lo, 0x1c0, v45
	v_add_co_ci_u32_e32 v50, vcc_lo, 0, v46, vcc_lo
	v_add_co_u32 v51, vcc_lo, v4, v38
	v_add_co_ci_u32_e32 v62, vcc_lo, v44, v39, vcc_lo
	s_delay_alu instid0(VALU_DEP_2) | instskip(NEXT) | instid1(VALU_DEP_2)
	v_cndmask_b32_e64 v49, v51, v49, s0
	v_cndmask_b32_e64 v50, v62, v50, s0
	s_waitcnt lgkmcnt(0)
	global_store_b64 v[49:50], v[47:48], off
	s_or_b32 exec_lo, exec_lo, s9
	s_and_saveexec_b32 s9, s48
	s_cbranch_execnz .LBB142_36
	s_branch .LBB142_37
.LBB142_69:
	s_endpgm
	.section	.rodata,"a",@progbits
	.p2align	6, 0x0
	.amdhsa_kernel _ZN9rocsparseL38csr2bsr_block_per_row_multipass_kernelILj256ELj64EdllEEv20rocsparse_direction_T3_S2_S2_S2_S2_21rocsparse_index_base_PKT1_PKT2_PKS2_S3_PS4_PS7_PS2_
		.amdhsa_group_segment_fixed_size 32776
		.amdhsa_private_segment_fixed_size 0
		.amdhsa_kernarg_size 112
		.amdhsa_user_sgpr_count 15
		.amdhsa_user_sgpr_dispatch_ptr 0
		.amdhsa_user_sgpr_queue_ptr 0
		.amdhsa_user_sgpr_kernarg_segment_ptr 1
		.amdhsa_user_sgpr_dispatch_id 0
		.amdhsa_user_sgpr_private_segment_size 0
		.amdhsa_wavefront_size32 1
		.amdhsa_uses_dynamic_stack 0
		.amdhsa_enable_private_segment 0
		.amdhsa_system_sgpr_workgroup_id_x 1
		.amdhsa_system_sgpr_workgroup_id_y 0
		.amdhsa_system_sgpr_workgroup_id_z 0
		.amdhsa_system_sgpr_workgroup_info 0
		.amdhsa_system_vgpr_workitem_id 0
		.amdhsa_next_free_vgpr 72
		.amdhsa_next_free_sgpr 53
		.amdhsa_reserve_vcc 1
		.amdhsa_float_round_mode_32 0
		.amdhsa_float_round_mode_16_64 0
		.amdhsa_float_denorm_mode_32 3
		.amdhsa_float_denorm_mode_16_64 3
		.amdhsa_dx10_clamp 1
		.amdhsa_ieee_mode 1
		.amdhsa_fp16_overflow 0
		.amdhsa_workgroup_processor_mode 1
		.amdhsa_memory_ordered 1
		.amdhsa_forward_progress 0
		.amdhsa_shared_vgpr_count 0
		.amdhsa_exception_fp_ieee_invalid_op 0
		.amdhsa_exception_fp_denorm_src 0
		.amdhsa_exception_fp_ieee_div_zero 0
		.amdhsa_exception_fp_ieee_overflow 0
		.amdhsa_exception_fp_ieee_underflow 0
		.amdhsa_exception_fp_ieee_inexact 0
		.amdhsa_exception_int_div_zero 0
	.end_amdhsa_kernel
	.section	.text._ZN9rocsparseL38csr2bsr_block_per_row_multipass_kernelILj256ELj64EdllEEv20rocsparse_direction_T3_S2_S2_S2_S2_21rocsparse_index_base_PKT1_PKT2_PKS2_S3_PS4_PS7_PS2_,"axG",@progbits,_ZN9rocsparseL38csr2bsr_block_per_row_multipass_kernelILj256ELj64EdllEEv20rocsparse_direction_T3_S2_S2_S2_S2_21rocsparse_index_base_PKT1_PKT2_PKS2_S3_PS4_PS7_PS2_,comdat
.Lfunc_end142:
	.size	_ZN9rocsparseL38csr2bsr_block_per_row_multipass_kernelILj256ELj64EdllEEv20rocsparse_direction_T3_S2_S2_S2_S2_21rocsparse_index_base_PKT1_PKT2_PKS2_S3_PS4_PS7_PS2_, .Lfunc_end142-_ZN9rocsparseL38csr2bsr_block_per_row_multipass_kernelILj256ELj64EdllEEv20rocsparse_direction_T3_S2_S2_S2_S2_21rocsparse_index_base_PKT1_PKT2_PKS2_S3_PS4_PS7_PS2_
                                        ; -- End function
	.section	.AMDGPU.csdata,"",@progbits
; Kernel info:
; codeLenInByte = 5176
; NumSgprs: 55
; NumVgprs: 72
; ScratchSize: 0
; MemoryBound: 0
; FloatMode: 240
; IeeeMode: 1
; LDSByteSize: 32776 bytes/workgroup (compile time only)
; SGPRBlocks: 6
; VGPRBlocks: 8
; NumSGPRsForWavesPerEU: 55
; NumVGPRsForWavesPerEU: 72
; Occupancy: 6
; WaveLimiterHint : 1
; COMPUTE_PGM_RSRC2:SCRATCH_EN: 0
; COMPUTE_PGM_RSRC2:USER_SGPR: 15
; COMPUTE_PGM_RSRC2:TRAP_HANDLER: 0
; COMPUTE_PGM_RSRC2:TGID_X_EN: 1
; COMPUTE_PGM_RSRC2:TGID_Y_EN: 0
; COMPUTE_PGM_RSRC2:TGID_Z_EN: 0
; COMPUTE_PGM_RSRC2:TIDIG_COMP_CNT: 0
	.section	.text._ZN9rocsparseL21csr2bsr_65_inf_kernelILj32EdllEEv20rocsparse_direction_T2_S2_S2_S2_S2_S2_21rocsparse_index_base_PKT0_PKT1_PKS2_S3_PS4_PS7_PS2_SD_SE_SC_,"axG",@progbits,_ZN9rocsparseL21csr2bsr_65_inf_kernelILj32EdllEEv20rocsparse_direction_T2_S2_S2_S2_S2_S2_21rocsparse_index_base_PKT0_PKT1_PKS2_S3_PS4_PS7_PS2_SD_SE_SC_,comdat
	.globl	_ZN9rocsparseL21csr2bsr_65_inf_kernelILj32EdllEEv20rocsparse_direction_T2_S2_S2_S2_S2_S2_21rocsparse_index_base_PKT0_PKT1_PKS2_S3_PS4_PS7_PS2_SD_SE_SC_ ; -- Begin function _ZN9rocsparseL21csr2bsr_65_inf_kernelILj32EdllEEv20rocsparse_direction_T2_S2_S2_S2_S2_S2_21rocsparse_index_base_PKT0_PKT1_PKS2_S3_PS4_PS7_PS2_SD_SE_SC_
	.p2align	8
	.type	_ZN9rocsparseL21csr2bsr_65_inf_kernelILj32EdllEEv20rocsparse_direction_T2_S2_S2_S2_S2_S2_21rocsparse_index_base_PKT0_PKT1_PKS2_S3_PS4_PS7_PS2_SD_SE_SC_,@function
_ZN9rocsparseL21csr2bsr_65_inf_kernelILj32EdllEEv20rocsparse_direction_T2_S2_S2_S2_S2_S2_21rocsparse_index_base_PKT0_PKT1_PKS2_S3_PS4_PS7_PS2_SD_SE_SC_: ; @_ZN9rocsparseL21csr2bsr_65_inf_kernelILj32EdllEEv20rocsparse_direction_T2_S2_S2_S2_S2_S2_21rocsparse_index_base_PKT0_PKT1_PKS2_S3_PS4_PS7_PS2_SD_SE_SC_
; %bb.0:
	s_clause 0x3
	s_load_b64 s[8:9], s[0:1], 0x18
	s_load_b128 s[4:7], s[0:1], 0x8
	s_load_b64 s[2:3], s[0:1], 0x78
	s_load_b32 s24, s[0:1], 0x58
	s_mov_b32 s12, s15
	s_mov_b32 s13, 0
	s_mov_b64 s[14:15], 0
	s_waitcnt lgkmcnt(0)
	v_cmp_ge_i64_e64 s8, s[12:13], s[8:9]
	s_delay_alu instid0(VALU_DEP_1)
	s_and_b32 vcc_lo, exec_lo, s8
	s_cbranch_vccnz .LBB143_2
; %bb.1:
	s_load_b64 s[8:9], s[0:1], 0x68
	s_lshl_b64 s[10:11], s[12:13], 3
	s_waitcnt lgkmcnt(0)
	s_add_u32 s8, s8, s10
	s_addc_u32 s9, s9, s11
	s_load_b64 s[8:9], s[8:9], 0x0
	s_waitcnt lgkmcnt(0)
	s_sub_u32 s14, s8, s24
	s_subb_u32 s15, s9, 0
.LBB143_2:
	s_clause 0x1
	s_load_b128 s[8:11], s[0:1], 0x28
	s_load_b32 s25, s[0:1], 0x38
	s_waitcnt lgkmcnt(0)
	v_mad_u64_u32 v[2:3], null, v0, s10, 0
	s_mul_i32 s13, s12, s11
	s_mul_hi_u32 s17, s12, s10
	s_mul_i32 s16, s12, s10
	s_add_i32 s17, s17, s13
	v_cmp_gt_i64_e64 s26, s[10:11], 0
	s_lshl_b64 s[16:17], s[16:17], 9
	s_delay_alu instid0(VALU_DEP_2)
	v_mov_b32_e32 v1, v3
	s_add_u32 s13, s2, s16
	s_addc_u32 s16, s3, s17
	s_lshl_b64 s[2:3], s[10:11], 8
	v_cmp_lt_i64_e64 s17, s[10:11], 1
	v_mad_u64_u32 v[3:4], null, v0, s11, v[1:2]
	s_add_u32 s2, s13, s2
	s_addc_u32 s3, s16, s3
	v_mov_b32_e32 v1, 0
	s_delay_alu instid0(VALU_DEP_2) | instskip(NEXT) | instid1(VALU_DEP_1)
	v_lshlrev_b64 v[8:9], 3, v[2:3]
	v_add_co_u32 v2, vcc_lo, s13, v8
	s_delay_alu instid0(VALU_DEP_2)
	v_add_co_ci_u32_e32 v3, vcc_lo, s16, v9, vcc_lo
	v_add_co_u32 v4, vcc_lo, s2, v8
	v_add_co_ci_u32_e32 v5, vcc_lo, s3, v9, vcc_lo
	s_and_b32 vcc_lo, exec_lo, s17
	s_cbranch_vccnz .LBB143_7
; %bb.3:
	s_load_b64 s[16:17], s[0:1], 0x48
	s_mul_i32 s2, s12, s9
	s_mul_hi_u32 s13, s12, s8
	s_mul_i32 s3, s12, s8
	s_add_i32 s13, s13, s2
	v_add_co_u32 v6, s2, s3, v0
	s_delay_alu instid0(VALU_DEP_1) | instskip(SKIP_2) | instid1(VALU_DEP_2)
	v_add_co_ci_u32_e64 v7, null, s13, 0, s2
	s_mov_b32 s18, 0
	v_dual_mov_b32 v11, v3 :: v_dual_mov_b32 v10, v2
	v_lshlrev_b64 v[12:13], 3, v[6:7]
	s_mov_b32 s19, s18
	v_dual_mov_b32 v7, v5 :: v_dual_mov_b32 v6, v4
	v_dual_mov_b32 v17, v1 :: v_dual_mov_b32 v16, v0
	s_waitcnt lgkmcnt(0)
	s_delay_alu instid0(VALU_DEP_3) | instskip(SKIP_2) | instid1(VALU_DEP_3)
	v_add_co_u32 v14, vcc_lo, v12, s16
	v_add_co_ci_u32_e32 v15, vcc_lo, s17, v13, vcc_lo
	v_dual_mov_b32 v12, s18 :: v_dual_mov_b32 v13, s19
	v_add_co_u32 v14, vcc_lo, v14, 8
	s_delay_alu instid0(VALU_DEP_3)
	v_add_co_ci_u32_e32 v15, vcc_lo, 0, v15, vcc_lo
	s_mov_b64 s[16:17], s[10:11]
	s_set_inst_prefetch_distance 0x1
	s_branch .LBB143_5
	.p2align	6
.LBB143_4:                              ;   in Loop: Header=BB143_5 Depth=1
	s_or_b32 exec_lo, exec_lo, s2
	v_add_co_u32 v16, vcc_lo, v16, 32
	v_add_co_ci_u32_e32 v17, vcc_lo, 0, v17, vcc_lo
	v_add_co_u32 v10, vcc_lo, v10, 8
	v_add_co_ci_u32_e32 v11, vcc_lo, 0, v11, vcc_lo
	;; [unrolled: 2-line block ×3, first 2 shown]
	v_add_co_u32 v6, vcc_lo, v6, 8
	s_add_u32 s16, s16, -1
	v_add_co_ci_u32_e32 v7, vcc_lo, 0, v7, vcc_lo
	s_addc_u32 s17, s17, -1
	s_delay_alu instid0(SALU_CYCLE_1)
	s_cmp_eq_u64 s[16:17], 0
	s_cbranch_scc1 .LBB143_7
.LBB143_5:                              ; =>This Inner Loop Header: Depth=1
	v_add_co_u32 v18, vcc_lo, s3, v16
	v_add_co_ci_u32_e32 v19, vcc_lo, s13, v17, vcc_lo
	v_cmp_gt_i64_e64 s2, s[8:9], v[16:17]
	global_store_b64 v[10:11], v[12:13], off
	global_store_b64 v[6:7], v[12:13], off
	v_cmp_gt_i64_e32 vcc_lo, s[4:5], v[18:19]
	s_and_b32 s18, vcc_lo, s2
	s_delay_alu instid0(SALU_CYCLE_1)
	s_and_saveexec_b32 s2, s18
	s_cbranch_execz .LBB143_4
; %bb.6:                                ;   in Loop: Header=BB143_5 Depth=1
	global_load_b128 v[18:21], v[14:15], off offset:-8
	s_waitcnt vmcnt(0)
	v_sub_co_u32 v18, vcc_lo, v18, s25
	v_subrev_co_ci_u32_e32 v19, vcc_lo, 0, v19, vcc_lo
	v_sub_co_u32 v20, vcc_lo, v20, s25
	v_subrev_co_ci_u32_e32 v21, vcc_lo, 0, v21, vcc_lo
	global_store_b64 v[10:11], v[18:19], off
	global_store_b64 v[6:7], v[20:21], off
	s_branch .LBB143_4
.LBB143_7:
	s_set_inst_prefetch_distance 0x2
	v_cmp_lt_i64_e64 s2, s[6:7], 1
	s_delay_alu instid0(VALU_DEP_1)
	s_and_b32 vcc_lo, exec_lo, s2
	s_cbranch_vccnz .LBB143_52
; %bb.8:
	s_clause 0x1
	s_load_b128 s[16:19], s[0:1], 0x80
	s_load_b64 s[20:21], s[0:1], 0x70
	s_lshl_b64 s[2:3], s[10:11], 5
	v_mbcnt_lo_u32_b32 v10, -1, 0
	s_mul_i32 s3, s3, s12
	s_mul_hi_u32 s4, s2, s12
	s_mul_i32 s22, s2, s12
	s_add_i32 s23, s4, s3
	s_clause 0x3
	s_load_b64 s[2:3], s[0:1], 0x60
	s_load_b64 s[4:5], s[0:1], 0x50
	;; [unrolled: 1-line block ×3, first 2 shown]
	s_load_b32 s30, s[0:1], 0x0
	s_lshl_b64 s[0:1], s[22:23], 3
	v_xor_b32_e32 v11, 16, v10
	v_xor_b32_e32 v12, 8, v10
	;; [unrolled: 1-line block ×5, first 2 shown]
	v_mov_b32_e32 v18, 0
	s_mov_b32 s27, 0
	v_mov_b32_e32 v43, 0x7c
	v_mov_b32_e32 v19, 0
	s_delay_alu instid0(VALU_DEP_3)
	v_mov_b32_e32 v16, v18
	s_waitcnt lgkmcnt(0)
	s_add_u32 s16, s16, s0
	s_addc_u32 s17, s17, s1
	v_add_co_u32 v6, vcc_lo, s16, v8
	s_add_u32 s0, s18, s0
	v_add_co_ci_u32_e32 v7, vcc_lo, s17, v9, vcc_lo
	s_addc_u32 s1, s19, s1
	v_add_co_u32 v8, vcc_lo, s0, v8
	v_add_co_ci_u32_e32 v9, vcc_lo, s1, v9, vcc_lo
	v_cmp_gt_i32_e32 vcc_lo, 32, v11
	s_lshl_b64 s[16:17], s[14:15], 3
	v_cmp_eq_u32_e64 s0, 31, v0
	s_add_u32 s28, s20, s16
	s_addc_u32 s29, s21, s17
	v_cndmask_b32_e32 v11, v10, v11, vcc_lo
	v_cmp_gt_i32_e32 vcc_lo, 32, v12
	s_cmp_lg_u32 s30, 0
	v_mov_b32_e32 v17, v19
	s_cselect_b32 s30, -1, 0
	s_add_u32 s31, s14, -1
	v_cndmask_b32_e32 v12, v10, v12, vcc_lo
	v_cmp_gt_i32_e32 vcc_lo, 32, v13
	s_addc_u32 s33, s15, -1
	s_lshl_b64 s[14:15], s[8:9], 3
	s_lshl_b64 s[16:17], s[8:9], 8
	s_ashr_i32 s18, s9, 31
	v_cndmask_b32_e32 v13, v10, v13, vcc_lo
	v_cmp_gt_i32_e32 vcc_lo, 32, v14
	s_delay_alu instid0(VALU_DEP_2) | instskip(SKIP_3) | instid1(VALU_DEP_2)
	v_lshlrev_b32_e32 v40, 2, v13
	v_lshlrev_b32_e32 v38, 2, v11
	v_cndmask_b32_e32 v14, v10, v14, vcc_lo
	v_cmp_gt_i32_e32 vcc_lo, 32, v15
	v_lshlrev_b32_e32 v41, 2, v14
	v_dual_cndmask_b32 v10, v10, v15 :: v_dual_lshlrev_b32 v39, 2, v12
	v_mov_b32_e32 v14, v18
	v_dual_mov_b32 v12, 0 :: v_dual_mov_b32 v15, v19
	s_delay_alu instid0(VALU_DEP_3) | instskip(SKIP_1) | instid1(VALU_DEP_1)
	v_lshlrev_b32_e32 v42, 2, v10
	v_lshlrev_b32_e32 v10, 3, v0
	v_add_co_u32 v10, s1, s2, v10
	s_delay_alu instid0(VALU_DEP_1)
	v_add_co_ci_u32_e64 v11, null, s3, 0, s1
	s_branch .LBB143_10
.LBB143_9:                              ;   in Loop: Header=BB143_10 Depth=1
	s_waitcnt lgkmcnt(3)
	v_add_co_u32 v18, vcc_lo, v34, 1
	s_waitcnt lgkmcnt(2)
	v_add_co_ci_u32_e32 v19, vcc_lo, 0, v35, vcc_lo
	s_delay_alu instid0(VALU_DEP_1) | instskip(SKIP_1) | instid1(SALU_CYCLE_1)
	v_cmp_le_i64_e32 vcc_lo, s[6:7], v[18:19]
	s_or_b32 s27, vcc_lo, s27
	s_and_not1_b32 exec_lo, exec_lo, s27
	s_cbranch_execz .LBB143_52
.LBB143_10:                             ; =>This Loop Header: Depth=1
                                        ;     Child Loop BB143_14 Depth 2
                                        ;       Child Loop BB143_17 Depth 3
                                        ;     Child Loop BB143_33 Depth 2
	v_dual_mov_b32 v21, s7 :: v_dual_mov_b32 v20, s6
	s_and_not1_b32 vcc_lo, exec_lo, s26
	s_cbranch_vccnz .LBB143_23
; %bb.11:                               ;   in Loop: Header=BB143_10 Depth=1
	v_dual_mov_b32 v21, s7 :: v_dual_mov_b32 v20, s6
	s_mov_b64 s[20:21], 0
	s_branch .LBB143_14
.LBB143_12:                             ;   in Loop: Header=BB143_14 Depth=2
	s_or_b32 exec_lo, exec_lo, s1
.LBB143_13:                             ;   in Loop: Header=BB143_14 Depth=2
	s_delay_alu instid0(SALU_CYCLE_1) | instskip(SKIP_2) | instid1(SALU_CYCLE_1)
	s_or_b32 exec_lo, exec_lo, s19
	s_add_u32 s20, s20, 1
	s_addc_u32 s21, s21, 0
	s_cmp_eq_u64 s[20:21], s[10:11]
	s_cbranch_scc1 .LBB143_23
.LBB143_14:                             ;   Parent Loop BB143_10 Depth=1
                                        ; =>  This Loop Header: Depth=2
                                        ;       Child Loop BB143_17 Depth 3
	s_lshl_b64 s[22:23], s[20:21], 3
	v_mov_b32_e32 v13, v12
	v_add_co_u32 v22, vcc_lo, v2, s22
	v_add_co_ci_u32_e32 v23, vcc_lo, s23, v3, vcc_lo
	v_add_co_u32 v24, vcc_lo, v4, s22
	v_add_co_ci_u32_e32 v25, vcc_lo, s23, v5, vcc_lo
	v_dual_mov_b32 v29, s7 :: v_dual_mov_b32 v28, s6
	s_clause 0x1
	global_load_b64 v[34:35], v[22:23], off
	global_load_b64 v[32:33], v[24:25], off
	v_add_co_u32 v24, vcc_lo, v8, s22
	v_add_co_ci_u32_e32 v25, vcc_lo, s23, v9, vcc_lo
	v_add_co_u32 v26, vcc_lo, v6, s22
	v_add_co_ci_u32_e32 v27, vcc_lo, s23, v7, vcc_lo
	s_mov_b32 s19, exec_lo
	global_store_b64 v[24:25], v[12:13], off
	global_store_b64 v[26:27], v[28:29], off
	s_waitcnt vmcnt(0)
	v_cmpx_lt_i64_e64 v[34:35], v[32:33]
	s_cbranch_execz .LBB143_13
; %bb.15:                               ;   in Loop: Header=BB143_14 Depth=2
	v_lshlrev_b64 v[28:29], 3, v[34:35]
	s_mov_b32 s22, 0
                                        ; implicit-def: $sgpr23
                                        ; implicit-def: $sgpr35
                                        ; implicit-def: $sgpr34
	s_delay_alu instid0(VALU_DEP_1) | instskip(NEXT) | instid1(VALU_DEP_2)
	v_add_co_u32 v36, vcc_lo, s4, v28
	v_add_co_ci_u32_e32 v37, vcc_lo, s5, v29, vcc_lo
	s_set_inst_prefetch_distance 0x1
	s_branch .LBB143_17
	.p2align	6
.LBB143_16:                             ;   in Loop: Header=BB143_17 Depth=3
	s_or_b32 exec_lo, exec_lo, s36
	s_delay_alu instid0(SALU_CYCLE_1) | instskip(NEXT) | instid1(SALU_CYCLE_1)
	s_and_b32 s1, exec_lo, s35
	s_or_b32 s22, s1, s22
	s_and_not1_b32 s1, s23, exec_lo
	s_and_b32 s23, s34, exec_lo
	s_delay_alu instid0(SALU_CYCLE_1)
	s_or_b32 s23, s1, s23
	s_and_not1_b32 exec_lo, exec_lo, s22
	s_cbranch_execz .LBB143_19
.LBB143_17:                             ;   Parent Loop BB143_10 Depth=1
                                        ;     Parent Loop BB143_14 Depth=2
                                        ; =>    This Inner Loop Header: Depth=3
	global_load_b64 v[28:29], v[36:37], off
	s_or_b32 s34, s34, exec_lo
	s_or_b32 s35, s35, exec_lo
	s_mov_b32 s36, exec_lo
	s_waitcnt vmcnt(0)
	v_sub_co_u32 v30, vcc_lo, v28, s25
	v_subrev_co_ci_u32_e32 v31, vcc_lo, 0, v29, vcc_lo
	v_dual_mov_b32 v28, v34 :: v_dual_mov_b32 v29, v35
                                        ; implicit-def: $vgpr34_vgpr35
	s_delay_alu instid0(VALU_DEP_2)
	v_cmpx_lt_i64_e64 v[30:31], v[18:19]
	s_cbranch_execz .LBB143_16
; %bb.18:                               ;   in Loop: Header=BB143_17 Depth=3
	s_delay_alu instid0(VALU_DEP_2) | instskip(NEXT) | instid1(VALU_DEP_3)
	v_add_co_u32 v34, vcc_lo, v28, 1
	v_add_co_ci_u32_e32 v35, vcc_lo, 0, v29, vcc_lo
	v_add_co_u32 v36, s1, v36, 8
	s_delay_alu instid0(VALU_DEP_1) | instskip(NEXT) | instid1(VALU_DEP_3)
	v_add_co_ci_u32_e64 v37, s1, 0, v37, s1
	v_cmp_ge_i64_e32 vcc_lo, v[34:35], v[32:33]
	s_and_not1_b32 s1, s35, exec_lo
	s_and_not1_b32 s34, s34, exec_lo
	s_and_b32 s35, vcc_lo, exec_lo
	s_delay_alu instid0(SALU_CYCLE_1)
	s_or_b32 s35, s1, s35
	s_branch .LBB143_16
.LBB143_19:                             ;   in Loop: Header=BB143_14 Depth=2
	s_set_inst_prefetch_distance 0x2
	s_or_b32 exec_lo, exec_lo, s22
	v_lshlrev_b64 v[32:33], 3, v[28:29]
	s_xor_b32 s1, s23, -1
	s_delay_alu instid0(SALU_CYCLE_1) | instskip(NEXT) | instid1(SALU_CYCLE_1)
	s_and_saveexec_b32 s22, s1
	s_xor_b32 s1, exec_lo, s22
	s_cbranch_execz .LBB143_21
; %bb.20:                               ;   in Loop: Header=BB143_14 Depth=2
	s_delay_alu instid0(VALU_DEP_1)
	v_add_co_u32 v22, vcc_lo, s12, v32
	v_add_co_ci_u32_e32 v23, vcc_lo, s13, v33, vcc_lo
                                        ; implicit-def: $vgpr32_vgpr33
	global_load_b64 v[22:23], v[22:23], off
	s_waitcnt vmcnt(0)
	global_store_b64 v[24:25], v[22:23], off
	global_store_b64 v[26:27], v[30:31], off
                                        ; implicit-def: $vgpr24_vgpr25
                                        ; implicit-def: $vgpr26_vgpr27
                                        ; implicit-def: $vgpr22_vgpr23
.LBB143_21:                             ;   in Loop: Header=BB143_14 Depth=2
	s_and_not1_saveexec_b32 s1, s1
	s_cbranch_execz .LBB143_12
; %bb.22:                               ;   in Loop: Header=BB143_14 Depth=2
	v_add_co_u32 v32, vcc_lo, s12, v32
	v_add_co_ci_u32_e32 v33, vcc_lo, s13, v33, vcc_lo
	v_cmp_lt_i64_e32 vcc_lo, v[30:31], v[20:21]
	global_load_b64 v[32:33], v[32:33], off
	global_store_b64 v[26:27], v[30:31], off
	s_waitcnt vmcnt(0)
	global_store_b64 v[24:25], v[32:33], off
	global_store_b64 v[22:23], v[28:29], off
	v_dual_cndmask_b32 v21, v21, v31 :: v_dual_cndmask_b32 v20, v20, v30
	s_branch .LBB143_12
.LBB143_23:                             ;   in Loop: Header=BB143_10 Depth=1
	ds_bpermute_b32 v18, v38, v20
	ds_bpermute_b32 v19, v38, v21
	s_waitcnt lgkmcnt(0)
	v_cmp_lt_i64_e32 vcc_lo, v[18:19], v[20:21]
	v_dual_cndmask_b32 v19, v21, v19 :: v_dual_cndmask_b32 v18, v20, v18
	ds_bpermute_b32 v21, v39, v19
	ds_bpermute_b32 v20, v39, v18
	s_waitcnt lgkmcnt(0)
	v_cmp_lt_i64_e32 vcc_lo, v[20:21], v[18:19]
	v_dual_cndmask_b32 v19, v19, v21 :: v_dual_cndmask_b32 v18, v18, v20
	;; [unrolled: 5-line block ×5, first 2 shown]
	s_delay_alu instid0(VALU_DEP_1) | instskip(SKIP_1) | instid1(SALU_CYCLE_1)
	v_cmp_gt_i64_e32 vcc_lo, s[6:7], v[18:19]
	s_and_b32 s1, s0, vcc_lo
	s_and_saveexec_b32 s22, s1
	s_cbranch_execz .LBB143_29
; %bb.24:                               ;   in Loop: Header=BB143_10 Depth=1
	v_or_b32_e32 v13, s9, v19
                                        ; implicit-def: $vgpr20_vgpr21
	s_mov_b32 s1, exec_lo
	s_delay_alu instid0(VALU_DEP_1)
	v_cmpx_ne_u64_e32 0, v[12:13]
	s_xor_b32 s23, exec_lo, s1
	s_cbranch_execnz .LBB143_50
; %bb.25:                               ;   in Loop: Header=BB143_10 Depth=1
	s_and_not1_saveexec_b32 s1, s23
	s_cbranch_execnz .LBB143_51
.LBB143_26:                             ;   in Loop: Header=BB143_10 Depth=1
	s_or_b32 exec_lo, exec_lo, s1
	s_delay_alu instid0(SALU_CYCLE_1)
	s_mov_b32 s1, exec_lo
	v_cmpx_ge_i64_e64 v[20:21], v[16:17]
	s_cbranch_execz .LBB143_28
.LBB143_27:                             ;   in Loop: Header=BB143_10 Depth=1
	v_lshlrev_b64 v[16:17], 3, v[14:15]
	v_add_co_u32 v22, vcc_lo, v20, s24
	v_add_co_ci_u32_e32 v23, vcc_lo, 0, v21, vcc_lo
	s_delay_alu instid0(VALU_DEP_3) | instskip(NEXT) | instid1(VALU_DEP_4)
	v_add_co_u32 v24, vcc_lo, s28, v16
	v_add_co_ci_u32_e32 v25, vcc_lo, s29, v17, vcc_lo
	v_add_co_u32 v14, vcc_lo, v14, 1
	v_add_co_ci_u32_e32 v15, vcc_lo, 0, v15, vcc_lo
	;; [unrolled: 2-line block ×3, first 2 shown]
	global_store_b64 v[24:25], v[22:23], off
.LBB143_28:                             ;   in Loop: Header=BB143_10 Depth=1
	s_or_b32 exec_lo, exec_lo, s1
.LBB143_29:                             ;   in Loop: Header=BB143_10 Depth=1
	s_delay_alu instid0(SALU_CYCLE_1)
	s_or_b32 exec_lo, exec_lo, s22
	ds_bpermute_b32 v34, v43, v18
	ds_bpermute_b32 v35, v43, v19
	;; [unrolled: 1-line block ×4, first 2 shown]
	s_and_not1_b32 vcc_lo, exec_lo, s26
	s_cbranch_vccnz .LBB143_9
; %bb.30:                               ;   in Loop: Header=BB143_10 Depth=1
	v_add_co_u32 v13, vcc_lo, s31, 0
	s_waitcnt lgkmcnt(0)
	v_add_co_ci_u32_e32 v18, vcc_lo, s33, v15, vcc_lo
	v_dual_mov_b32 v25, v9 :: v_dual_mov_b32 v24, v8
	s_delay_alu instid0(VALU_DEP_3) | instskip(NEXT) | instid1(VALU_DEP_3)
	v_add_co_u32 v13, vcc_lo, v13, v14
	v_add_co_ci_u32_e32 v18, vcc_lo, 0, v18, vcc_lo
	s_mov_b64 s[20:21], s[10:11]
	s_delay_alu instid0(VALU_DEP_2) | instskip(SKIP_1) | instid1(VALU_DEP_3)
	v_mul_lo_u32 v19, s9, v13
	v_mad_u64_u32 v[22:23], null, s8, v13, v[0:1]
	v_mul_lo_u32 v18, s8, v18
	v_add_co_u32 v13, vcc_lo, s31, v14
	v_add_co_ci_u32_e32 v20, vcc_lo, s33, v15, vcc_lo
	s_delay_alu instid0(VALU_DEP_2) | instskip(NEXT) | instid1(VALU_DEP_4)
	v_mul_lo_u32 v27, v13, s9
	v_add3_u32 v23, v19, v23, v18
	s_delay_alu instid0(VALU_DEP_3)
	v_mul_lo_u32 v26, v20, s8
	v_mad_u64_u32 v[18:19], null, v13, s8, 0
	v_mul_lo_u32 v13, s15, v22
	v_mad_u64_u32 v[20:21], null, s14, v22, s[2:3]
	v_mul_lo_u32 v28, s14, v23
	v_dual_mov_b32 v23, v7 :: v_dual_mov_b32 v22, v6
	v_add3_u32 v19, v19, v27, v26
	v_dual_mov_b32 v27, v11 :: v_dual_mov_b32 v26, v10
	s_delay_alu instid0(VALU_DEP_4)
	v_add3_u32 v21, v13, v21, v28
	s_branch .LBB143_33
.LBB143_31:                             ;   in Loop: Header=BB143_33 Depth=2
	s_or_b32 exec_lo, exec_lo, s1
	global_load_b64 v[28:29], v[24:25], off
	v_lshlrev_b64 v[30:31], 3, v[30:31]
	s_delay_alu instid0(VALU_DEP_1) | instskip(NEXT) | instid1(VALU_DEP_2)
	v_add_co_u32 v30, vcc_lo, v20, v30
	v_add_co_ci_u32_e32 v31, vcc_lo, v21, v31, vcc_lo
	s_waitcnt vmcnt(0)
	global_store_b64 v[30:31], v[28:29], off
.LBB143_32:                             ;   in Loop: Header=BB143_33 Depth=2
	s_or_b32 exec_lo, exec_lo, s34
	v_add_co_u32 v20, vcc_lo, v20, s16
	v_add_co_ci_u32_e32 v21, vcc_lo, s17, v21, vcc_lo
	v_add_co_u32 v26, vcc_lo, 0x100, v26
	v_add_co_ci_u32_e32 v27, vcc_lo, 0, v27, vcc_lo
	;; [unrolled: 2-line block ×3, first 2 shown]
	v_add_co_u32 v22, vcc_lo, v22, 8
	s_add_u32 s20, s20, -1
	v_add_co_ci_u32_e32 v23, vcc_lo, 0, v23, vcc_lo
	s_addc_u32 s21, s21, -1
	s_delay_alu instid0(SALU_CYCLE_1)
	s_cmp_eq_u64 s[20:21], 0
	s_cbranch_scc1 .LBB143_9
.LBB143_33:                             ;   Parent Loop BB143_10 Depth=1
                                        ; =>  This Inner Loop Header: Depth=2
	global_load_b64 v[28:29], v[22:23], off
	s_mov_b32 s34, exec_lo
	s_waitcnt vmcnt(0)
	v_cmpx_gt_i64_e64 s[6:7], v[28:29]
	s_cbranch_execz .LBB143_32
; %bb.34:                               ;   in Loop: Header=BB143_33 Depth=2
	v_or_b32_e32 v36, s9, v29
                                        ; implicit-def: $vgpr30_vgpr31
	s_mov_b32 s1, exec_lo
	s_delay_alu instid0(VALU_DEP_1) | instskip(NEXT) | instid1(VALU_DEP_1)
	v_mov_b32_e32 v13, v36
	v_cmpx_ne_u64_e32 0, v[12:13]
	s_xor_b32 s35, exec_lo, s1
	s_cbranch_execz .LBB143_36
; %bb.35:                               ;   in Loop: Header=BB143_33 Depth=2
	s_add_u32 s22, s8, s18
	s_mov_b32 s19, s18
	s_addc_u32 s23, s9, s18
	s_delay_alu instid0(SALU_CYCLE_1) | instskip(NEXT) | instid1(SALU_CYCLE_1)
	s_xor_b64 s[22:23], s[22:23], s[18:19]
	v_cvt_f32_u32_e32 v13, s22
	v_cvt_f32_u32_e32 v30, s23
	s_sub_u32 s1, 0, s22
	s_subb_u32 s19, 0, s23
	s_delay_alu instid0(VALU_DEP_1) | instskip(NEXT) | instid1(VALU_DEP_1)
	v_fmac_f32_e32 v13, 0x4f800000, v30
	v_rcp_f32_e32 v13, v13
	s_waitcnt_depctr 0xfff
	v_mul_f32_e32 v13, 0x5f7ffffc, v13
	s_delay_alu instid0(VALU_DEP_1) | instskip(NEXT) | instid1(VALU_DEP_1)
	v_mul_f32_e32 v30, 0x2f800000, v13
	v_trunc_f32_e32 v30, v30
	s_delay_alu instid0(VALU_DEP_1) | instskip(SKIP_1) | instid1(VALU_DEP_2)
	v_fmac_f32_e32 v13, 0xcf800000, v30
	v_cvt_u32_f32_e32 v30, v30
	v_cvt_u32_f32_e32 v13, v13
	s_delay_alu instid0(VALU_DEP_2) | instskip(NEXT) | instid1(VALU_DEP_2)
	v_mul_lo_u32 v31, s1, v30
	v_mul_hi_u32 v32, s1, v13
	v_mul_lo_u32 v33, s19, v13
	s_delay_alu instid0(VALU_DEP_2) | instskip(SKIP_1) | instid1(VALU_DEP_2)
	v_add_nc_u32_e32 v31, v32, v31
	v_mul_lo_u32 v32, s1, v13
	v_add_nc_u32_e32 v31, v31, v33
	s_delay_alu instid0(VALU_DEP_2) | instskip(NEXT) | instid1(VALU_DEP_2)
	v_mul_hi_u32 v33, v13, v32
	v_mul_lo_u32 v37, v13, v31
	v_mul_hi_u32 v44, v13, v31
	v_mul_hi_u32 v45, v30, v32
	v_mul_lo_u32 v32, v30, v32
	v_mul_hi_u32 v46, v30, v31
	v_mul_lo_u32 v31, v30, v31
	v_add_co_u32 v33, vcc_lo, v33, v37
	v_add_co_ci_u32_e32 v37, vcc_lo, 0, v44, vcc_lo
	s_delay_alu instid0(VALU_DEP_2) | instskip(NEXT) | instid1(VALU_DEP_2)
	v_add_co_u32 v32, vcc_lo, v33, v32
	v_add_co_ci_u32_e32 v32, vcc_lo, v37, v45, vcc_lo
	v_add_co_ci_u32_e32 v33, vcc_lo, 0, v46, vcc_lo
	v_ashrrev_i32_e32 v46, 31, v29
	s_delay_alu instid0(VALU_DEP_3) | instskip(NEXT) | instid1(VALU_DEP_3)
	v_add_co_u32 v31, vcc_lo, v32, v31
	v_add_co_ci_u32_e32 v32, vcc_lo, 0, v33, vcc_lo
	s_delay_alu instid0(VALU_DEP_2) | instskip(NEXT) | instid1(VALU_DEP_2)
	v_add_co_u32 v13, vcc_lo, v13, v31
	v_add_co_ci_u32_e32 v30, vcc_lo, v30, v32, vcc_lo
	s_delay_alu instid0(VALU_DEP_2) | instskip(SKIP_1) | instid1(VALU_DEP_3)
	v_mul_hi_u32 v31, s1, v13
	v_mul_lo_u32 v33, s19, v13
	v_mul_lo_u32 v32, s1, v30
	s_delay_alu instid0(VALU_DEP_1) | instskip(SKIP_1) | instid1(VALU_DEP_2)
	v_add_nc_u32_e32 v31, v31, v32
	v_mul_lo_u32 v32, s1, v13
	v_add_nc_u32_e32 v31, v31, v33
	s_delay_alu instid0(VALU_DEP_2) | instskip(NEXT) | instid1(VALU_DEP_2)
	v_mul_hi_u32 v33, v13, v32
	v_mul_lo_u32 v37, v13, v31
	v_mul_hi_u32 v44, v13, v31
	v_mul_hi_u32 v45, v30, v32
	v_mul_lo_u32 v32, v30, v32
	v_mul_hi_u32 v47, v30, v31
	v_mul_lo_u32 v31, v30, v31
	v_add_co_u32 v33, vcc_lo, v33, v37
	v_add_co_ci_u32_e32 v37, vcc_lo, 0, v44, vcc_lo
	s_delay_alu instid0(VALU_DEP_2) | instskip(NEXT) | instid1(VALU_DEP_2)
	v_add_co_u32 v32, vcc_lo, v33, v32
	v_add_co_ci_u32_e32 v32, vcc_lo, v37, v45, vcc_lo
	v_add_co_ci_u32_e32 v33, vcc_lo, 0, v47, vcc_lo
	v_add_co_u32 v37, vcc_lo, v28, v46
	v_add_co_ci_u32_e32 v44, vcc_lo, v29, v46, vcc_lo
	s_delay_alu instid0(VALU_DEP_4) | instskip(NEXT) | instid1(VALU_DEP_4)
	v_add_co_u32 v31, vcc_lo, v32, v31
	v_add_co_ci_u32_e32 v32, vcc_lo, 0, v33, vcc_lo
	s_delay_alu instid0(VALU_DEP_4) | instskip(NEXT) | instid1(VALU_DEP_3)
	v_xor_b32_e32 v37, v37, v46
	v_add_co_u32 v13, vcc_lo, v13, v31
	s_delay_alu instid0(VALU_DEP_3) | instskip(SKIP_1) | instid1(VALU_DEP_3)
	v_add_co_ci_u32_e32 v47, vcc_lo, v30, v32, vcc_lo
	v_xor_b32_e32 v48, v44, v46
	v_mul_hi_u32 v49, v37, v13
	s_delay_alu instid0(VALU_DEP_3) | instskip(NEXT) | instid1(VALU_DEP_3)
	v_mad_u64_u32 v[30:31], null, v37, v47, 0
	v_mad_u64_u32 v[32:33], null, v48, v13, 0
	;; [unrolled: 1-line block ×3, first 2 shown]
	s_delay_alu instid0(VALU_DEP_3) | instskip(NEXT) | instid1(VALU_DEP_4)
	v_add_co_u32 v13, vcc_lo, v49, v30
	v_add_co_ci_u32_e32 v30, vcc_lo, 0, v31, vcc_lo
	s_delay_alu instid0(VALU_DEP_2) | instskip(NEXT) | instid1(VALU_DEP_2)
	v_add_co_u32 v13, vcc_lo, v13, v32
	v_add_co_ci_u32_e32 v13, vcc_lo, v30, v33, vcc_lo
	v_add_co_ci_u32_e32 v30, vcc_lo, 0, v45, vcc_lo
	s_delay_alu instid0(VALU_DEP_2) | instskip(NEXT) | instid1(VALU_DEP_2)
	v_add_co_u32 v13, vcc_lo, v13, v44
	v_add_co_ci_u32_e32 v32, vcc_lo, 0, v30, vcc_lo
	s_delay_alu instid0(VALU_DEP_2) | instskip(SKIP_1) | instid1(VALU_DEP_3)
	v_mul_lo_u32 v33, s23, v13
	v_mad_u64_u32 v[30:31], null, s22, v13, 0
	v_mul_lo_u32 v44, s22, v32
	s_delay_alu instid0(VALU_DEP_2) | instskip(NEXT) | instid1(VALU_DEP_2)
	v_sub_co_u32 v30, vcc_lo, v37, v30
	v_add3_u32 v31, v31, v44, v33
	s_delay_alu instid0(VALU_DEP_1) | instskip(NEXT) | instid1(VALU_DEP_1)
	v_sub_nc_u32_e32 v33, v48, v31
	v_subrev_co_ci_u32_e64 v33, s1, s23, v33, vcc_lo
	v_add_co_u32 v37, s1, v13, 2
	s_delay_alu instid0(VALU_DEP_1) | instskip(SKIP_3) | instid1(VALU_DEP_3)
	v_add_co_ci_u32_e64 v44, s1, 0, v32, s1
	v_sub_co_u32 v45, s1, v30, s22
	v_sub_co_ci_u32_e32 v31, vcc_lo, v48, v31, vcc_lo
	v_subrev_co_ci_u32_e64 v33, s1, 0, v33, s1
	v_cmp_le_u32_e32 vcc_lo, s22, v45
	s_delay_alu instid0(VALU_DEP_3) | instskip(SKIP_1) | instid1(VALU_DEP_4)
	v_cmp_eq_u32_e64 s1, s23, v31
	v_cndmask_b32_e64 v45, 0, -1, vcc_lo
	v_cmp_le_u32_e32 vcc_lo, s23, v33
	v_cndmask_b32_e64 v47, 0, -1, vcc_lo
	v_cmp_le_u32_e32 vcc_lo, s22, v30
	;; [unrolled: 2-line block ×3, first 2 shown]
	v_cndmask_b32_e64 v48, 0, -1, vcc_lo
	v_cmp_eq_u32_e32 vcc_lo, s23, v33
	s_delay_alu instid0(VALU_DEP_2) | instskip(SKIP_3) | instid1(VALU_DEP_3)
	v_cndmask_b32_e64 v30, v48, v30, s1
	v_cndmask_b32_e32 v33, v47, v45, vcc_lo
	v_add_co_u32 v45, vcc_lo, v13, 1
	v_add_co_ci_u32_e32 v47, vcc_lo, 0, v32, vcc_lo
	v_cmp_ne_u32_e32 vcc_lo, 0, v33
	s_delay_alu instid0(VALU_DEP_2) | instskip(NEXT) | instid1(VALU_DEP_4)
	v_cndmask_b32_e32 v31, v47, v44, vcc_lo
	v_cndmask_b32_e32 v33, v45, v37, vcc_lo
	v_cmp_ne_u32_e32 vcc_lo, 0, v30
	v_xor_b32_e32 v37, s18, v46
	s_delay_alu instid0(VALU_DEP_3) | instskip(NEXT) | instid1(VALU_DEP_1)
	v_dual_cndmask_b32 v13, v13, v33 :: v_dual_cndmask_b32 v30, v32, v31
	v_xor_b32_e32 v13, v13, v37
	s_delay_alu instid0(VALU_DEP_2) | instskip(NEXT) | instid1(VALU_DEP_2)
	v_xor_b32_e32 v31, v30, v37
	v_sub_co_u32 v30, vcc_lo, v13, v37
	s_delay_alu instid0(VALU_DEP_2)
	v_sub_co_ci_u32_e32 v31, vcc_lo, v31, v37, vcc_lo
.LBB143_36:                             ;   in Loop: Header=BB143_33 Depth=2
	s_and_not1_saveexec_b32 s1, s35
	s_cbranch_execz .LBB143_38
; %bb.37:                               ;   in Loop: Header=BB143_33 Depth=2
	v_cvt_f32_u32_e32 v13, s8
	s_sub_i32 s19, 0, s8
	s_delay_alu instid0(VALU_DEP_1) | instskip(SKIP_2) | instid1(VALU_DEP_1)
	v_rcp_iflag_f32_e32 v13, v13
	s_waitcnt_depctr 0xfff
	v_mul_f32_e32 v13, 0x4f7ffffe, v13
	v_cvt_u32_f32_e32 v13, v13
	s_delay_alu instid0(VALU_DEP_1) | instskip(NEXT) | instid1(VALU_DEP_1)
	v_mul_lo_u32 v30, s19, v13
	v_mul_hi_u32 v30, v13, v30
	s_delay_alu instid0(VALU_DEP_1) | instskip(NEXT) | instid1(VALU_DEP_1)
	v_add_nc_u32_e32 v13, v13, v30
	v_mul_hi_u32 v13, v28, v13
	s_delay_alu instid0(VALU_DEP_1) | instskip(SKIP_1) | instid1(VALU_DEP_2)
	v_mul_lo_u32 v30, v13, s8
	v_add_nc_u32_e32 v31, 1, v13
	v_sub_nc_u32_e32 v30, v28, v30
	s_delay_alu instid0(VALU_DEP_1) | instskip(SKIP_1) | instid1(VALU_DEP_2)
	v_subrev_nc_u32_e32 v32, s8, v30
	v_cmp_le_u32_e32 vcc_lo, s8, v30
	v_dual_cndmask_b32 v30, v30, v32 :: v_dual_cndmask_b32 v13, v13, v31
	s_delay_alu instid0(VALU_DEP_1) | instskip(NEXT) | instid1(VALU_DEP_2)
	v_cmp_le_u32_e32 vcc_lo, s8, v30
	v_add_nc_u32_e32 v31, 1, v13
	s_delay_alu instid0(VALU_DEP_1)
	v_dual_cndmask_b32 v30, v13, v31 :: v_dual_mov_b32 v31, v12
.LBB143_38:                             ;   in Loop: Header=BB143_33 Depth=2
	s_or_b32 exec_lo, exec_lo, s1
	v_or_b32_e32 v13, s9, v35
                                        ; implicit-def: $vgpr32_vgpr33
	s_mov_b32 s1, exec_lo
	s_delay_alu instid0(VALU_DEP_1)
	v_cmpx_ne_u64_e32 0, v[12:13]
	s_xor_b32 s35, exec_lo, s1
	s_cbranch_execnz .LBB143_41
; %bb.39:                               ;   in Loop: Header=BB143_33 Depth=2
	s_and_not1_saveexec_b32 s1, s35
	s_cbranch_execnz .LBB143_42
.LBB143_40:                             ;   in Loop: Header=BB143_33 Depth=2
	s_or_b32 exec_lo, exec_lo, s1
	s_delay_alu instid0(VALU_DEP_1)
	v_cmp_eq_u64_e32 vcc_lo, v[30:31], v[32:33]
	s_and_b32 exec_lo, exec_lo, vcc_lo
	s_cbranch_execz .LBB143_32
	s_branch .LBB143_43
.LBB143_41:                             ;   in Loop: Header=BB143_33 Depth=2
	s_add_u32 s22, s8, s18
	s_mov_b32 s19, s18
	s_addc_u32 s23, s9, s18
	s_delay_alu instid0(SALU_CYCLE_1) | instskip(NEXT) | instid1(SALU_CYCLE_1)
	s_xor_b64 s[22:23], s[22:23], s[18:19]
	v_cvt_f32_u32_e32 v13, s22
	v_cvt_f32_u32_e32 v32, s23
	s_sub_u32 s1, 0, s22
	s_subb_u32 s19, 0, s23
	s_delay_alu instid0(VALU_DEP_1) | instskip(NEXT) | instid1(VALU_DEP_1)
	v_fmac_f32_e32 v13, 0x4f800000, v32
	v_rcp_f32_e32 v13, v13
	s_waitcnt_depctr 0xfff
	v_mul_f32_e32 v13, 0x5f7ffffc, v13
	s_delay_alu instid0(VALU_DEP_1) | instskip(NEXT) | instid1(VALU_DEP_1)
	v_mul_f32_e32 v32, 0x2f800000, v13
	v_trunc_f32_e32 v32, v32
	s_delay_alu instid0(VALU_DEP_1) | instskip(SKIP_1) | instid1(VALU_DEP_2)
	v_fmac_f32_e32 v13, 0xcf800000, v32
	v_cvt_u32_f32_e32 v32, v32
	v_cvt_u32_f32_e32 v13, v13
	s_delay_alu instid0(VALU_DEP_2) | instskip(NEXT) | instid1(VALU_DEP_2)
	v_mul_lo_u32 v33, s1, v32
	v_mul_hi_u32 v37, s1, v13
	v_mul_lo_u32 v44, s19, v13
	s_delay_alu instid0(VALU_DEP_2) | instskip(SKIP_1) | instid1(VALU_DEP_2)
	v_add_nc_u32_e32 v33, v37, v33
	v_mul_lo_u32 v37, s1, v13
	v_add_nc_u32_e32 v33, v33, v44
	s_delay_alu instid0(VALU_DEP_2) | instskip(NEXT) | instid1(VALU_DEP_2)
	v_mul_hi_u32 v44, v13, v37
	v_mul_lo_u32 v45, v13, v33
	v_mul_hi_u32 v46, v13, v33
	v_mul_hi_u32 v47, v32, v37
	v_mul_lo_u32 v37, v32, v37
	v_mul_hi_u32 v48, v32, v33
	v_mul_lo_u32 v33, v32, v33
	v_add_co_u32 v44, vcc_lo, v44, v45
	v_add_co_ci_u32_e32 v45, vcc_lo, 0, v46, vcc_lo
	s_delay_alu instid0(VALU_DEP_2) | instskip(NEXT) | instid1(VALU_DEP_2)
	v_add_co_u32 v37, vcc_lo, v44, v37
	v_add_co_ci_u32_e32 v37, vcc_lo, v45, v47, vcc_lo
	v_add_co_ci_u32_e32 v44, vcc_lo, 0, v48, vcc_lo
	v_ashrrev_i32_e32 v48, 31, v35
	s_delay_alu instid0(VALU_DEP_3) | instskip(NEXT) | instid1(VALU_DEP_3)
	v_add_co_u32 v33, vcc_lo, v37, v33
	v_add_co_ci_u32_e32 v37, vcc_lo, 0, v44, vcc_lo
	s_delay_alu instid0(VALU_DEP_2) | instskip(NEXT) | instid1(VALU_DEP_2)
	v_add_co_u32 v13, vcc_lo, v13, v33
	v_add_co_ci_u32_e32 v32, vcc_lo, v32, v37, vcc_lo
	s_delay_alu instid0(VALU_DEP_2) | instskip(SKIP_1) | instid1(VALU_DEP_3)
	v_mul_hi_u32 v33, s1, v13
	v_mul_lo_u32 v44, s19, v13
	v_mul_lo_u32 v37, s1, v32
	s_delay_alu instid0(VALU_DEP_1) | instskip(SKIP_1) | instid1(VALU_DEP_2)
	v_add_nc_u32_e32 v33, v33, v37
	v_mul_lo_u32 v37, s1, v13
	v_add_nc_u32_e32 v33, v33, v44
	s_delay_alu instid0(VALU_DEP_2) | instskip(NEXT) | instid1(VALU_DEP_2)
	v_mul_hi_u32 v44, v13, v37
	v_mul_lo_u32 v45, v13, v33
	v_mul_hi_u32 v46, v13, v33
	v_mul_hi_u32 v47, v32, v37
	v_mul_lo_u32 v37, v32, v37
	v_mul_hi_u32 v49, v32, v33
	v_mul_lo_u32 v33, v32, v33
	v_add_co_u32 v44, vcc_lo, v44, v45
	v_add_co_ci_u32_e32 v45, vcc_lo, 0, v46, vcc_lo
	s_delay_alu instid0(VALU_DEP_2) | instskip(NEXT) | instid1(VALU_DEP_2)
	v_add_co_u32 v37, vcc_lo, v44, v37
	v_add_co_ci_u32_e32 v37, vcc_lo, v45, v47, vcc_lo
	v_add_co_ci_u32_e32 v44, vcc_lo, 0, v49, vcc_lo
	v_add_co_u32 v45, vcc_lo, v34, v48
	v_add_co_ci_u32_e32 v46, vcc_lo, v35, v48, vcc_lo
	s_delay_alu instid0(VALU_DEP_4) | instskip(NEXT) | instid1(VALU_DEP_4)
	v_add_co_u32 v33, vcc_lo, v37, v33
	v_add_co_ci_u32_e32 v37, vcc_lo, 0, v44, vcc_lo
	s_delay_alu instid0(VALU_DEP_4) | instskip(NEXT) | instid1(VALU_DEP_3)
	v_xor_b32_e32 v49, v45, v48
	v_add_co_u32 v13, vcc_lo, v13, v33
	s_delay_alu instid0(VALU_DEP_3) | instskip(SKIP_1) | instid1(VALU_DEP_3)
	v_add_co_ci_u32_e32 v37, vcc_lo, v32, v37, vcc_lo
	v_xor_b32_e32 v50, v46, v48
	v_mul_hi_u32 v51, v49, v13
	s_delay_alu instid0(VALU_DEP_3) | instskip(NEXT) | instid1(VALU_DEP_3)
	v_mad_u64_u32 v[32:33], null, v49, v37, 0
	v_mad_u64_u32 v[44:45], null, v50, v13, 0
	v_mad_u64_u32 v[46:47], null, v50, v37, 0
	s_delay_alu instid0(VALU_DEP_3) | instskip(NEXT) | instid1(VALU_DEP_4)
	v_add_co_u32 v13, vcc_lo, v51, v32
	v_add_co_ci_u32_e32 v32, vcc_lo, 0, v33, vcc_lo
	s_delay_alu instid0(VALU_DEP_2) | instskip(NEXT) | instid1(VALU_DEP_2)
	v_add_co_u32 v13, vcc_lo, v13, v44
	v_add_co_ci_u32_e32 v13, vcc_lo, v32, v45, vcc_lo
	v_add_co_ci_u32_e32 v32, vcc_lo, 0, v47, vcc_lo
	s_delay_alu instid0(VALU_DEP_2) | instskip(NEXT) | instid1(VALU_DEP_2)
	v_add_co_u32 v13, vcc_lo, v13, v46
	v_add_co_ci_u32_e32 v37, vcc_lo, 0, v32, vcc_lo
	s_delay_alu instid0(VALU_DEP_2) | instskip(SKIP_1) | instid1(VALU_DEP_3)
	v_mul_lo_u32 v44, s23, v13
	v_mad_u64_u32 v[32:33], null, s22, v13, 0
	v_mul_lo_u32 v45, s22, v37
	s_delay_alu instid0(VALU_DEP_2) | instskip(NEXT) | instid1(VALU_DEP_2)
	v_sub_co_u32 v32, vcc_lo, v49, v32
	v_add3_u32 v33, v33, v45, v44
	s_delay_alu instid0(VALU_DEP_1) | instskip(NEXT) | instid1(VALU_DEP_1)
	v_sub_nc_u32_e32 v44, v50, v33
	v_subrev_co_ci_u32_e64 v44, s1, s23, v44, vcc_lo
	v_add_co_u32 v45, s1, v13, 2
	s_delay_alu instid0(VALU_DEP_1) | instskip(SKIP_3) | instid1(VALU_DEP_3)
	v_add_co_ci_u32_e64 v46, s1, 0, v37, s1
	v_sub_co_u32 v47, s1, v32, s22
	v_sub_co_ci_u32_e32 v33, vcc_lo, v50, v33, vcc_lo
	v_subrev_co_ci_u32_e64 v44, s1, 0, v44, s1
	v_cmp_le_u32_e32 vcc_lo, s22, v47
	s_delay_alu instid0(VALU_DEP_3) | instskip(SKIP_1) | instid1(VALU_DEP_4)
	v_cmp_eq_u32_e64 s1, s23, v33
	v_cndmask_b32_e64 v47, 0, -1, vcc_lo
	v_cmp_le_u32_e32 vcc_lo, s23, v44
	v_cndmask_b32_e64 v49, 0, -1, vcc_lo
	v_cmp_le_u32_e32 vcc_lo, s22, v32
	;; [unrolled: 2-line block ×3, first 2 shown]
	v_cndmask_b32_e64 v50, 0, -1, vcc_lo
	v_cmp_eq_u32_e32 vcc_lo, s23, v44
	s_delay_alu instid0(VALU_DEP_2) | instskip(SKIP_3) | instid1(VALU_DEP_3)
	v_cndmask_b32_e64 v32, v50, v32, s1
	v_cndmask_b32_e32 v44, v49, v47, vcc_lo
	v_add_co_u32 v47, vcc_lo, v13, 1
	v_add_co_ci_u32_e32 v49, vcc_lo, 0, v37, vcc_lo
	v_cmp_ne_u32_e32 vcc_lo, 0, v44
	s_delay_alu instid0(VALU_DEP_2) | instskip(SKIP_2) | instid1(VALU_DEP_3)
	v_dual_cndmask_b32 v44, v47, v45 :: v_dual_cndmask_b32 v33, v49, v46
	v_cmp_ne_u32_e32 vcc_lo, 0, v32
	v_xor_b32_e32 v45, s18, v48
	v_cndmask_b32_e32 v13, v13, v44, vcc_lo
	s_delay_alu instid0(VALU_DEP_4) | instskip(NEXT) | instid1(VALU_DEP_2)
	v_cndmask_b32_e32 v32, v37, v33, vcc_lo
	v_xor_b32_e32 v13, v13, v45
	s_delay_alu instid0(VALU_DEP_2) | instskip(NEXT) | instid1(VALU_DEP_2)
	v_xor_b32_e32 v33, v32, v45
	v_sub_co_u32 v32, vcc_lo, v13, v45
	s_delay_alu instid0(VALU_DEP_2)
	v_sub_co_ci_u32_e32 v33, vcc_lo, v33, v45, vcc_lo
	s_and_not1_saveexec_b32 s1, s35
	s_cbranch_execz .LBB143_40
.LBB143_42:                             ;   in Loop: Header=BB143_33 Depth=2
	v_cvt_f32_u32_e32 v13, s8
	s_sub_i32 s19, 0, s8
	s_delay_alu instid0(VALU_DEP_1) | instskip(SKIP_2) | instid1(VALU_DEP_1)
	v_rcp_iflag_f32_e32 v13, v13
	s_waitcnt_depctr 0xfff
	v_mul_f32_e32 v13, 0x4f7ffffe, v13
	v_cvt_u32_f32_e32 v13, v13
	s_delay_alu instid0(VALU_DEP_1) | instskip(NEXT) | instid1(VALU_DEP_1)
	v_mul_lo_u32 v32, s19, v13
	v_mul_hi_u32 v32, v13, v32
	s_delay_alu instid0(VALU_DEP_1) | instskip(NEXT) | instid1(VALU_DEP_1)
	v_add_nc_u32_e32 v13, v13, v32
	v_mul_hi_u32 v13, v34, v13
	s_delay_alu instid0(VALU_DEP_1) | instskip(SKIP_1) | instid1(VALU_DEP_2)
	v_mul_lo_u32 v32, v13, s8
	v_add_nc_u32_e32 v33, 1, v13
	v_sub_nc_u32_e32 v32, v34, v32
	s_delay_alu instid0(VALU_DEP_1) | instskip(SKIP_1) | instid1(VALU_DEP_2)
	v_subrev_nc_u32_e32 v37, s8, v32
	v_cmp_le_u32_e32 vcc_lo, s8, v32
	v_cndmask_b32_e32 v32, v32, v37, vcc_lo
	v_cndmask_b32_e32 v13, v13, v33, vcc_lo
	s_delay_alu instid0(VALU_DEP_2) | instskip(NEXT) | instid1(VALU_DEP_2)
	v_cmp_le_u32_e32 vcc_lo, s8, v32
	v_add_nc_u32_e32 v33, 1, v13
	s_delay_alu instid0(VALU_DEP_1) | instskip(SKIP_1) | instid1(VALU_DEP_1)
	v_dual_cndmask_b32 v32, v13, v33 :: v_dual_mov_b32 v33, v12
	s_or_b32 exec_lo, exec_lo, s1
	v_cmp_eq_u64_e32 vcc_lo, v[30:31], v[32:33]
	s_and_b32 exec_lo, exec_lo, vcc_lo
	s_cbranch_execz .LBB143_32
.LBB143_43:                             ;   in Loop: Header=BB143_33 Depth=2
	s_and_b32 vcc_lo, exec_lo, s30
	s_cbranch_vccz .LBB143_45
; %bb.44:                               ;   in Loop: Header=BB143_33 Depth=2
	global_load_b64 v[32:33], v[24:25], off
	v_mul_lo_u32 v13, v31, s8
	v_mul_lo_u32 v31, v30, s9
	v_mad_u64_u32 v[44:45], null, v30, s8, 0
	s_delay_alu instid0(VALU_DEP_1) | instskip(NEXT) | instid1(VALU_DEP_2)
	v_add3_u32 v13, v45, v31, v13
	v_sub_co_u32 v30, vcc_lo, v28, v44
	s_delay_alu instid0(VALU_DEP_2) | instskip(NEXT) | instid1(VALU_DEP_2)
	v_sub_co_ci_u32_e32 v13, vcc_lo, v29, v13, vcc_lo
	v_add_co_u32 v37, vcc_lo, v30, v18
	s_delay_alu instid0(VALU_DEP_2) | instskip(NEXT) | instid1(VALU_DEP_2)
	v_add_co_ci_u32_e32 v13, vcc_lo, v13, v19, vcc_lo
	v_mul_lo_u32 v44, s15, v37
	v_mad_u64_u32 v[30:31], null, s14, v37, v[26:27]
	s_delay_alu instid0(VALU_DEP_3) | instskip(NEXT) | instid1(VALU_DEP_1)
	v_mul_lo_u32 v13, s14, v13
	v_add3_u32 v31, v44, v31, v13
	s_waitcnt vmcnt(0)
	global_store_b64 v[30:31], v[32:33], off
	s_cbranch_execnz .LBB143_32
	s_branch .LBB143_46
.LBB143_45:                             ;   in Loop: Header=BB143_33 Depth=2
.LBB143_46:                             ;   in Loop: Header=BB143_33 Depth=2
	v_mov_b32_e32 v13, v36
                                        ; implicit-def: $vgpr30_vgpr31
	s_mov_b32 s1, exec_lo
	s_delay_alu instid0(VALU_DEP_1)
	v_cmpx_ne_u64_e32 0, v[12:13]
	s_xor_b32 s35, exec_lo, s1
	s_cbranch_execz .LBB143_48
; %bb.47:                               ;   in Loop: Header=BB143_33 Depth=2
	s_add_u32 s22, s8, s18
	s_mov_b32 s19, s18
	s_addc_u32 s23, s9, s18
	s_delay_alu instid0(SALU_CYCLE_1) | instskip(NEXT) | instid1(SALU_CYCLE_1)
	s_xor_b64 s[22:23], s[22:23], s[18:19]
	v_cvt_f32_u32_e32 v13, s22
	v_cvt_f32_u32_e32 v30, s23
	s_sub_u32 s1, 0, s22
	s_subb_u32 s19, 0, s23
	s_delay_alu instid0(VALU_DEP_1) | instskip(NEXT) | instid1(VALU_DEP_1)
	v_fmac_f32_e32 v13, 0x4f800000, v30
	v_rcp_f32_e32 v13, v13
	s_waitcnt_depctr 0xfff
	v_mul_f32_e32 v13, 0x5f7ffffc, v13
	s_delay_alu instid0(VALU_DEP_1) | instskip(NEXT) | instid1(VALU_DEP_1)
	v_mul_f32_e32 v30, 0x2f800000, v13
	v_trunc_f32_e32 v30, v30
	s_delay_alu instid0(VALU_DEP_1) | instskip(SKIP_1) | instid1(VALU_DEP_2)
	v_fmac_f32_e32 v13, 0xcf800000, v30
	v_cvt_u32_f32_e32 v30, v30
	v_cvt_u32_f32_e32 v13, v13
	s_delay_alu instid0(VALU_DEP_2) | instskip(NEXT) | instid1(VALU_DEP_2)
	v_mul_lo_u32 v31, s1, v30
	v_mul_hi_u32 v32, s1, v13
	v_mul_lo_u32 v33, s19, v13
	s_delay_alu instid0(VALU_DEP_2) | instskip(SKIP_1) | instid1(VALU_DEP_2)
	v_add_nc_u32_e32 v31, v32, v31
	v_mul_lo_u32 v32, s1, v13
	v_add_nc_u32_e32 v31, v31, v33
	s_delay_alu instid0(VALU_DEP_2) | instskip(NEXT) | instid1(VALU_DEP_2)
	v_mul_hi_u32 v33, v13, v32
	v_mul_lo_u32 v36, v13, v31
	v_mul_hi_u32 v37, v13, v31
	v_mul_hi_u32 v44, v30, v32
	v_mul_lo_u32 v32, v30, v32
	v_mul_hi_u32 v45, v30, v31
	v_mul_lo_u32 v31, v30, v31
	v_add_co_u32 v33, vcc_lo, v33, v36
	v_add_co_ci_u32_e32 v36, vcc_lo, 0, v37, vcc_lo
	s_delay_alu instid0(VALU_DEP_2) | instskip(NEXT) | instid1(VALU_DEP_2)
	v_add_co_u32 v32, vcc_lo, v33, v32
	v_add_co_ci_u32_e32 v32, vcc_lo, v36, v44, vcc_lo
	v_add_co_ci_u32_e32 v33, vcc_lo, 0, v45, vcc_lo
	v_ashrrev_i32_e32 v44, 31, v29
	s_delay_alu instid0(VALU_DEP_3) | instskip(NEXT) | instid1(VALU_DEP_3)
	v_add_co_u32 v31, vcc_lo, v32, v31
	v_add_co_ci_u32_e32 v32, vcc_lo, 0, v33, vcc_lo
	s_delay_alu instid0(VALU_DEP_2) | instskip(NEXT) | instid1(VALU_DEP_2)
	v_add_co_u32 v13, vcc_lo, v13, v31
	v_add_co_ci_u32_e32 v30, vcc_lo, v30, v32, vcc_lo
	s_delay_alu instid0(VALU_DEP_2) | instskip(SKIP_1) | instid1(VALU_DEP_3)
	v_mul_hi_u32 v31, s1, v13
	v_mul_lo_u32 v33, s19, v13
	v_mul_lo_u32 v32, s1, v30
	s_delay_alu instid0(VALU_DEP_1) | instskip(SKIP_1) | instid1(VALU_DEP_2)
	v_add_nc_u32_e32 v31, v31, v32
	v_mul_lo_u32 v32, s1, v13
	v_add_nc_u32_e32 v31, v31, v33
	s_delay_alu instid0(VALU_DEP_2) | instskip(NEXT) | instid1(VALU_DEP_2)
	v_mul_hi_u32 v33, v13, v32
	v_mul_lo_u32 v36, v13, v31
	v_mul_hi_u32 v37, v13, v31
	v_mul_hi_u32 v45, v30, v32
	v_mul_lo_u32 v32, v30, v32
	v_mul_hi_u32 v46, v30, v31
	v_mul_lo_u32 v31, v30, v31
	v_add_co_u32 v33, vcc_lo, v33, v36
	v_add_co_ci_u32_e32 v36, vcc_lo, 0, v37, vcc_lo
	s_delay_alu instid0(VALU_DEP_2) | instskip(NEXT) | instid1(VALU_DEP_2)
	v_add_co_u32 v32, vcc_lo, v33, v32
	v_add_co_ci_u32_e32 v32, vcc_lo, v36, v45, vcc_lo
	v_add_co_ci_u32_e32 v33, vcc_lo, 0, v46, vcc_lo
	v_add_co_u32 v28, vcc_lo, v28, v44
	v_add_co_ci_u32_e32 v29, vcc_lo, v29, v44, vcc_lo
	s_delay_alu instid0(VALU_DEP_4) | instskip(NEXT) | instid1(VALU_DEP_4)
	v_add_co_u32 v31, vcc_lo, v32, v31
	v_add_co_ci_u32_e32 v32, vcc_lo, 0, v33, vcc_lo
	s_delay_alu instid0(VALU_DEP_4) | instskip(NEXT) | instid1(VALU_DEP_3)
	v_xor_b32_e32 v36, v28, v44
	v_add_co_u32 v13, vcc_lo, v13, v31
	s_delay_alu instid0(VALU_DEP_3) | instskip(SKIP_1) | instid1(VALU_DEP_3)
	v_add_co_ci_u32_e32 v37, vcc_lo, v30, v32, vcc_lo
	v_xor_b32_e32 v45, v29, v44
	v_mul_hi_u32 v46, v36, v13
	s_delay_alu instid0(VALU_DEP_3) | instskip(NEXT) | instid1(VALU_DEP_3)
	v_mad_u64_u32 v[28:29], null, v36, v37, 0
	v_mad_u64_u32 v[30:31], null, v45, v13, 0
	;; [unrolled: 1-line block ×3, first 2 shown]
	s_delay_alu instid0(VALU_DEP_3) | instskip(NEXT) | instid1(VALU_DEP_4)
	v_add_co_u32 v13, vcc_lo, v46, v28
	v_add_co_ci_u32_e32 v28, vcc_lo, 0, v29, vcc_lo
	s_delay_alu instid0(VALU_DEP_2) | instskip(NEXT) | instid1(VALU_DEP_2)
	v_add_co_u32 v13, vcc_lo, v13, v30
	v_add_co_ci_u32_e32 v13, vcc_lo, v28, v31, vcc_lo
	v_add_co_ci_u32_e32 v28, vcc_lo, 0, v33, vcc_lo
	s_delay_alu instid0(VALU_DEP_2) | instskip(NEXT) | instid1(VALU_DEP_2)
	v_add_co_u32 v13, vcc_lo, v13, v32
	v_add_co_ci_u32_e32 v30, vcc_lo, 0, v28, vcc_lo
	s_delay_alu instid0(VALU_DEP_2) | instskip(SKIP_1) | instid1(VALU_DEP_3)
	v_mul_lo_u32 v31, s23, v13
	v_mad_u64_u32 v[28:29], null, s22, v13, 0
	v_mul_lo_u32 v13, s22, v30
	s_delay_alu instid0(VALU_DEP_2) | instskip(NEXT) | instid1(VALU_DEP_2)
	v_sub_co_u32 v28, vcc_lo, v36, v28
	v_add3_u32 v13, v29, v13, v31
	s_delay_alu instid0(VALU_DEP_1) | instskip(NEXT) | instid1(VALU_DEP_1)
	v_sub_nc_u32_e32 v29, v45, v13
	v_subrev_co_ci_u32_e64 v29, s1, s23, v29, vcc_lo
	v_sub_co_ci_u32_e32 v13, vcc_lo, v45, v13, vcc_lo
	v_sub_co_u32 v30, vcc_lo, v28, s22
	s_delay_alu instid0(VALU_DEP_1) | instskip(SKIP_3) | instid1(VALU_DEP_3)
	v_subrev_co_ci_u32_e64 v31, s1, 0, v29, vcc_lo
	v_cmp_le_u32_e64 s1, s22, v28
	v_subrev_co_ci_u32_e32 v29, vcc_lo, s23, v29, vcc_lo
	v_cmp_le_u32_e32 vcc_lo, s23, v13
	v_cndmask_b32_e64 v32, 0, -1, s1
	v_cmp_le_u32_e64 s1, s22, v30
	v_cndmask_b32_e64 v37, 0, -1, vcc_lo
	v_cmp_eq_u32_e32 vcc_lo, s23, v31
	s_delay_alu instid0(VALU_DEP_3) | instskip(SKIP_1) | instid1(VALU_DEP_1)
	v_cndmask_b32_e64 v33, 0, -1, s1
	v_cmp_le_u32_e64 s1, s23, v31
	v_cndmask_b32_e64 v36, 0, -1, s1
	v_cmp_eq_u32_e64 s1, s23, v13
	s_delay_alu instid0(VALU_DEP_2) | instskip(SKIP_2) | instid1(VALU_DEP_3)
	v_cndmask_b32_e32 v33, v36, v33, vcc_lo
	v_sub_co_u32 v36, vcc_lo, v30, s22
	v_subrev_co_ci_u32_e32 v29, vcc_lo, 0, v29, vcc_lo
	v_cmp_ne_u32_e32 vcc_lo, 0, v33
	v_cndmask_b32_e64 v32, v37, v32, s1
	s_delay_alu instid0(VALU_DEP_3) | instskip(NEXT) | instid1(VALU_DEP_2)
	v_dual_cndmask_b32 v29, v31, v29 :: v_dual_cndmask_b32 v30, v30, v36
	v_cmp_ne_u32_e32 vcc_lo, 0, v32
	s_delay_alu instid0(VALU_DEP_2) | instskip(NEXT) | instid1(VALU_DEP_1)
	v_dual_cndmask_b32 v28, v28, v30 :: v_dual_cndmask_b32 v13, v13, v29
	v_xor_b32_e32 v28, v28, v44
	s_delay_alu instid0(VALU_DEP_2) | instskip(NEXT) | instid1(VALU_DEP_2)
	v_xor_b32_e32 v13, v13, v44
	v_sub_co_u32 v30, vcc_lo, v28, v44
	s_delay_alu instid0(VALU_DEP_2)
	v_sub_co_ci_u32_e32 v31, vcc_lo, v13, v44, vcc_lo
                                        ; implicit-def: $vgpr28_vgpr29
.LBB143_48:                             ;   in Loop: Header=BB143_33 Depth=2
	s_and_not1_saveexec_b32 s1, s35
	s_cbranch_execz .LBB143_31
; %bb.49:                               ;   in Loop: Header=BB143_33 Depth=2
	v_cvt_f32_u32_e32 v13, s8
	s_sub_i32 s19, 0, s8
	v_mov_b32_e32 v31, v12
	s_delay_alu instid0(VALU_DEP_2) | instskip(SKIP_2) | instid1(VALU_DEP_1)
	v_rcp_iflag_f32_e32 v13, v13
	s_waitcnt_depctr 0xfff
	v_mul_f32_e32 v13, 0x4f7ffffe, v13
	v_cvt_u32_f32_e32 v13, v13
	s_delay_alu instid0(VALU_DEP_1) | instskip(NEXT) | instid1(VALU_DEP_1)
	v_mul_lo_u32 v29, s19, v13
	v_mul_hi_u32 v29, v13, v29
	s_delay_alu instid0(VALU_DEP_1) | instskip(NEXT) | instid1(VALU_DEP_1)
	v_add_nc_u32_e32 v13, v13, v29
	v_mul_hi_u32 v13, v28, v13
	s_delay_alu instid0(VALU_DEP_1) | instskip(NEXT) | instid1(VALU_DEP_1)
	v_mul_lo_u32 v13, v13, s8
	v_sub_nc_u32_e32 v13, v28, v13
	s_delay_alu instid0(VALU_DEP_1) | instskip(SKIP_1) | instid1(VALU_DEP_2)
	v_subrev_nc_u32_e32 v28, s8, v13
	v_cmp_le_u32_e32 vcc_lo, s8, v13
	v_cndmask_b32_e32 v13, v13, v28, vcc_lo
	s_delay_alu instid0(VALU_DEP_1) | instskip(SKIP_1) | instid1(VALU_DEP_2)
	v_subrev_nc_u32_e32 v28, s8, v13
	v_cmp_le_u32_e32 vcc_lo, s8, v13
	v_cndmask_b32_e32 v30, v13, v28, vcc_lo
	s_branch .LBB143_31
.LBB143_50:                             ;   in Loop: Header=BB143_10 Depth=1
	s_add_u32 s20, s8, s18
	s_mov_b32 s19, s18
	s_addc_u32 s21, s9, s18
	s_delay_alu instid0(SALU_CYCLE_1) | instskip(NEXT) | instid1(SALU_CYCLE_1)
	s_xor_b64 s[20:21], s[20:21], s[18:19]
	v_cvt_f32_u32_e32 v13, s20
	v_cvt_f32_u32_e32 v20, s21
	s_sub_u32 s1, 0, s20
	s_subb_u32 s19, 0, s21
	s_delay_alu instid0(VALU_DEP_1) | instskip(NEXT) | instid1(VALU_DEP_1)
	v_fmac_f32_e32 v13, 0x4f800000, v20
	v_rcp_f32_e32 v13, v13
	s_waitcnt_depctr 0xfff
	v_mul_f32_e32 v13, 0x5f7ffffc, v13
	s_delay_alu instid0(VALU_DEP_1) | instskip(NEXT) | instid1(VALU_DEP_1)
	v_mul_f32_e32 v20, 0x2f800000, v13
	v_trunc_f32_e32 v20, v20
	s_delay_alu instid0(VALU_DEP_1) | instskip(SKIP_1) | instid1(VALU_DEP_2)
	v_fmac_f32_e32 v13, 0xcf800000, v20
	v_cvt_u32_f32_e32 v20, v20
	v_cvt_u32_f32_e32 v13, v13
	s_delay_alu instid0(VALU_DEP_2) | instskip(NEXT) | instid1(VALU_DEP_2)
	v_mul_lo_u32 v21, s1, v20
	v_mul_hi_u32 v22, s1, v13
	v_mul_lo_u32 v23, s19, v13
	s_delay_alu instid0(VALU_DEP_2) | instskip(SKIP_1) | instid1(VALU_DEP_2)
	v_add_nc_u32_e32 v21, v22, v21
	v_mul_lo_u32 v22, s1, v13
	v_add_nc_u32_e32 v21, v21, v23
	s_delay_alu instid0(VALU_DEP_2) | instskip(NEXT) | instid1(VALU_DEP_2)
	v_mul_hi_u32 v23, v13, v22
	v_mul_lo_u32 v24, v13, v21
	v_mul_hi_u32 v25, v13, v21
	v_mul_hi_u32 v26, v20, v22
	v_mul_lo_u32 v22, v20, v22
	v_mul_hi_u32 v27, v20, v21
	v_mul_lo_u32 v21, v20, v21
	v_add_co_u32 v23, vcc_lo, v23, v24
	v_add_co_ci_u32_e32 v24, vcc_lo, 0, v25, vcc_lo
	s_delay_alu instid0(VALU_DEP_2) | instskip(NEXT) | instid1(VALU_DEP_2)
	v_add_co_u32 v22, vcc_lo, v23, v22
	v_add_co_ci_u32_e32 v22, vcc_lo, v24, v26, vcc_lo
	v_add_co_ci_u32_e32 v23, vcc_lo, 0, v27, vcc_lo
	v_ashrrev_i32_e32 v26, 31, v19
	s_delay_alu instid0(VALU_DEP_3) | instskip(NEXT) | instid1(VALU_DEP_3)
	v_add_co_u32 v21, vcc_lo, v22, v21
	v_add_co_ci_u32_e32 v22, vcc_lo, 0, v23, vcc_lo
	s_delay_alu instid0(VALU_DEP_2) | instskip(NEXT) | instid1(VALU_DEP_2)
	v_add_co_u32 v13, vcc_lo, v13, v21
	v_add_co_ci_u32_e32 v20, vcc_lo, v20, v22, vcc_lo
	s_delay_alu instid0(VALU_DEP_2) | instskip(SKIP_1) | instid1(VALU_DEP_3)
	v_mul_hi_u32 v21, s1, v13
	v_mul_lo_u32 v23, s19, v13
	v_mul_lo_u32 v22, s1, v20
	s_delay_alu instid0(VALU_DEP_1) | instskip(SKIP_1) | instid1(VALU_DEP_2)
	v_add_nc_u32_e32 v21, v21, v22
	v_mul_lo_u32 v22, s1, v13
	v_add_nc_u32_e32 v21, v21, v23
	s_delay_alu instid0(VALU_DEP_2) | instskip(NEXT) | instid1(VALU_DEP_2)
	v_mul_hi_u32 v23, v13, v22
	v_mul_lo_u32 v24, v13, v21
	v_mul_hi_u32 v25, v13, v21
	v_mul_hi_u32 v27, v20, v22
	v_mul_lo_u32 v22, v20, v22
	v_mul_hi_u32 v28, v20, v21
	v_mul_lo_u32 v21, v20, v21
	v_add_co_u32 v23, vcc_lo, v23, v24
	v_add_co_ci_u32_e32 v24, vcc_lo, 0, v25, vcc_lo
	s_delay_alu instid0(VALU_DEP_2) | instskip(NEXT) | instid1(VALU_DEP_2)
	v_add_co_u32 v22, vcc_lo, v23, v22
	v_add_co_ci_u32_e32 v22, vcc_lo, v24, v27, vcc_lo
	v_add_co_ci_u32_e32 v23, vcc_lo, 0, v28, vcc_lo
	v_add_co_u32 v24, vcc_lo, v18, v26
	v_add_co_ci_u32_e32 v25, vcc_lo, v19, v26, vcc_lo
	s_delay_alu instid0(VALU_DEP_4) | instskip(NEXT) | instid1(VALU_DEP_4)
	v_add_co_u32 v21, vcc_lo, v22, v21
	v_add_co_ci_u32_e32 v22, vcc_lo, 0, v23, vcc_lo
	s_delay_alu instid0(VALU_DEP_4) | instskip(NEXT) | instid1(VALU_DEP_3)
	v_xor_b32_e32 v27, v24, v26
	v_add_co_u32 v13, vcc_lo, v13, v21
	s_delay_alu instid0(VALU_DEP_3) | instskip(SKIP_1) | instid1(VALU_DEP_3)
	v_add_co_ci_u32_e32 v28, vcc_lo, v20, v22, vcc_lo
	v_xor_b32_e32 v29, v25, v26
	v_mul_hi_u32 v30, v27, v13
	s_delay_alu instid0(VALU_DEP_3) | instskip(NEXT) | instid1(VALU_DEP_3)
	v_mad_u64_u32 v[20:21], null, v27, v28, 0
	v_mad_u64_u32 v[22:23], null, v29, v13, 0
	;; [unrolled: 1-line block ×3, first 2 shown]
	s_delay_alu instid0(VALU_DEP_3) | instskip(NEXT) | instid1(VALU_DEP_4)
	v_add_co_u32 v13, vcc_lo, v30, v20
	v_add_co_ci_u32_e32 v20, vcc_lo, 0, v21, vcc_lo
	s_delay_alu instid0(VALU_DEP_2) | instskip(NEXT) | instid1(VALU_DEP_2)
	v_add_co_u32 v13, vcc_lo, v13, v22
	v_add_co_ci_u32_e32 v13, vcc_lo, v20, v23, vcc_lo
	v_add_co_ci_u32_e32 v20, vcc_lo, 0, v25, vcc_lo
	s_delay_alu instid0(VALU_DEP_2) | instskip(NEXT) | instid1(VALU_DEP_2)
	v_add_co_u32 v13, vcc_lo, v13, v24
	v_add_co_ci_u32_e32 v22, vcc_lo, 0, v20, vcc_lo
	s_delay_alu instid0(VALU_DEP_2) | instskip(SKIP_1) | instid1(VALU_DEP_3)
	v_mul_lo_u32 v23, s21, v13
	v_mad_u64_u32 v[20:21], null, s20, v13, 0
	v_mul_lo_u32 v24, s20, v22
	s_delay_alu instid0(VALU_DEP_2) | instskip(NEXT) | instid1(VALU_DEP_2)
	v_sub_co_u32 v20, vcc_lo, v27, v20
	v_add3_u32 v21, v21, v24, v23
	s_delay_alu instid0(VALU_DEP_1) | instskip(NEXT) | instid1(VALU_DEP_1)
	v_sub_nc_u32_e32 v23, v29, v21
	v_subrev_co_ci_u32_e64 v23, s1, s21, v23, vcc_lo
	v_add_co_u32 v24, s1, v13, 2
	s_delay_alu instid0(VALU_DEP_1) | instskip(SKIP_3) | instid1(VALU_DEP_3)
	v_add_co_ci_u32_e64 v25, s1, 0, v22, s1
	v_sub_co_u32 v27, s1, v20, s20
	v_sub_co_ci_u32_e32 v21, vcc_lo, v29, v21, vcc_lo
	v_subrev_co_ci_u32_e64 v23, s1, 0, v23, s1
	v_cmp_le_u32_e32 vcc_lo, s20, v27
	s_delay_alu instid0(VALU_DEP_3) | instskip(SKIP_1) | instid1(VALU_DEP_4)
	v_cmp_eq_u32_e64 s1, s21, v21
	v_cndmask_b32_e64 v27, 0, -1, vcc_lo
	v_cmp_le_u32_e32 vcc_lo, s21, v23
	v_cndmask_b32_e64 v28, 0, -1, vcc_lo
	v_cmp_le_u32_e32 vcc_lo, s20, v20
	;; [unrolled: 2-line block ×3, first 2 shown]
	v_cndmask_b32_e64 v29, 0, -1, vcc_lo
	v_cmp_eq_u32_e32 vcc_lo, s21, v23
	s_delay_alu instid0(VALU_DEP_2) | instskip(SKIP_3) | instid1(VALU_DEP_3)
	v_cndmask_b32_e64 v20, v29, v20, s1
	v_cndmask_b32_e32 v23, v28, v27, vcc_lo
	v_add_co_u32 v27, vcc_lo, v13, 1
	v_add_co_ci_u32_e32 v28, vcc_lo, 0, v22, vcc_lo
	v_cmp_ne_u32_e32 vcc_lo, 0, v23
	s_delay_alu instid0(VALU_DEP_2) | instskip(NEXT) | instid1(VALU_DEP_4)
	v_cndmask_b32_e32 v21, v28, v25, vcc_lo
	v_cndmask_b32_e32 v23, v27, v24, vcc_lo
	v_cmp_ne_u32_e32 vcc_lo, 0, v20
	v_xor_b32_e32 v24, s18, v26
	s_delay_alu instid0(VALU_DEP_3) | instskip(NEXT) | instid1(VALU_DEP_1)
	v_dual_cndmask_b32 v13, v13, v23 :: v_dual_cndmask_b32 v20, v22, v21
	v_xor_b32_e32 v13, v13, v24
	s_delay_alu instid0(VALU_DEP_2) | instskip(NEXT) | instid1(VALU_DEP_2)
	v_xor_b32_e32 v21, v20, v24
	v_sub_co_u32 v20, vcc_lo, v13, v24
	s_delay_alu instid0(VALU_DEP_2)
	v_sub_co_ci_u32_e32 v21, vcc_lo, v21, v24, vcc_lo
	s_and_not1_saveexec_b32 s1, s23
	s_cbranch_execz .LBB143_26
.LBB143_51:                             ;   in Loop: Header=BB143_10 Depth=1
	v_cvt_f32_u32_e32 v13, s8
	s_sub_i32 s19, 0, s8
	s_delay_alu instid0(VALU_DEP_1) | instskip(SKIP_2) | instid1(VALU_DEP_1)
	v_rcp_iflag_f32_e32 v13, v13
	s_waitcnt_depctr 0xfff
	v_mul_f32_e32 v13, 0x4f7ffffe, v13
	v_cvt_u32_f32_e32 v13, v13
	s_delay_alu instid0(VALU_DEP_1) | instskip(NEXT) | instid1(VALU_DEP_1)
	v_mul_lo_u32 v20, s19, v13
	v_mul_hi_u32 v20, v13, v20
	s_delay_alu instid0(VALU_DEP_1) | instskip(NEXT) | instid1(VALU_DEP_1)
	v_add_nc_u32_e32 v13, v13, v20
	v_mul_hi_u32 v13, v18, v13
	s_delay_alu instid0(VALU_DEP_1) | instskip(SKIP_1) | instid1(VALU_DEP_2)
	v_mul_lo_u32 v20, v13, s8
	v_add_nc_u32_e32 v21, 1, v13
	v_sub_nc_u32_e32 v20, v18, v20
	s_delay_alu instid0(VALU_DEP_1) | instskip(SKIP_1) | instid1(VALU_DEP_2)
	v_subrev_nc_u32_e32 v22, s8, v20
	v_cmp_le_u32_e32 vcc_lo, s8, v20
	v_dual_cndmask_b32 v20, v20, v22 :: v_dual_cndmask_b32 v13, v13, v21
	s_delay_alu instid0(VALU_DEP_1) | instskip(NEXT) | instid1(VALU_DEP_2)
	v_cmp_le_u32_e32 vcc_lo, s8, v20
	v_add_nc_u32_e32 v21, 1, v13
	s_delay_alu instid0(VALU_DEP_1) | instskip(SKIP_1) | instid1(SALU_CYCLE_1)
	v_dual_cndmask_b32 v20, v13, v21 :: v_dual_mov_b32 v21, v12
	s_or_b32 exec_lo, exec_lo, s1
	s_mov_b32 s1, exec_lo
	s_delay_alu instid0(VALU_DEP_1)
	v_cmpx_ge_i64_e64 v[20:21], v[16:17]
	s_cbranch_execnz .LBB143_27
	s_branch .LBB143_28
.LBB143_52:
	s_nop 0
	s_sendmsg sendmsg(MSG_DEALLOC_VGPRS)
	s_endpgm
	.section	.rodata,"a",@progbits
	.p2align	6, 0x0
	.amdhsa_kernel _ZN9rocsparseL21csr2bsr_65_inf_kernelILj32EdllEEv20rocsparse_direction_T2_S2_S2_S2_S2_S2_21rocsparse_index_base_PKT0_PKT1_PKS2_S3_PS4_PS7_PS2_SD_SE_SC_
		.amdhsa_group_segment_fixed_size 0
		.amdhsa_private_segment_fixed_size 0
		.amdhsa_kernarg_size 144
		.amdhsa_user_sgpr_count 15
		.amdhsa_user_sgpr_dispatch_ptr 0
		.amdhsa_user_sgpr_queue_ptr 0
		.amdhsa_user_sgpr_kernarg_segment_ptr 1
		.amdhsa_user_sgpr_dispatch_id 0
		.amdhsa_user_sgpr_private_segment_size 0
		.amdhsa_wavefront_size32 1
		.amdhsa_uses_dynamic_stack 0
		.amdhsa_enable_private_segment 0
		.amdhsa_system_sgpr_workgroup_id_x 1
		.amdhsa_system_sgpr_workgroup_id_y 0
		.amdhsa_system_sgpr_workgroup_id_z 0
		.amdhsa_system_sgpr_workgroup_info 0
		.amdhsa_system_vgpr_workitem_id 0
		.amdhsa_next_free_vgpr 52
		.amdhsa_next_free_sgpr 37
		.amdhsa_reserve_vcc 1
		.amdhsa_float_round_mode_32 0
		.amdhsa_float_round_mode_16_64 0
		.amdhsa_float_denorm_mode_32 3
		.amdhsa_float_denorm_mode_16_64 3
		.amdhsa_dx10_clamp 1
		.amdhsa_ieee_mode 1
		.amdhsa_fp16_overflow 0
		.amdhsa_workgroup_processor_mode 1
		.amdhsa_memory_ordered 1
		.amdhsa_forward_progress 0
		.amdhsa_shared_vgpr_count 0
		.amdhsa_exception_fp_ieee_invalid_op 0
		.amdhsa_exception_fp_denorm_src 0
		.amdhsa_exception_fp_ieee_div_zero 0
		.amdhsa_exception_fp_ieee_overflow 0
		.amdhsa_exception_fp_ieee_underflow 0
		.amdhsa_exception_fp_ieee_inexact 0
		.amdhsa_exception_int_div_zero 0
	.end_amdhsa_kernel
	.section	.text._ZN9rocsparseL21csr2bsr_65_inf_kernelILj32EdllEEv20rocsparse_direction_T2_S2_S2_S2_S2_S2_21rocsparse_index_base_PKT0_PKT1_PKS2_S3_PS4_PS7_PS2_SD_SE_SC_,"axG",@progbits,_ZN9rocsparseL21csr2bsr_65_inf_kernelILj32EdllEEv20rocsparse_direction_T2_S2_S2_S2_S2_S2_21rocsparse_index_base_PKT0_PKT1_PKS2_S3_PS4_PS7_PS2_SD_SE_SC_,comdat
.Lfunc_end143:
	.size	_ZN9rocsparseL21csr2bsr_65_inf_kernelILj32EdllEEv20rocsparse_direction_T2_S2_S2_S2_S2_S2_21rocsparse_index_base_PKT0_PKT1_PKS2_S3_PS4_PS7_PS2_SD_SE_SC_, .Lfunc_end143-_ZN9rocsparseL21csr2bsr_65_inf_kernelILj32EdllEEv20rocsparse_direction_T2_S2_S2_S2_S2_S2_21rocsparse_index_base_PKT0_PKT1_PKS2_S3_PS4_PS7_PS2_SD_SE_SC_
                                        ; -- End function
	.section	.AMDGPU.csdata,"",@progbits
; Kernel info:
; codeLenInByte = 6368
; NumSgprs: 39
; NumVgprs: 52
; ScratchSize: 0
; MemoryBound: 0
; FloatMode: 240
; IeeeMode: 1
; LDSByteSize: 0 bytes/workgroup (compile time only)
; SGPRBlocks: 4
; VGPRBlocks: 6
; NumSGPRsForWavesPerEU: 39
; NumVGPRsForWavesPerEU: 52
; Occupancy: 16
; WaveLimiterHint : 1
; COMPUTE_PGM_RSRC2:SCRATCH_EN: 0
; COMPUTE_PGM_RSRC2:USER_SGPR: 15
; COMPUTE_PGM_RSRC2:TRAP_HANDLER: 0
; COMPUTE_PGM_RSRC2:TGID_X_EN: 1
; COMPUTE_PGM_RSRC2:TGID_Y_EN: 0
; COMPUTE_PGM_RSRC2:TGID_Z_EN: 0
; COMPUTE_PGM_RSRC2:TIDIG_COMP_CNT: 0
	.section	.text._ZN9rocsparseL35csr2bsr_block_dim_equals_one_kernelILj256E21rocsparse_complex_numIdEiiEEvT2_S3_S3_S3_21rocsparse_index_base_PKT0_PKT1_PKS3_S4_PS5_PS8_PS3_,"axG",@progbits,_ZN9rocsparseL35csr2bsr_block_dim_equals_one_kernelILj256E21rocsparse_complex_numIdEiiEEvT2_S3_S3_S3_21rocsparse_index_base_PKT0_PKT1_PKS3_S4_PS5_PS8_PS3_,comdat
	.globl	_ZN9rocsparseL35csr2bsr_block_dim_equals_one_kernelILj256E21rocsparse_complex_numIdEiiEEvT2_S3_S3_S3_21rocsparse_index_base_PKT0_PKT1_PKS3_S4_PS5_PS8_PS3_ ; -- Begin function _ZN9rocsparseL35csr2bsr_block_dim_equals_one_kernelILj256E21rocsparse_complex_numIdEiiEEvT2_S3_S3_S3_21rocsparse_index_base_PKT0_PKT1_PKS3_S4_PS5_PS8_PS3_
	.p2align	8
	.type	_ZN9rocsparseL35csr2bsr_block_dim_equals_one_kernelILj256E21rocsparse_complex_numIdEiiEEvT2_S3_S3_S3_21rocsparse_index_base_PKT0_PKT1_PKS3_S4_PS5_PS8_PS3_,@function
_ZN9rocsparseL35csr2bsr_block_dim_equals_one_kernelILj256E21rocsparse_complex_numIdEiiEEvT2_S3_S3_S3_21rocsparse_index_base_PKT0_PKT1_PKS3_S4_PS5_PS8_PS3_: ; @_ZN9rocsparseL35csr2bsr_block_dim_equals_one_kernelILj256E21rocsparse_complex_numIdEiiEEvT2_S3_S3_S3_21rocsparse_index_base_PKT0_PKT1_PKS3_S4_PS5_PS8_PS3_
; %bb.0:
	s_clause 0x1
	s_load_b32 s2, s[0:1], 0x0
	s_load_b128 s[4:7], s[0:1], 0x18
	v_lshl_or_b32 v0, s15, 8, v0
	s_waitcnt lgkmcnt(0)
	s_ashr_i32 s3, s2, 31
	s_delay_alu instid0(SALU_CYCLE_1) | instskip(NEXT) | instid1(SALU_CYCLE_1)
	s_lshl_b64 s[2:3], s[2:3], 2
	s_add_u32 s2, s6, s2
	s_addc_u32 s3, s7, s3
	s_clause 0x1
	s_load_b32 s2, s[2:3], 0x0
	s_load_b32 s3, s[6:7], 0x0
	s_waitcnt lgkmcnt(0)
	s_sub_i32 s10, s2, s3
	s_mov_b32 s2, exec_lo
	v_cmpx_gt_i32_e64 s10, v0
	s_cbranch_execz .LBB144_3
; %bb.1:
	s_clause 0x5
	s_load_b32 s11, s[0:1], 0x30
	s_load_b64 s[2:3], s[0:1], 0x38
	s_load_b32 s12, s[0:1], 0x10
	s_load_b32 s13, s[0:1], 0x50
	s_load_b64 s[6:7], s[0:1], 0x28
	s_load_b64 s[8:9], s[0:1], 0x48
	s_waitcnt lgkmcnt(0)
	s_sub_i32 s1, s11, s12
	s_lshl_b32 s11, s13, 8
	s_mov_b32 s12, 0
	.p2align	6
.LBB144_2:                              ; =>This Inner Loop Header: Depth=1
	v_ashrrev_i32_e32 v1, 31, v0
	s_delay_alu instid0(VALU_DEP_1) | instskip(NEXT) | instid1(VALU_DEP_1)
	v_lshlrev_b64 v[2:3], 2, v[0:1]
	v_add_co_u32 v4, vcc_lo, s6, v2
	s_delay_alu instid0(VALU_DEP_2)
	v_add_co_ci_u32_e32 v5, vcc_lo, s7, v3, vcc_lo
	global_load_b32 v4, v[4:5], off
	v_lshlrev_b64 v[5:6], 4, v[0:1]
	v_add_co_u32 v1, vcc_lo, s8, v2
	v_add_co_ci_u32_e32 v2, vcc_lo, s9, v3, vcc_lo
	v_add_nc_u32_e32 v0, s11, v0
	s_delay_alu instid0(VALU_DEP_4)
	v_add_co_u32 v3, vcc_lo, s4, v5
	v_add_co_u32 v5, s0, s2, v5
	s_waitcnt vmcnt(0)
	v_add_nc_u32_e32 v7, s1, v4
	v_add_co_ci_u32_e32 v4, vcc_lo, s5, v6, vcc_lo
	v_cmp_le_i32_e32 vcc_lo, s10, v0
	v_add_co_ci_u32_e64 v6, s0, s3, v6, s0
	global_store_b32 v[1:2], v7, off
	global_load_b128 v[1:4], v[3:4], off
	s_or_b32 s12, vcc_lo, s12
	s_waitcnt vmcnt(0)
	global_store_b128 v[5:6], v[1:4], off
	s_and_not1_b32 exec_lo, exec_lo, s12
	s_cbranch_execnz .LBB144_2
.LBB144_3:
	s_nop 0
	s_sendmsg sendmsg(MSG_DEALLOC_VGPRS)
	s_endpgm
	.section	.rodata,"a",@progbits
	.p2align	6, 0x0
	.amdhsa_kernel _ZN9rocsparseL35csr2bsr_block_dim_equals_one_kernelILj256E21rocsparse_complex_numIdEiiEEvT2_S3_S3_S3_21rocsparse_index_base_PKT0_PKT1_PKS3_S4_PS5_PS8_PS3_
		.amdhsa_group_segment_fixed_size 0
		.amdhsa_private_segment_fixed_size 0
		.amdhsa_kernarg_size 336
		.amdhsa_user_sgpr_count 15
		.amdhsa_user_sgpr_dispatch_ptr 0
		.amdhsa_user_sgpr_queue_ptr 0
		.amdhsa_user_sgpr_kernarg_segment_ptr 1
		.amdhsa_user_sgpr_dispatch_id 0
		.amdhsa_user_sgpr_private_segment_size 0
		.amdhsa_wavefront_size32 1
		.amdhsa_uses_dynamic_stack 0
		.amdhsa_enable_private_segment 0
		.amdhsa_system_sgpr_workgroup_id_x 1
		.amdhsa_system_sgpr_workgroup_id_y 0
		.amdhsa_system_sgpr_workgroup_id_z 0
		.amdhsa_system_sgpr_workgroup_info 0
		.amdhsa_system_vgpr_workitem_id 0
		.amdhsa_next_free_vgpr 8
		.amdhsa_next_free_sgpr 16
		.amdhsa_reserve_vcc 1
		.amdhsa_float_round_mode_32 0
		.amdhsa_float_round_mode_16_64 0
		.amdhsa_float_denorm_mode_32 3
		.amdhsa_float_denorm_mode_16_64 3
		.amdhsa_dx10_clamp 1
		.amdhsa_ieee_mode 1
		.amdhsa_fp16_overflow 0
		.amdhsa_workgroup_processor_mode 1
		.amdhsa_memory_ordered 1
		.amdhsa_forward_progress 0
		.amdhsa_shared_vgpr_count 0
		.amdhsa_exception_fp_ieee_invalid_op 0
		.amdhsa_exception_fp_denorm_src 0
		.amdhsa_exception_fp_ieee_div_zero 0
		.amdhsa_exception_fp_ieee_overflow 0
		.amdhsa_exception_fp_ieee_underflow 0
		.amdhsa_exception_fp_ieee_inexact 0
		.amdhsa_exception_int_div_zero 0
	.end_amdhsa_kernel
	.section	.text._ZN9rocsparseL35csr2bsr_block_dim_equals_one_kernelILj256E21rocsparse_complex_numIdEiiEEvT2_S3_S3_S3_21rocsparse_index_base_PKT0_PKT1_PKS3_S4_PS5_PS8_PS3_,"axG",@progbits,_ZN9rocsparseL35csr2bsr_block_dim_equals_one_kernelILj256E21rocsparse_complex_numIdEiiEEvT2_S3_S3_S3_21rocsparse_index_base_PKT0_PKT1_PKS3_S4_PS5_PS8_PS3_,comdat
.Lfunc_end144:
	.size	_ZN9rocsparseL35csr2bsr_block_dim_equals_one_kernelILj256E21rocsparse_complex_numIdEiiEEvT2_S3_S3_S3_21rocsparse_index_base_PKT0_PKT1_PKS3_S4_PS5_PS8_PS3_, .Lfunc_end144-_ZN9rocsparseL35csr2bsr_block_dim_equals_one_kernelILj256E21rocsparse_complex_numIdEiiEEvT2_S3_S3_S3_21rocsparse_index_base_PKT0_PKT1_PKS3_S4_PS5_PS8_PS3_
                                        ; -- End function
	.section	.AMDGPU.csdata,"",@progbits
; Kernel info:
; codeLenInByte = 324
; NumSgprs: 18
; NumVgprs: 8
; ScratchSize: 0
; MemoryBound: 0
; FloatMode: 240
; IeeeMode: 1
; LDSByteSize: 0 bytes/workgroup (compile time only)
; SGPRBlocks: 2
; VGPRBlocks: 0
; NumSGPRsForWavesPerEU: 18
; NumVGPRsForWavesPerEU: 8
; Occupancy: 16
; WaveLimiterHint : 0
; COMPUTE_PGM_RSRC2:SCRATCH_EN: 0
; COMPUTE_PGM_RSRC2:USER_SGPR: 15
; COMPUTE_PGM_RSRC2:TRAP_HANDLER: 0
; COMPUTE_PGM_RSRC2:TGID_X_EN: 1
; COMPUTE_PGM_RSRC2:TGID_Y_EN: 0
; COMPUTE_PGM_RSRC2:TGID_Z_EN: 0
; COMPUTE_PGM_RSRC2:TIDIG_COMP_CNT: 0
	.section	.text._ZN9rocsparseL42csr2bsr_wavefront_per_row_multipass_kernelILj256ELj16ELj4E21rocsparse_complex_numIdEiiEEv20rocsparse_direction_T4_S4_S4_S4_S4_21rocsparse_index_base_PKT2_PKT3_PKS4_S5_PS6_PS9_PS4_,"axG",@progbits,_ZN9rocsparseL42csr2bsr_wavefront_per_row_multipass_kernelILj256ELj16ELj4E21rocsparse_complex_numIdEiiEEv20rocsparse_direction_T4_S4_S4_S4_S4_21rocsparse_index_base_PKT2_PKT3_PKS4_S5_PS6_PS9_PS4_,comdat
	.globl	_ZN9rocsparseL42csr2bsr_wavefront_per_row_multipass_kernelILj256ELj16ELj4E21rocsparse_complex_numIdEiiEEv20rocsparse_direction_T4_S4_S4_S4_S4_21rocsparse_index_base_PKT2_PKT3_PKS4_S5_PS6_PS9_PS4_ ; -- Begin function _ZN9rocsparseL42csr2bsr_wavefront_per_row_multipass_kernelILj256ELj16ELj4E21rocsparse_complex_numIdEiiEEv20rocsparse_direction_T4_S4_S4_S4_S4_21rocsparse_index_base_PKT2_PKT3_PKS4_S5_PS6_PS9_PS4_
	.p2align	8
	.type	_ZN9rocsparseL42csr2bsr_wavefront_per_row_multipass_kernelILj256ELj16ELj4E21rocsparse_complex_numIdEiiEEv20rocsparse_direction_T4_S4_S4_S4_S4_21rocsparse_index_base_PKT2_PKT3_PKS4_S5_PS6_PS9_PS4_,@function
_ZN9rocsparseL42csr2bsr_wavefront_per_row_multipass_kernelILj256ELj16ELj4E21rocsparse_complex_numIdEiiEEv20rocsparse_direction_T4_S4_S4_S4_S4_21rocsparse_index_base_PKT2_PKT3_PKS4_S5_PS6_PS9_PS4_: ; @_ZN9rocsparseL42csr2bsr_wavefront_per_row_multipass_kernelILj256ELj16ELj4E21rocsparse_complex_numIdEiiEEv20rocsparse_direction_T4_S4_S4_S4_S4_21rocsparse_index_base_PKT2_PKT3_PKS4_S5_PS6_PS9_PS4_
; %bb.0:
	s_clause 0x1
	s_load_b128 s[4:7], s[0:1], 0xc
	s_load_b64 s[10:11], s[0:1], 0x0
	v_lshrrev_b32_e32 v8, 4, v0
	v_bfe_u32 v2, v0, 2, 2
	s_load_b64 s[8:9], s[0:1], 0x28
	v_mov_b32_e32 v9, 0
	v_mov_b32_e32 v7, 0
	v_lshl_or_b32 v3, s15, 4, v8
	s_waitcnt lgkmcnt(0)
	s_delay_alu instid0(VALU_DEP_1) | instskip(SKIP_1) | instid1(VALU_DEP_2)
	v_mad_u64_u32 v[4:5], null, v3, s6, v[2:3]
	v_cmp_gt_i32_e32 vcc_lo, s6, v2
	v_cmp_gt_i32_e64 s2, s11, v4
	s_delay_alu instid0(VALU_DEP_1) | instskip(NEXT) | instid1(SALU_CYCLE_1)
	s_and_b32 s3, vcc_lo, s2
	s_and_saveexec_b32 s11, s3
	s_cbranch_execz .LBB145_2
; %bb.1:
	v_ashrrev_i32_e32 v5, 31, v4
	s_delay_alu instid0(VALU_DEP_1) | instskip(NEXT) | instid1(VALU_DEP_1)
	v_lshlrev_b64 v[5:6], 2, v[4:5]
	v_add_co_u32 v5, s2, s8, v5
	s_delay_alu instid0(VALU_DEP_1)
	v_add_co_ci_u32_e64 v6, s2, s9, v6, s2
	global_load_b32 v1, v[5:6], off
	s_waitcnt vmcnt(0)
	v_subrev_nc_u32_e32 v7, s7, v1
.LBB145_2:
	s_or_b32 exec_lo, exec_lo, s11
	s_and_saveexec_b32 s11, s3
	s_cbranch_execz .LBB145_4
; %bb.3:
	v_ashrrev_i32_e32 v5, 31, v4
	s_delay_alu instid0(VALU_DEP_1) | instskip(NEXT) | instid1(VALU_DEP_1)
	v_lshlrev_b64 v[4:5], 2, v[4:5]
	v_add_co_u32 v4, s2, s8, v4
	s_delay_alu instid0(VALU_DEP_1)
	v_add_co_ci_u32_e64 v5, s2, s9, v5, s2
	global_load_b32 v1, v[4:5], off offset:4
	s_waitcnt vmcnt(0)
	v_subrev_nc_u32_e32 v9, s7, v1
.LBB145_4:
	s_or_b32 exec_lo, exec_lo, s11
	s_load_b32 s12, s[0:1], 0x38
	v_mov_b32_e32 v5, 0
	s_mov_b32 s3, exec_lo
	v_cmpx_gt_i32_e64 s4, v3
	s_cbranch_execz .LBB145_6
; %bb.5:
	s_load_b64 s[8:9], s[0:1], 0x48
	v_ashrrev_i32_e32 v4, 31, v3
	s_delay_alu instid0(VALU_DEP_1) | instskip(SKIP_1) | instid1(VALU_DEP_1)
	v_lshlrev_b64 v[3:4], 2, v[3:4]
	s_waitcnt lgkmcnt(0)
	v_add_co_u32 v3, s2, s8, v3
	s_delay_alu instid0(VALU_DEP_1)
	v_add_co_ci_u32_e64 v4, s2, s9, v4, s2
	global_load_b32 v1, v[3:4], off
	s_waitcnt vmcnt(0)
	v_subrev_nc_u32_e32 v5, s12, v1
.LBB145_6:
	s_or_b32 exec_lo, exec_lo, s3
	s_cmp_lt_i32 s5, 1
	s_cbranch_scc1 .LBB145_21
; %bb.7:
	s_load_b64 s[14:15], s[0:1], 0x40
	v_dual_mov_b32 v1, 0 :: v_dual_and_b32 v10, 3, v0
	v_mul_lo_u32 v11, v2, s6
	v_dual_mov_b32 v21, 1 :: v_dual_lshlrev_b32 v6, 4, v2
	s_delay_alu instid0(VALU_DEP_3) | instskip(NEXT) | instid1(VALU_DEP_4)
	v_mul_lo_u32 v3, v10, s6
	v_dual_mov_b32 v4, v1 :: v_dual_lshlrev_b32 v13, 4, v10
	v_mov_b32_e32 v12, v1
	v_cmp_gt_u32_e64 s2, s6, v10
	v_mov_b32_e32 v23, v1
	s_delay_alu instid0(VALU_DEP_4) | instskip(NEXT) | instid1(VALU_DEP_4)
	v_lshlrev_b64 v[3:4], 4, v[3:4]
	v_lshlrev_b64 v[11:12], 4, v[11:12]
	s_delay_alu instid0(VALU_DEP_4)
	s_and_b32 s4, vcc_lo, s2
	s_cmp_eq_u32 s10, 0
	s_clause 0x1
	s_load_b64 s[10:11], s[0:1], 0x50
	s_load_b64 s[8:9], s[0:1], 0x30
	s_waitcnt lgkmcnt(0)
	v_add_co_u32 v3, vcc_lo, s14, v3
	v_add_co_ci_u32_e32 v4, vcc_lo, s15, v4, vcc_lo
	v_add_co_u32 v11, vcc_lo, s14, v11
	v_add_co_ci_u32_e32 v12, vcc_lo, s15, v12, vcc_lo
	s_delay_alu instid0(VALU_DEP_4) | instskip(NEXT) | instid1(VALU_DEP_4)
	v_add_co_u32 v3, vcc_lo, v3, v6
	v_add_co_ci_u32_e32 v4, vcc_lo, 0, v4, vcc_lo
	s_delay_alu instid0(VALU_DEP_4) | instskip(NEXT) | instid1(VALU_DEP_4)
	v_add_co_u32 v6, vcc_lo, v11, v13
	v_add_co_ci_u32_e32 v18, vcc_lo, 0, v12, vcc_lo
	s_cselect_b32 vcc_lo, -1, 0
	s_abs_i32 s13, s6
	v_and_b32_e32 v0, 0xf0, v0
	v_cvt_f32_u32_e32 v11, s13
	v_mbcnt_lo_u32_b32 v13, -1, 0
	v_cndmask_b32_e32 v18, v4, v18, vcc_lo
	v_mov_b32_e32 v4, v1
	v_lshl_or_b32 v0, v2, 2, v0
	v_rcp_iflag_f32_e32 v11, v11
	v_xor_b32_e32 v2, 2, v13
	v_xor_b32_e32 v15, 8, v13
	;; [unrolled: 1-line block ×3, first 2 shown]
	v_or_b32_e32 v12, v0, v10
	v_lshlrev_b32_e32 v19, 2, v13
	v_cmp_gt_i32_e64 s2, 32, v2
	s_mul_hi_u32 s14, s6, s6
	s_mul_i32 s15, s6, s6
	s_ashr_i32 s16, s6, 31
	v_dual_mul_f32 v14, 0x4f7ffffe, v11 :: v_dual_lshlrev_b32 v11, 4, v12
	v_cndmask_b32_e64 v2, v13, v2, s2
	s_load_b64 s[2:3], s[0:1], 0x20
	s_sub_i32 s0, 0, s13
	s_mov_b32 s1, 0
	s_delay_alu instid0(VALU_DEP_1) | instskip(SKIP_2) | instid1(VALU_DEP_2)
	v_lshlrev_b32_e32 v12, 2, v2
	v_cvt_u32_f32_e32 v2, v14
	v_xor_b32_e32 v14, 1, v13
	v_mul_lo_u32 v17, s0, v2
	s_delay_alu instid0(VALU_DEP_2) | instskip(NEXT) | instid1(VALU_DEP_1)
	v_cmp_gt_i32_e64 s0, 32, v14
	v_cndmask_b32_e64 v14, v13, v14, s0
	v_cmp_gt_i32_e64 s0, 32, v15
	s_delay_alu instid0(VALU_DEP_4) | instskip(SKIP_1) | instid1(VALU_DEP_3)
	v_mul_hi_u32 v20, v2, v17
	v_or_b32_e32 v17, 60, v19
	v_cndmask_b32_e64 v15, v13, v15, s0
	v_cmp_gt_i32_e64 s0, 32, v16
	s_delay_alu instid0(VALU_DEP_4) | instskip(NEXT) | instid1(VALU_DEP_3)
	v_add_nc_u32_e32 v20, v2, v20
	v_lshlrev_b32_e32 v15, 2, v15
	s_delay_alu instid0(VALU_DEP_3) | instskip(SKIP_2) | instid1(VALU_DEP_3)
	v_cndmask_b32_e64 v16, v13, v16, s0
	v_dual_mov_b32 v2, v1 :: v_dual_lshlrev_b32 v13, 2, v14
	v_or_b32_e32 v14, 12, v19
	v_dual_cndmask_b32 v19, v3, v6 :: v_dual_lshlrev_b32 v16, 2, v16
	v_mov_b32_e32 v3, v1
	s_branch .LBB145_10
.LBB145_8:                              ;   in Loop: Header=BB145_10 Depth=1
	s_or_b32 exec_lo, exec_lo, s17
	v_mov_b32_e32 v6, 1
.LBB145_9:                              ;   in Loop: Header=BB145_10 Depth=1
	s_or_b32 exec_lo, exec_lo, s0
	ds_bpermute_b32 v23, v15, v22
	v_add_nc_u32_e32 v5, v6, v5
	s_waitcnt lgkmcnt(0)
	s_waitcnt_vscnt null, 0x0
	buffer_gl0_inv
	buffer_gl0_inv
	v_min_i32_e32 v22, v23, v22
	ds_bpermute_b32 v23, v16, v22
	s_waitcnt lgkmcnt(0)
	v_min_i32_e32 v22, v23, v22
	ds_bpermute_b32 v23, v12, v22
	s_waitcnt lgkmcnt(0)
	;; [unrolled: 3-line block ×4, first 2 shown]
	v_cmp_le_i32_e32 vcc_lo, s5, v23
	s_or_b32 s1, vcc_lo, s1
	s_delay_alu instid0(SALU_CYCLE_1)
	s_and_not1_b32 exec_lo, exec_lo, s1
	s_cbranch_execz .LBB145_21
.LBB145_10:                             ; =>This Loop Header: Depth=1
                                        ;     Child Loop BB145_13 Depth 2
	v_dual_mov_b32 v25, v9 :: v_dual_add_nc_u32 v6, v7, v10
	v_mov_b32_e32 v22, s5
	s_mov_b32 s17, exec_lo
	ds_store_b8 v8, v1 offset:4096
	ds_store_b128 v11, v[1:4]
	s_waitcnt lgkmcnt(0)
	buffer_gl0_inv
	v_cmpx_lt_i32_e64 v6, v9
	s_cbranch_execz .LBB145_18
; %bb.11:                               ;   in Loop: Header=BB145_10 Depth=1
	v_mul_lo_u32 v24, v23, s6
	v_dual_mov_b32 v22, s5 :: v_dual_mov_b32 v25, v9
	s_mov_b32 s18, 0
	s_branch .LBB145_13
.LBB145_12:                             ;   in Loop: Header=BB145_13 Depth=2
	s_or_b32 exec_lo, exec_lo, s19
	v_add_nc_u32_e32 v6, 4, v6
	s_xor_b32 s19, vcc_lo, -1
	s_delay_alu instid0(VALU_DEP_1) | instskip(NEXT) | instid1(VALU_DEP_1)
	v_cmp_ge_i32_e64 s0, v6, v9
	s_or_b32 s0, s19, s0
	s_delay_alu instid0(SALU_CYCLE_1) | instskip(NEXT) | instid1(SALU_CYCLE_1)
	s_and_b32 s0, exec_lo, s0
	s_or_b32 s18, s0, s18
	s_delay_alu instid0(SALU_CYCLE_1)
	s_and_not1_b32 exec_lo, exec_lo, s18
	s_cbranch_execz .LBB145_17
.LBB145_13:                             ;   Parent Loop BB145_10 Depth=1
                                        ; =>  This Inner Loop Header: Depth=2
	v_ashrrev_i32_e32 v7, 31, v6
	s_delay_alu instid0(VALU_DEP_1) | instskip(NEXT) | instid1(VALU_DEP_1)
	v_lshlrev_b64 v[26:27], 2, v[6:7]
	v_add_co_u32 v26, vcc_lo, s8, v26
	s_delay_alu instid0(VALU_DEP_2) | instskip(SKIP_3) | instid1(VALU_DEP_1)
	v_add_co_ci_u32_e32 v27, vcc_lo, s9, v27, vcc_lo
	global_load_b32 v26, v[26:27], off
	s_waitcnt vmcnt(0)
	v_subrev_nc_u32_e32 v26, s7, v26
	v_sub_nc_u32_e32 v27, 0, v26
	s_delay_alu instid0(VALU_DEP_1) | instskip(NEXT) | instid1(VALU_DEP_1)
	v_max_i32_e32 v27, v26, v27
	v_mul_hi_u32 v28, v27, v20
	s_delay_alu instid0(VALU_DEP_1) | instskip(NEXT) | instid1(VALU_DEP_1)
	v_mul_lo_u32 v29, v28, s13
	v_sub_nc_u32_e32 v27, v27, v29
	v_add_nc_u32_e32 v29, 1, v28
	s_delay_alu instid0(VALU_DEP_2) | instskip(SKIP_1) | instid1(VALU_DEP_2)
	v_subrev_nc_u32_e32 v30, s13, v27
	v_cmp_le_u32_e32 vcc_lo, s13, v27
	v_dual_cndmask_b32 v28, v28, v29 :: v_dual_cndmask_b32 v27, v27, v30
	v_ashrrev_i32_e32 v29, 31, v26
	s_delay_alu instid0(VALU_DEP_2) | instskip(NEXT) | instid1(VALU_DEP_3)
	v_add_nc_u32_e32 v30, 1, v28
	v_cmp_le_u32_e32 vcc_lo, s13, v27
	s_delay_alu instid0(VALU_DEP_3) | instskip(NEXT) | instid1(VALU_DEP_3)
	v_xor_b32_e32 v29, s16, v29
	v_cndmask_b32_e32 v27, v28, v30, vcc_lo
	s_delay_alu instid0(VALU_DEP_1) | instskip(NEXT) | instid1(VALU_DEP_1)
	v_xor_b32_e32 v27, v27, v29
	v_sub_nc_u32_e32 v28, v27, v29
	v_mov_b32_e32 v27, v25
	s_delay_alu instid0(VALU_DEP_2) | instskip(SKIP_1) | instid1(VALU_DEP_1)
	v_cmp_eq_u32_e32 vcc_lo, v28, v23
	v_cmp_ne_u32_e64 s0, v28, v23
	s_and_saveexec_b32 s19, s0
	s_delay_alu instid0(SALU_CYCLE_1)
	s_xor_b32 s0, exec_lo, s19
; %bb.14:                               ;   in Loop: Header=BB145_13 Depth=2
	v_min_i32_e32 v22, v28, v22
                                        ; implicit-def: $vgpr26
                                        ; implicit-def: $vgpr27
; %bb.15:                               ;   in Loop: Header=BB145_13 Depth=2
	s_or_saveexec_b32 s19, s0
	v_mov_b32_e32 v25, v6
	s_xor_b32 exec_lo, exec_lo, s19
	s_cbranch_execz .LBB145_12
; %bb.16:                               ;   in Loop: Header=BB145_13 Depth=2
	v_lshlrev_b64 v[28:29], 4, v[6:7]
	v_sub_nc_u32_e32 v7, v26, v24
	v_mov_b32_e32 v25, v27
	s_delay_alu instid0(VALU_DEP_2) | instskip(NEXT) | instid1(VALU_DEP_4)
	v_add_lshl_u32 v7, v7, v0, 4
	v_add_co_u32 v28, s0, s2, v28
	s_delay_alu instid0(VALU_DEP_1)
	v_add_co_ci_u32_e64 v29, s0, s3, v29, s0
	global_load_b128 v[28:31], v[28:29], off
	ds_store_b8 v8, v21 offset:4096
	s_waitcnt vmcnt(0)
	ds_store_2addr_b64 v7, v[28:29], v[30:31] offset1:1
	s_branch .LBB145_12
.LBB145_17:                             ;   in Loop: Header=BB145_10 Depth=1
	s_or_b32 exec_lo, exec_lo, s18
.LBB145_18:                             ;   in Loop: Header=BB145_10 Depth=1
	s_delay_alu instid0(SALU_CYCLE_1)
	s_or_b32 exec_lo, exec_lo, s17
	ds_bpermute_b32 v6, v12, v25
	s_waitcnt lgkmcnt(0)
	buffer_gl0_inv
	ds_load_u8 v24, v8 offset:4096
	v_min_i32_e32 v6, v6, v25
	ds_bpermute_b32 v7, v13, v6
	s_waitcnt lgkmcnt(0)
	v_min_i32_e32 v6, v7, v6
	ds_bpermute_b32 v7, v14, v6
	v_and_b32_e32 v6, 1, v24
	s_delay_alu instid0(VALU_DEP_1)
	v_cmp_eq_u32_e32 vcc_lo, 1, v6
	v_mov_b32_e32 v6, 0
	s_and_saveexec_b32 s0, vcc_lo
	s_cbranch_execz .LBB145_9
; %bb.19:                               ;   in Loop: Header=BB145_10 Depth=1
	v_ashrrev_i32_e32 v6, 31, v5
	v_add_nc_u32_e32 v26, s12, v23
	s_delay_alu instid0(VALU_DEP_2) | instskip(NEXT) | instid1(VALU_DEP_1)
	v_lshlrev_b64 v[24:25], 2, v[5:6]
	v_add_co_u32 v23, vcc_lo, s10, v24
	s_delay_alu instid0(VALU_DEP_2)
	v_add_co_ci_u32_e32 v24, vcc_lo, s11, v25, vcc_lo
	global_store_b32 v[23:24], v26, off
	s_and_saveexec_b32 s17, s4
	s_cbranch_execz .LBB145_8
; %bb.20:                               ;   in Loop: Header=BB145_10 Depth=1
	v_mul_lo_u32 v29, s14, v5
	v_mul_lo_u32 v6, s15, v6
	v_mad_u64_u32 v[27:28], null, s15, v5, 0
	ds_load_2addr_b64 v[23:26], v11 offset1:1
	v_add3_u32 v28, v28, v6, v29
	s_delay_alu instid0(VALU_DEP_1) | instskip(NEXT) | instid1(VALU_DEP_1)
	v_lshlrev_b64 v[27:28], 4, v[27:28]
	v_add_co_u32 v27, vcc_lo, v19, v27
	s_delay_alu instid0(VALU_DEP_2)
	v_add_co_ci_u32_e32 v28, vcc_lo, v18, v28, vcc_lo
	s_waitcnt lgkmcnt(0)
	global_store_b128 v[27:28], v[23:26], off
	s_branch .LBB145_8
.LBB145_21:
	s_endpgm
	.section	.rodata,"a",@progbits
	.p2align	6, 0x0
	.amdhsa_kernel _ZN9rocsparseL42csr2bsr_wavefront_per_row_multipass_kernelILj256ELj16ELj4E21rocsparse_complex_numIdEiiEEv20rocsparse_direction_T4_S4_S4_S4_S4_21rocsparse_index_base_PKT2_PKT3_PKS4_S5_PS6_PS9_PS4_
		.amdhsa_group_segment_fixed_size 4112
		.amdhsa_private_segment_fixed_size 0
		.amdhsa_kernarg_size 88
		.amdhsa_user_sgpr_count 15
		.amdhsa_user_sgpr_dispatch_ptr 0
		.amdhsa_user_sgpr_queue_ptr 0
		.amdhsa_user_sgpr_kernarg_segment_ptr 1
		.amdhsa_user_sgpr_dispatch_id 0
		.amdhsa_user_sgpr_private_segment_size 0
		.amdhsa_wavefront_size32 1
		.amdhsa_uses_dynamic_stack 0
		.amdhsa_enable_private_segment 0
		.amdhsa_system_sgpr_workgroup_id_x 1
		.amdhsa_system_sgpr_workgroup_id_y 0
		.amdhsa_system_sgpr_workgroup_id_z 0
		.amdhsa_system_sgpr_workgroup_info 0
		.amdhsa_system_vgpr_workitem_id 0
		.amdhsa_next_free_vgpr 32
		.amdhsa_next_free_sgpr 20
		.amdhsa_reserve_vcc 1
		.amdhsa_float_round_mode_32 0
		.amdhsa_float_round_mode_16_64 0
		.amdhsa_float_denorm_mode_32 3
		.amdhsa_float_denorm_mode_16_64 3
		.amdhsa_dx10_clamp 1
		.amdhsa_ieee_mode 1
		.amdhsa_fp16_overflow 0
		.amdhsa_workgroup_processor_mode 1
		.amdhsa_memory_ordered 1
		.amdhsa_forward_progress 0
		.amdhsa_shared_vgpr_count 0
		.amdhsa_exception_fp_ieee_invalid_op 0
		.amdhsa_exception_fp_denorm_src 0
		.amdhsa_exception_fp_ieee_div_zero 0
		.amdhsa_exception_fp_ieee_overflow 0
		.amdhsa_exception_fp_ieee_underflow 0
		.amdhsa_exception_fp_ieee_inexact 0
		.amdhsa_exception_int_div_zero 0
	.end_amdhsa_kernel
	.section	.text._ZN9rocsparseL42csr2bsr_wavefront_per_row_multipass_kernelILj256ELj16ELj4E21rocsparse_complex_numIdEiiEEv20rocsparse_direction_T4_S4_S4_S4_S4_21rocsparse_index_base_PKT2_PKT3_PKS4_S5_PS6_PS9_PS4_,"axG",@progbits,_ZN9rocsparseL42csr2bsr_wavefront_per_row_multipass_kernelILj256ELj16ELj4E21rocsparse_complex_numIdEiiEEv20rocsparse_direction_T4_S4_S4_S4_S4_21rocsparse_index_base_PKT2_PKT3_PKS4_S5_PS6_PS9_PS4_,comdat
.Lfunc_end145:
	.size	_ZN9rocsparseL42csr2bsr_wavefront_per_row_multipass_kernelILj256ELj16ELj4E21rocsparse_complex_numIdEiiEEv20rocsparse_direction_T4_S4_S4_S4_S4_21rocsparse_index_base_PKT2_PKT3_PKS4_S5_PS6_PS9_PS4_, .Lfunc_end145-_ZN9rocsparseL42csr2bsr_wavefront_per_row_multipass_kernelILj256ELj16ELj4E21rocsparse_complex_numIdEiiEEv20rocsparse_direction_T4_S4_S4_S4_S4_21rocsparse_index_base_PKT2_PKT3_PKS4_S5_PS6_PS9_PS4_
                                        ; -- End function
	.section	.AMDGPU.csdata,"",@progbits
; Kernel info:
; codeLenInByte = 1540
; NumSgprs: 22
; NumVgprs: 32
; ScratchSize: 0
; MemoryBound: 0
; FloatMode: 240
; IeeeMode: 1
; LDSByteSize: 4112 bytes/workgroup (compile time only)
; SGPRBlocks: 2
; VGPRBlocks: 3
; NumSGPRsForWavesPerEU: 22
; NumVGPRsForWavesPerEU: 32
; Occupancy: 16
; WaveLimiterHint : 0
; COMPUTE_PGM_RSRC2:SCRATCH_EN: 0
; COMPUTE_PGM_RSRC2:USER_SGPR: 15
; COMPUTE_PGM_RSRC2:TRAP_HANDLER: 0
; COMPUTE_PGM_RSRC2:TGID_X_EN: 1
; COMPUTE_PGM_RSRC2:TGID_Y_EN: 0
; COMPUTE_PGM_RSRC2:TGID_Z_EN: 0
; COMPUTE_PGM_RSRC2:TIDIG_COMP_CNT: 0
	.section	.text._ZN9rocsparseL42csr2bsr_wavefront_per_row_multipass_kernelILj256ELj64ELj8E21rocsparse_complex_numIdEiiEEv20rocsparse_direction_T4_S4_S4_S4_S4_21rocsparse_index_base_PKT2_PKT3_PKS4_S5_PS6_PS9_PS4_,"axG",@progbits,_ZN9rocsparseL42csr2bsr_wavefront_per_row_multipass_kernelILj256ELj64ELj8E21rocsparse_complex_numIdEiiEEv20rocsparse_direction_T4_S4_S4_S4_S4_21rocsparse_index_base_PKT2_PKT3_PKS4_S5_PS6_PS9_PS4_,comdat
	.globl	_ZN9rocsparseL42csr2bsr_wavefront_per_row_multipass_kernelILj256ELj64ELj8E21rocsparse_complex_numIdEiiEEv20rocsparse_direction_T4_S4_S4_S4_S4_21rocsparse_index_base_PKT2_PKT3_PKS4_S5_PS6_PS9_PS4_ ; -- Begin function _ZN9rocsparseL42csr2bsr_wavefront_per_row_multipass_kernelILj256ELj64ELj8E21rocsparse_complex_numIdEiiEEv20rocsparse_direction_T4_S4_S4_S4_S4_21rocsparse_index_base_PKT2_PKT3_PKS4_S5_PS6_PS9_PS4_
	.p2align	8
	.type	_ZN9rocsparseL42csr2bsr_wavefront_per_row_multipass_kernelILj256ELj64ELj8E21rocsparse_complex_numIdEiiEEv20rocsparse_direction_T4_S4_S4_S4_S4_21rocsparse_index_base_PKT2_PKT3_PKS4_S5_PS6_PS9_PS4_,@function
_ZN9rocsparseL42csr2bsr_wavefront_per_row_multipass_kernelILj256ELj64ELj8E21rocsparse_complex_numIdEiiEEv20rocsparse_direction_T4_S4_S4_S4_S4_21rocsparse_index_base_PKT2_PKT3_PKS4_S5_PS6_PS9_PS4_: ; @_ZN9rocsparseL42csr2bsr_wavefront_per_row_multipass_kernelILj256ELj64ELj8E21rocsparse_complex_numIdEiiEEv20rocsparse_direction_T4_S4_S4_S4_S4_21rocsparse_index_base_PKT2_PKT3_PKS4_S5_PS6_PS9_PS4_
; %bb.0:
	s_clause 0x1
	s_load_b128 s[4:7], s[0:1], 0xc
	s_load_b64 s[10:11], s[0:1], 0x0
	v_lshrrev_b32_e32 v8, 6, v0
	v_bfe_u32 v2, v0, 3, 3
	s_load_b64 s[8:9], s[0:1], 0x28
	v_mov_b32_e32 v9, 0
	v_mov_b32_e32 v7, 0
	v_lshl_or_b32 v3, s15, 2, v8
	s_waitcnt lgkmcnt(0)
	s_delay_alu instid0(VALU_DEP_1) | instskip(SKIP_1) | instid1(VALU_DEP_2)
	v_mad_u64_u32 v[4:5], null, v3, s6, v[2:3]
	v_cmp_gt_i32_e32 vcc_lo, s6, v2
	v_cmp_gt_i32_e64 s2, s11, v4
	s_delay_alu instid0(VALU_DEP_1) | instskip(NEXT) | instid1(SALU_CYCLE_1)
	s_and_b32 s3, vcc_lo, s2
	s_and_saveexec_b32 s11, s3
	s_cbranch_execz .LBB146_2
; %bb.1:
	v_ashrrev_i32_e32 v5, 31, v4
	s_delay_alu instid0(VALU_DEP_1) | instskip(NEXT) | instid1(VALU_DEP_1)
	v_lshlrev_b64 v[5:6], 2, v[4:5]
	v_add_co_u32 v5, s2, s8, v5
	s_delay_alu instid0(VALU_DEP_1)
	v_add_co_ci_u32_e64 v6, s2, s9, v6, s2
	global_load_b32 v1, v[5:6], off
	s_waitcnt vmcnt(0)
	v_subrev_nc_u32_e32 v7, s7, v1
.LBB146_2:
	s_or_b32 exec_lo, exec_lo, s11
	s_and_saveexec_b32 s11, s3
	s_cbranch_execz .LBB146_4
; %bb.3:
	v_ashrrev_i32_e32 v5, 31, v4
	s_delay_alu instid0(VALU_DEP_1) | instskip(NEXT) | instid1(VALU_DEP_1)
	v_lshlrev_b64 v[4:5], 2, v[4:5]
	v_add_co_u32 v4, s2, s8, v4
	s_delay_alu instid0(VALU_DEP_1)
	v_add_co_ci_u32_e64 v5, s2, s9, v5, s2
	global_load_b32 v1, v[4:5], off offset:4
	s_waitcnt vmcnt(0)
	v_subrev_nc_u32_e32 v9, s7, v1
.LBB146_4:
	s_or_b32 exec_lo, exec_lo, s11
	s_load_b32 s12, s[0:1], 0x38
	v_mov_b32_e32 v5, 0
	s_mov_b32 s3, exec_lo
	v_cmpx_gt_i32_e64 s4, v3
	s_cbranch_execz .LBB146_6
; %bb.5:
	s_load_b64 s[8:9], s[0:1], 0x48
	v_ashrrev_i32_e32 v4, 31, v3
	s_delay_alu instid0(VALU_DEP_1) | instskip(SKIP_1) | instid1(VALU_DEP_1)
	v_lshlrev_b64 v[3:4], 2, v[3:4]
	s_waitcnt lgkmcnt(0)
	v_add_co_u32 v3, s2, s8, v3
	s_delay_alu instid0(VALU_DEP_1)
	v_add_co_ci_u32_e64 v4, s2, s9, v4, s2
	global_load_b32 v1, v[3:4], off
	s_waitcnt vmcnt(0)
	v_subrev_nc_u32_e32 v5, s12, v1
.LBB146_6:
	s_or_b32 exec_lo, exec_lo, s3
	s_cmp_lt_i32 s5, 1
	s_cbranch_scc1 .LBB146_21
; %bb.7:
	s_load_b64 s[14:15], s[0:1], 0x40
	v_dual_mov_b32 v1, 0 :: v_dual_and_b32 v10, 7, v0
	v_mul_lo_u32 v11, v2, s6
	v_lshlrev_b32_e32 v6, 4, v2
	v_mbcnt_lo_u32_b32 v15, -1, 0
	s_delay_alu instid0(VALU_DEP_4)
	v_mul_lo_u32 v3, v10, s6
	v_dual_mov_b32 v4, v1 :: v_dual_lshlrev_b32 v13, 4, v10
	v_mov_b32_e32 v12, v1
	v_cmp_gt_u32_e64 s2, s6, v10
	v_xor_b32_e32 v14, 1, v15
	v_or_b32_e32 v16, 32, v15
	v_xor_b32_e32 v17, 16, v15
	v_lshlrev_b64 v[3:4], 4, v[3:4]
	v_lshlrev_b64 v[11:12], 4, v[11:12]
	s_and_b32 s4, vcc_lo, s2
	s_clause 0x1
	s_load_b64 s[2:3], s[0:1], 0x50
	s_load_b64 s[8:9], s[0:1], 0x30
	s_cmp_eq_u32 s10, 0
	s_load_b64 s[10:11], s[0:1], 0x20
	s_waitcnt lgkmcnt(0)
	v_add_co_u32 v3, vcc_lo, s14, v3
	v_add_co_ci_u32_e32 v4, vcc_lo, s15, v4, vcc_lo
	v_add_co_u32 v11, vcc_lo, s14, v11
	v_add_co_ci_u32_e32 v12, vcc_lo, s15, v12, vcc_lo
	s_delay_alu instid0(VALU_DEP_4) | instskip(NEXT) | instid1(VALU_DEP_4)
	v_add_co_u32 v3, vcc_lo, v3, v6
	v_add_co_ci_u32_e32 v4, vcc_lo, 0, v4, vcc_lo
	s_delay_alu instid0(VALU_DEP_4) | instskip(NEXT) | instid1(VALU_DEP_4)
	v_add_co_u32 v6, vcc_lo, v11, v13
	v_add_co_ci_u32_e32 v20, vcc_lo, 0, v12, vcc_lo
	s_cselect_b32 vcc_lo, -1, 0
	s_delay_alu instid0(VALU_DEP_2) | instskip(SKIP_3) | instid1(VALU_DEP_3)
	v_dual_cndmask_b32 v21, v3, v6 :: v_dual_and_b32 v0, 0xc0, v0
	s_abs_i32 s13, s6
	v_xor_b32_e32 v12, 4, v15
	v_xor_b32_e32 v13, 2, v15
	v_lshl_or_b32 v0, v2, 3, v0
	v_cvt_f32_u32_e32 v2, s13
	v_xor_b32_e32 v19, 8, v15
	v_cmp_gt_i32_e64 s0, 32, v12
	v_mov_b32_e32 v3, v1
	v_or_b32_e32 v11, v0, v10
	v_rcp_iflag_f32_e32 v2, v2
	v_mov_b32_e32 v23, 1
	v_cndmask_b32_e64 v12, v15, v12, s0
	v_cmp_gt_i32_e64 s0, 32, v13
	v_lshlrev_b32_e32 v11, 4, v11
	s_mov_b32 s1, 0
	s_mul_hi_u32 s14, s6, s6
	v_lshlrev_b32_e32 v12, 2, v12
	v_cndmask_b32_e64 v13, v15, v13, s0
	v_cmp_gt_i32_e64 s0, 32, v14
	v_dual_mul_f32 v2, 0x4f7ffffe, v2 :: v_dual_mov_b32 v25, v1
	s_mul_i32 s15, s6, s6
	s_delay_alu instid0(VALU_DEP_3) | instskip(NEXT) | instid1(VALU_DEP_3)
	v_lshlrev_b32_e32 v13, 2, v13
	v_cndmask_b32_e64 v14, v15, v14, s0
	s_delay_alu instid0(VALU_DEP_3)
	v_cvt_u32_f32_e32 v2, v2
	s_sub_i32 s0, 0, s13
	s_ashr_i32 s16, s6, 31
	v_cndmask_b32_e32 v20, v4, v20, vcc_lo
	v_lshlrev_b32_e32 v14, 2, v14
	v_mul_lo_u32 v18, s0, v2
	v_cmp_gt_i32_e64 s0, 32, v16
	v_mov_b32_e32 v4, v1
	s_delay_alu instid0(VALU_DEP_2) | instskip(SKIP_2) | instid1(VALU_DEP_3)
	v_cndmask_b32_e64 v16, v15, v16, s0
	v_cmp_gt_i32_e64 s0, 32, v17
	v_mul_hi_u32 v22, v2, v18
	v_lshlrev_b32_e32 v16, 2, v16
	s_delay_alu instid0(VALU_DEP_3) | instskip(SKIP_1) | instid1(VALU_DEP_4)
	v_cndmask_b32_e64 v17, v15, v17, s0
	v_cmp_gt_i32_e64 s0, 32, v19
	v_add_nc_u32_e32 v22, v2, v22
	s_delay_alu instid0(VALU_DEP_3) | instskip(NEXT) | instid1(VALU_DEP_3)
	v_lshlrev_b32_e32 v17, 2, v17
	v_cndmask_b32_e64 v19, v15, v19, s0
	v_lshl_or_b32 v15, v15, 2, 28
	v_mov_b32_e32 v2, v1
	s_delay_alu instid0(VALU_DEP_3)
	v_lshlrev_b32_e32 v18, 2, v19
	v_bfrev_b32_e32 v19, 0.5
	s_branch .LBB146_10
.LBB146_8:                              ;   in Loop: Header=BB146_10 Depth=1
	s_or_b32 exec_lo, exec_lo, s17
	v_mov_b32_e32 v6, 1
.LBB146_9:                              ;   in Loop: Header=BB146_10 Depth=1
	s_or_b32 exec_lo, exec_lo, s0
	ds_bpermute_b32 v25, v16, v24
	v_add_nc_u32_e32 v5, v6, v5
	s_waitcnt lgkmcnt(0)
	s_waitcnt_vscnt null, 0x0
	buffer_gl0_inv
	buffer_gl0_inv
	v_min_i32_e32 v24, v25, v24
	ds_bpermute_b32 v25, v17, v24
	s_waitcnt lgkmcnt(0)
	v_min_i32_e32 v24, v25, v24
	ds_bpermute_b32 v25, v18, v24
	s_waitcnt lgkmcnt(0)
	;; [unrolled: 3-line block ×6, first 2 shown]
	v_cmp_le_i32_e32 vcc_lo, s5, v25
	s_or_b32 s1, vcc_lo, s1
	s_delay_alu instid0(SALU_CYCLE_1)
	s_and_not1_b32 exec_lo, exec_lo, s1
	s_cbranch_execz .LBB146_21
.LBB146_10:                             ; =>This Loop Header: Depth=1
                                        ;     Child Loop BB146_13 Depth 2
	v_dual_mov_b32 v27, v9 :: v_dual_add_nc_u32 v6, v7, v10
	v_mov_b32_e32 v24, s5
	s_mov_b32 s17, exec_lo
	ds_store_b8 v8, v1 offset:4096
	ds_store_b128 v11, v[1:4]
	s_waitcnt lgkmcnt(0)
	buffer_gl0_inv
	v_cmpx_lt_i32_e64 v6, v9
	s_cbranch_execz .LBB146_18
; %bb.11:                               ;   in Loop: Header=BB146_10 Depth=1
	v_mul_lo_u32 v26, v25, s6
	v_dual_mov_b32 v24, s5 :: v_dual_mov_b32 v27, v9
	s_mov_b32 s18, 0
	s_branch .LBB146_13
.LBB146_12:                             ;   in Loop: Header=BB146_13 Depth=2
	s_or_b32 exec_lo, exec_lo, s19
	v_add_nc_u32_e32 v6, 8, v6
	s_xor_b32 s19, vcc_lo, -1
	s_delay_alu instid0(VALU_DEP_1) | instskip(NEXT) | instid1(VALU_DEP_1)
	v_cmp_ge_i32_e64 s0, v6, v9
	s_or_b32 s0, s19, s0
	s_delay_alu instid0(SALU_CYCLE_1) | instskip(NEXT) | instid1(SALU_CYCLE_1)
	s_and_b32 s0, exec_lo, s0
	s_or_b32 s18, s0, s18
	s_delay_alu instid0(SALU_CYCLE_1)
	s_and_not1_b32 exec_lo, exec_lo, s18
	s_cbranch_execz .LBB146_17
.LBB146_13:                             ;   Parent Loop BB146_10 Depth=1
                                        ; =>  This Inner Loop Header: Depth=2
	v_ashrrev_i32_e32 v7, 31, v6
	s_delay_alu instid0(VALU_DEP_1) | instskip(NEXT) | instid1(VALU_DEP_1)
	v_lshlrev_b64 v[28:29], 2, v[6:7]
	v_add_co_u32 v28, vcc_lo, s8, v28
	s_delay_alu instid0(VALU_DEP_2) | instskip(SKIP_3) | instid1(VALU_DEP_1)
	v_add_co_ci_u32_e32 v29, vcc_lo, s9, v29, vcc_lo
	global_load_b32 v28, v[28:29], off
	s_waitcnt vmcnt(0)
	v_subrev_nc_u32_e32 v28, s7, v28
	v_sub_nc_u32_e32 v29, 0, v28
	s_delay_alu instid0(VALU_DEP_1) | instskip(NEXT) | instid1(VALU_DEP_1)
	v_max_i32_e32 v29, v28, v29
	v_mul_hi_u32 v30, v29, v22
	s_delay_alu instid0(VALU_DEP_1) | instskip(NEXT) | instid1(VALU_DEP_1)
	v_mul_lo_u32 v31, v30, s13
	v_sub_nc_u32_e32 v29, v29, v31
	v_add_nc_u32_e32 v31, 1, v30
	s_delay_alu instid0(VALU_DEP_2) | instskip(SKIP_1) | instid1(VALU_DEP_2)
	v_subrev_nc_u32_e32 v32, s13, v29
	v_cmp_le_u32_e32 vcc_lo, s13, v29
	v_dual_cndmask_b32 v30, v30, v31 :: v_dual_cndmask_b32 v29, v29, v32
	v_ashrrev_i32_e32 v31, 31, v28
	s_delay_alu instid0(VALU_DEP_2) | instskip(NEXT) | instid1(VALU_DEP_3)
	v_add_nc_u32_e32 v32, 1, v30
	v_cmp_le_u32_e32 vcc_lo, s13, v29
	s_delay_alu instid0(VALU_DEP_3) | instskip(NEXT) | instid1(VALU_DEP_3)
	v_xor_b32_e32 v31, s16, v31
	v_cndmask_b32_e32 v29, v30, v32, vcc_lo
	s_delay_alu instid0(VALU_DEP_1) | instskip(NEXT) | instid1(VALU_DEP_1)
	v_xor_b32_e32 v29, v29, v31
	v_sub_nc_u32_e32 v30, v29, v31
	v_mov_b32_e32 v29, v27
	s_delay_alu instid0(VALU_DEP_2) | instskip(SKIP_1) | instid1(VALU_DEP_1)
	v_cmp_eq_u32_e32 vcc_lo, v30, v25
	v_cmp_ne_u32_e64 s0, v30, v25
	s_and_saveexec_b32 s19, s0
	s_delay_alu instid0(SALU_CYCLE_1)
	s_xor_b32 s0, exec_lo, s19
; %bb.14:                               ;   in Loop: Header=BB146_13 Depth=2
	v_min_i32_e32 v24, v30, v24
                                        ; implicit-def: $vgpr28
                                        ; implicit-def: $vgpr29
; %bb.15:                               ;   in Loop: Header=BB146_13 Depth=2
	s_or_saveexec_b32 s19, s0
	v_mov_b32_e32 v27, v6
	s_xor_b32 exec_lo, exec_lo, s19
	s_cbranch_execz .LBB146_12
; %bb.16:                               ;   in Loop: Header=BB146_13 Depth=2
	v_lshlrev_b64 v[30:31], 4, v[6:7]
	v_sub_nc_u32_e32 v7, v28, v26
	v_mov_b32_e32 v27, v29
	s_delay_alu instid0(VALU_DEP_2) | instskip(NEXT) | instid1(VALU_DEP_4)
	v_add_lshl_u32 v7, v7, v0, 4
	v_add_co_u32 v30, s0, s10, v30
	s_delay_alu instid0(VALU_DEP_1)
	v_add_co_ci_u32_e64 v31, s0, s11, v31, s0
	global_load_b128 v[30:33], v[30:31], off
	ds_store_b8 v8, v23 offset:4096
	s_waitcnt vmcnt(0)
	ds_store_2addr_b64 v7, v[30:31], v[32:33] offset1:1
	s_branch .LBB146_12
.LBB146_17:                             ;   in Loop: Header=BB146_10 Depth=1
	s_or_b32 exec_lo, exec_lo, s18
.LBB146_18:                             ;   in Loop: Header=BB146_10 Depth=1
	s_delay_alu instid0(SALU_CYCLE_1)
	s_or_b32 exec_lo, exec_lo, s17
	ds_bpermute_b32 v6, v12, v27
	s_waitcnt lgkmcnt(0)
	buffer_gl0_inv
	ds_load_u8 v26, v8 offset:4096
	v_min_i32_e32 v6, v6, v27
	ds_bpermute_b32 v7, v13, v6
	s_waitcnt lgkmcnt(0)
	v_min_i32_e32 v6, v7, v6
	ds_bpermute_b32 v7, v14, v6
	s_waitcnt lgkmcnt(0)
	v_min_i32_e32 v6, v7, v6
	ds_bpermute_b32 v7, v15, v6
	v_and_b32_e32 v6, 1, v26
	s_delay_alu instid0(VALU_DEP_1)
	v_cmp_eq_u32_e32 vcc_lo, 1, v6
	v_mov_b32_e32 v6, 0
	s_and_saveexec_b32 s0, vcc_lo
	s_cbranch_execz .LBB146_9
; %bb.19:                               ;   in Loop: Header=BB146_10 Depth=1
	v_ashrrev_i32_e32 v6, 31, v5
	v_add_nc_u32_e32 v28, s12, v25
	s_delay_alu instid0(VALU_DEP_2) | instskip(NEXT) | instid1(VALU_DEP_1)
	v_lshlrev_b64 v[26:27], 2, v[5:6]
	v_add_co_u32 v25, vcc_lo, s2, v26
	s_delay_alu instid0(VALU_DEP_2)
	v_add_co_ci_u32_e32 v26, vcc_lo, s3, v27, vcc_lo
	global_store_b32 v[25:26], v28, off
	s_and_saveexec_b32 s17, s4
	s_cbranch_execz .LBB146_8
; %bb.20:                               ;   in Loop: Header=BB146_10 Depth=1
	v_mul_lo_u32 v31, s14, v5
	v_mul_lo_u32 v6, s15, v6
	v_mad_u64_u32 v[29:30], null, s15, v5, 0
	ds_load_2addr_b64 v[25:28], v11 offset1:1
	v_add3_u32 v30, v30, v6, v31
	s_delay_alu instid0(VALU_DEP_1) | instskip(NEXT) | instid1(VALU_DEP_1)
	v_lshlrev_b64 v[29:30], 4, v[29:30]
	v_add_co_u32 v29, vcc_lo, v21, v29
	s_delay_alu instid0(VALU_DEP_2)
	v_add_co_ci_u32_e32 v30, vcc_lo, v20, v30, vcc_lo
	s_waitcnt lgkmcnt(0)
	global_store_b128 v[29:30], v[25:28], off
	s_branch .LBB146_8
.LBB146_21:
	s_endpgm
	.section	.rodata,"a",@progbits
	.p2align	6, 0x0
	.amdhsa_kernel _ZN9rocsparseL42csr2bsr_wavefront_per_row_multipass_kernelILj256ELj64ELj8E21rocsparse_complex_numIdEiiEEv20rocsparse_direction_T4_S4_S4_S4_S4_21rocsparse_index_base_PKT2_PKT3_PKS4_S5_PS6_PS9_PS4_
		.amdhsa_group_segment_fixed_size 4104
		.amdhsa_private_segment_fixed_size 0
		.amdhsa_kernarg_size 88
		.amdhsa_user_sgpr_count 15
		.amdhsa_user_sgpr_dispatch_ptr 0
		.amdhsa_user_sgpr_queue_ptr 0
		.amdhsa_user_sgpr_kernarg_segment_ptr 1
		.amdhsa_user_sgpr_dispatch_id 0
		.amdhsa_user_sgpr_private_segment_size 0
		.amdhsa_wavefront_size32 1
		.amdhsa_uses_dynamic_stack 0
		.amdhsa_enable_private_segment 0
		.amdhsa_system_sgpr_workgroup_id_x 1
		.amdhsa_system_sgpr_workgroup_id_y 0
		.amdhsa_system_sgpr_workgroup_id_z 0
		.amdhsa_system_sgpr_workgroup_info 0
		.amdhsa_system_vgpr_workitem_id 0
		.amdhsa_next_free_vgpr 34
		.amdhsa_next_free_sgpr 20
		.amdhsa_reserve_vcc 1
		.amdhsa_float_round_mode_32 0
		.amdhsa_float_round_mode_16_64 0
		.amdhsa_float_denorm_mode_32 3
		.amdhsa_float_denorm_mode_16_64 3
		.amdhsa_dx10_clamp 1
		.amdhsa_ieee_mode 1
		.amdhsa_fp16_overflow 0
		.amdhsa_workgroup_processor_mode 1
		.amdhsa_memory_ordered 1
		.amdhsa_forward_progress 0
		.amdhsa_shared_vgpr_count 0
		.amdhsa_exception_fp_ieee_invalid_op 0
		.amdhsa_exception_fp_denorm_src 0
		.amdhsa_exception_fp_ieee_div_zero 0
		.amdhsa_exception_fp_ieee_overflow 0
		.amdhsa_exception_fp_ieee_underflow 0
		.amdhsa_exception_fp_ieee_inexact 0
		.amdhsa_exception_int_div_zero 0
	.end_amdhsa_kernel
	.section	.text._ZN9rocsparseL42csr2bsr_wavefront_per_row_multipass_kernelILj256ELj64ELj8E21rocsparse_complex_numIdEiiEEv20rocsparse_direction_T4_S4_S4_S4_S4_21rocsparse_index_base_PKT2_PKT3_PKS4_S5_PS6_PS9_PS4_,"axG",@progbits,_ZN9rocsparseL42csr2bsr_wavefront_per_row_multipass_kernelILj256ELj64ELj8E21rocsparse_complex_numIdEiiEEv20rocsparse_direction_T4_S4_S4_S4_S4_21rocsparse_index_base_PKT2_PKT3_PKS4_S5_PS6_PS9_PS4_,comdat
.Lfunc_end146:
	.size	_ZN9rocsparseL42csr2bsr_wavefront_per_row_multipass_kernelILj256ELj64ELj8E21rocsparse_complex_numIdEiiEEv20rocsparse_direction_T4_S4_S4_S4_S4_21rocsparse_index_base_PKT2_PKT3_PKS4_S5_PS6_PS9_PS4_, .Lfunc_end146-_ZN9rocsparseL42csr2bsr_wavefront_per_row_multipass_kernelILj256ELj64ELj8E21rocsparse_complex_numIdEiiEEv20rocsparse_direction_T4_S4_S4_S4_S4_21rocsparse_index_base_PKT2_PKT3_PKS4_S5_PS6_PS9_PS4_
                                        ; -- End function
	.section	.AMDGPU.csdata,"",@progbits
; Kernel info:
; codeLenInByte = 1636
; NumSgprs: 22
; NumVgprs: 34
; ScratchSize: 0
; MemoryBound: 0
; FloatMode: 240
; IeeeMode: 1
; LDSByteSize: 4104 bytes/workgroup (compile time only)
; SGPRBlocks: 2
; VGPRBlocks: 4
; NumSGPRsForWavesPerEU: 22
; NumVGPRsForWavesPerEU: 34
; Occupancy: 16
; WaveLimiterHint : 0
; COMPUTE_PGM_RSRC2:SCRATCH_EN: 0
; COMPUTE_PGM_RSRC2:USER_SGPR: 15
; COMPUTE_PGM_RSRC2:TRAP_HANDLER: 0
; COMPUTE_PGM_RSRC2:TGID_X_EN: 1
; COMPUTE_PGM_RSRC2:TGID_Y_EN: 0
; COMPUTE_PGM_RSRC2:TGID_Z_EN: 0
; COMPUTE_PGM_RSRC2:TIDIG_COMP_CNT: 0
	.section	.text._ZN9rocsparseL42csr2bsr_wavefront_per_row_multipass_kernelILj256ELj32ELj8E21rocsparse_complex_numIdEiiEEv20rocsparse_direction_T4_S4_S4_S4_S4_21rocsparse_index_base_PKT2_PKT3_PKS4_S5_PS6_PS9_PS4_,"axG",@progbits,_ZN9rocsparseL42csr2bsr_wavefront_per_row_multipass_kernelILj256ELj32ELj8E21rocsparse_complex_numIdEiiEEv20rocsparse_direction_T4_S4_S4_S4_S4_21rocsparse_index_base_PKT2_PKT3_PKS4_S5_PS6_PS9_PS4_,comdat
	.globl	_ZN9rocsparseL42csr2bsr_wavefront_per_row_multipass_kernelILj256ELj32ELj8E21rocsparse_complex_numIdEiiEEv20rocsparse_direction_T4_S4_S4_S4_S4_21rocsparse_index_base_PKT2_PKT3_PKS4_S5_PS6_PS9_PS4_ ; -- Begin function _ZN9rocsparseL42csr2bsr_wavefront_per_row_multipass_kernelILj256ELj32ELj8E21rocsparse_complex_numIdEiiEEv20rocsparse_direction_T4_S4_S4_S4_S4_21rocsparse_index_base_PKT2_PKT3_PKS4_S5_PS6_PS9_PS4_
	.p2align	8
	.type	_ZN9rocsparseL42csr2bsr_wavefront_per_row_multipass_kernelILj256ELj32ELj8E21rocsparse_complex_numIdEiiEEv20rocsparse_direction_T4_S4_S4_S4_S4_21rocsparse_index_base_PKT2_PKT3_PKS4_S5_PS6_PS9_PS4_,@function
_ZN9rocsparseL42csr2bsr_wavefront_per_row_multipass_kernelILj256ELj32ELj8E21rocsparse_complex_numIdEiiEEv20rocsparse_direction_T4_S4_S4_S4_S4_21rocsparse_index_base_PKT2_PKT3_PKS4_S5_PS6_PS9_PS4_: ; @_ZN9rocsparseL42csr2bsr_wavefront_per_row_multipass_kernelILj256ELj32ELj8E21rocsparse_complex_numIdEiiEEv20rocsparse_direction_T4_S4_S4_S4_S4_21rocsparse_index_base_PKT2_PKT3_PKS4_S5_PS6_PS9_PS4_
; %bb.0:
	s_clause 0x1
	s_load_b128 s[4:7], s[0:1], 0xc
	s_load_b64 s[10:11], s[0:1], 0x0
	v_lshrrev_b32_e32 v13, 5, v0
	v_bfe_u32 v1, v0, 2, 3
	s_load_b64 s[8:9], s[0:1], 0x28
	v_dual_mov_b32 v14, 0 :: v_dual_mov_b32 v11, 0
	s_delay_alu instid0(VALU_DEP_3) | instskip(SKIP_1) | instid1(VALU_DEP_1)
	v_lshl_or_b32 v2, s15, 3, v13
	s_waitcnt lgkmcnt(0)
	v_mad_u64_u32 v[3:4], null, v2, s6, v[1:2]
	v_cmp_gt_i32_e32 vcc_lo, s6, v1
	s_delay_alu instid0(VALU_DEP_2) | instskip(NEXT) | instid1(VALU_DEP_1)
	v_cmp_gt_i32_e64 s2, s11, v3
	s_and_b32 s3, vcc_lo, s2
	s_delay_alu instid0(SALU_CYCLE_1)
	s_and_saveexec_b32 s11, s3
	s_cbranch_execz .LBB147_2
; %bb.1:
	v_ashrrev_i32_e32 v4, 31, v3
	s_delay_alu instid0(VALU_DEP_1) | instskip(NEXT) | instid1(VALU_DEP_1)
	v_lshlrev_b64 v[4:5], 2, v[3:4]
	v_add_co_u32 v4, s2, s8, v4
	s_delay_alu instid0(VALU_DEP_1)
	v_add_co_ci_u32_e64 v5, s2, s9, v5, s2
	global_load_b32 v4, v[4:5], off
	s_waitcnt vmcnt(0)
	v_subrev_nc_u32_e32 v11, s7, v4
.LBB147_2:
	s_or_b32 exec_lo, exec_lo, s11
	s_and_saveexec_b32 s11, s3
	s_cbranch_execz .LBB147_4
; %bb.3:
	v_ashrrev_i32_e32 v4, 31, v3
	s_delay_alu instid0(VALU_DEP_1) | instskip(NEXT) | instid1(VALU_DEP_1)
	v_lshlrev_b64 v[3:4], 2, v[3:4]
	v_add_co_u32 v3, s2, s8, v3
	s_delay_alu instid0(VALU_DEP_1)
	v_add_co_ci_u32_e64 v4, s2, s9, v4, s2
	global_load_b32 v3, v[3:4], off offset:4
	s_waitcnt vmcnt(0)
	v_subrev_nc_u32_e32 v14, s7, v3
.LBB147_4:
	s_or_b32 exec_lo, exec_lo, s11
	s_load_b32 s16, s[0:1], 0x38
	v_mov_b32_e32 v4, 0
	s_mov_b32 s3, exec_lo
	v_cmpx_gt_i32_e64 s4, v2
	s_cbranch_execz .LBB147_6
; %bb.5:
	s_load_b64 s[8:9], s[0:1], 0x48
	v_ashrrev_i32_e32 v3, 31, v2
	s_delay_alu instid0(VALU_DEP_1) | instskip(SKIP_1) | instid1(VALU_DEP_1)
	v_lshlrev_b64 v[2:3], 2, v[2:3]
	s_waitcnt lgkmcnt(0)
	v_add_co_u32 v2, s2, s8, v2
	s_delay_alu instid0(VALU_DEP_1)
	v_add_co_ci_u32_e64 v3, s2, s9, v3, s2
	global_load_b32 v2, v[2:3], off
	s_waitcnt vmcnt(0)
	v_subrev_nc_u32_e32 v4, s16, v2
.LBB147_6:
	s_or_b32 exec_lo, exec_lo, s3
	s_cmp_lt_i32 s5, 1
	s_cbranch_scc1 .LBB147_30
; %bb.7:
	v_mbcnt_lo_u32_b32 v2, -1, 0
	s_clause 0x3
	s_load_b64 s[2:3], s[0:1], 0x20
	s_load_b64 s[12:13], s[0:1], 0x50
	;; [unrolled: 1-line block ×4, first 2 shown]
	s_mov_b32 s8, 0
	s_cmp_lg_u32 s10, 0
	v_xor_b32_e32 v3, 2, v2
	v_xor_b32_e32 v5, 1, v2
	s_mov_b32 s9, s8
	s_mov_b32 s10, s8
	;; [unrolled: 1-line block ×3, first 2 shown]
	v_cmp_gt_i32_e64 s0, 32, v3
	v_lshlrev_b32_e32 v6, 6, v13
	s_cselect_b32 s4, -1, 0
	s_abs_i32 s17, s6
	v_and_b32_e32 v15, 3, v0
	v_cndmask_b32_e64 v3, v2, v3, s0
	v_cmp_gt_i32_e64 s0, 32, v5
	v_lshl_or_b32 v16, v1, 3, v6
	v_mov_b32_e32 v6, 0
	s_sub_i32 s1, 0, s17
	v_dual_mov_b32 v28, 0x7c :: v_dual_lshlrev_b32 v17, 2, v3
	v_cndmask_b32_e64 v5, v2, v5, s0
	v_cvt_f32_u32_e32 v3, s17
	v_lshl_or_b32 v19, v2, 2, 12
	v_lshlrev_b32_e32 v32, 4, v15
	v_mov_b32_e32 v34, 0
	v_lshlrev_b32_e32 v18, 2, v5
	v_mul_lo_u32 v5, v1, s6
	v_rcp_iflag_f32_e32 v3, v3
	v_lshlrev_b32_e32 v7, 4, v1
	s_mul_hi_u32 s18, s6, s6
	s_mul_i32 s19, s6, s6
	v_dual_mov_b32 v31, 1 :: v_dual_mov_b32 v10, v6
	s_waitcnt lgkmcnt(0)
	v_add_co_u32 v20, s0, s20, v7
	v_lshlrev_b64 v[0:1], 4, v[5:6]
	v_xor_b32_e32 v5, 16, v2
	v_add_co_ci_u32_e64 v21, null, s21, 0, s0
	v_xor_b32_e32 v7, 8, v2
	s_delay_alu instid0(VALU_DEP_3) | instskip(NEXT) | instid1(VALU_DEP_1)
	v_cmp_gt_i32_e64 s0, 32, v5
	v_cndmask_b32_e64 v5, v2, v5, s0
	v_add_co_u32 v22, s0, s20, v0
	v_mul_f32_e32 v0, 0x4f7ffffe, v3
	v_add_co_ci_u32_e64 v23, s0, s21, v1, s0
	v_xor_b32_e32 v1, 4, v2
	v_cmp_gt_i32_e64 s0, 32, v7
	s_delay_alu instid0(VALU_DEP_4) | instskip(SKIP_2) | instid1(VALU_DEP_4)
	v_cvt_u32_f32_e32 v0, v0
	v_lshlrev_b32_e32 v24, 2, v5
	v_or_b32_e32 v5, v16, v15
	v_cndmask_b32_e64 v3, v2, v7, s0
	v_cmp_gt_i32_e64 s0, 32, v1
	s_delay_alu instid0(VALU_DEP_3) | instskip(SKIP_1) | instid1(VALU_DEP_4)
	v_lshlrev_b32_e32 v26, 4, v5
	v_mul_lo_u32 v5, v15, s6
	v_lshlrev_b32_e32 v25, 2, v3
	s_delay_alu instid0(VALU_DEP_4) | instskip(SKIP_3) | instid1(VALU_DEP_4)
	v_cndmask_b32_e64 v1, v2, v1, s0
	v_mul_lo_u32 v2, s1, v0
	v_cmp_gt_u32_e64 s0, s6, v15
	v_or_b32_e32 v29, 64, v26
	v_lshlrev_b32_e32 v27, 2, v1
	v_or_b32_e32 v1, 4, v15
	v_lshl_add_u32 v9, s6, 2, v5
	v_lshlrev_b64 v[7:8], 4, v[5:6]
	v_mul_hi_u32 v2, v0, v2
	s_delay_alu instid0(VALU_DEP_4) | instskip(NEXT) | instid1(VALU_DEP_4)
	v_cmp_gt_u32_e64 s1, s6, v1
	v_lshlrev_b64 v[9:10], 4, v[9:10]
	s_delay_alu instid0(VALU_DEP_2) | instskip(NEXT) | instid1(VALU_DEP_3)
	s_and_b32 s1, vcc_lo, s1
	v_add_nc_u32_e32 v30, v0, v2
	v_dual_mov_b32 v0, s8 :: v_dual_mov_b32 v1, s9
	v_dual_mov_b32 v2, s10 :: v_dual_mov_b32 v3, s11
	s_and_b32 s9, s0, vcc_lo
	s_ashr_i32 s10, s6, 31
	s_branch .LBB147_11
.LBB147_8:                              ;   in Loop: Header=BB147_11 Depth=1
	v_mov_b32_e32 v36, s20
.LBB147_9:                              ;   in Loop: Header=BB147_11 Depth=1
	s_or_b32 exec_lo, exec_lo, s11
.LBB147_10:                             ;   in Loop: Header=BB147_11 Depth=1
	s_delay_alu instid0(SALU_CYCLE_1)
	s_or_b32 exec_lo, exec_lo, s0
	ds_bpermute_b32 v5, v24, v33
	v_add_nc_u32_e32 v4, v36, v4
	s_waitcnt lgkmcnt(0)
	s_waitcnt_vscnt null, 0x0
	buffer_gl0_inv
	buffer_gl0_inv
	v_min_i32_e32 v5, v5, v33
	ds_bpermute_b32 v12, v25, v5
	s_waitcnt lgkmcnt(0)
	v_min_i32_e32 v5, v12, v5
	ds_bpermute_b32 v12, v27, v5
	s_waitcnt lgkmcnt(0)
	;; [unrolled: 3-line block ×5, first 2 shown]
	v_cmp_le_i32_e32 vcc_lo, s5, v34
	s_or_b32 s8, vcc_lo, s8
	s_delay_alu instid0(SALU_CYCLE_1)
	s_and_not1_b32 exec_lo, exec_lo, s8
	s_cbranch_execz .LBB147_30
.LBB147_11:                             ; =>This Loop Header: Depth=1
                                        ;     Child Loop BB147_14 Depth 2
	v_add_nc_u32_e32 v11, v11, v15
	v_mov_b32_e32 v33, s5
	v_mov_b32_e32 v35, v14
	s_mov_b32 s11, exec_lo
	ds_store_b8 v13, v6 offset:8192
	ds_store_b128 v26, v[0:3]
	ds_store_b128 v26, v[0:3] offset:64
	s_waitcnt lgkmcnt(0)
	buffer_gl0_inv
	v_cmpx_lt_i32_e64 v11, v14
	s_cbranch_execz .LBB147_19
; %bb.12:                               ;   in Loop: Header=BB147_11 Depth=1
	v_mul_lo_u32 v5, v34, s6
	v_mov_b32_e32 v33, s5
	v_mov_b32_e32 v35, v14
	s_mov_b32 s20, 0
	s_branch .LBB147_14
.LBB147_13:                             ;   in Loop: Header=BB147_14 Depth=2
	s_or_b32 exec_lo, exec_lo, s21
	v_add_nc_u32_e32 v11, 4, v11
	s_xor_b32 s21, vcc_lo, -1
	s_delay_alu instid0(VALU_DEP_1) | instskip(NEXT) | instid1(VALU_DEP_1)
	v_cmp_ge_i32_e64 s0, v11, v14
	s_or_b32 s0, s21, s0
	s_delay_alu instid0(SALU_CYCLE_1) | instskip(NEXT) | instid1(SALU_CYCLE_1)
	s_and_b32 s0, exec_lo, s0
	s_or_b32 s20, s0, s20
	s_delay_alu instid0(SALU_CYCLE_1)
	s_and_not1_b32 exec_lo, exec_lo, s20
	s_cbranch_execz .LBB147_18
.LBB147_14:                             ;   Parent Loop BB147_11 Depth=1
                                        ; =>  This Inner Loop Header: Depth=2
	v_ashrrev_i32_e32 v12, 31, v11
	s_delay_alu instid0(VALU_DEP_1) | instskip(NEXT) | instid1(VALU_DEP_1)
	v_lshlrev_b64 v[36:37], 2, v[11:12]
	v_add_co_u32 v36, vcc_lo, s14, v36
	s_delay_alu instid0(VALU_DEP_2) | instskip(SKIP_3) | instid1(VALU_DEP_1)
	v_add_co_ci_u32_e32 v37, vcc_lo, s15, v37, vcc_lo
	global_load_b32 v36, v[36:37], off
	s_waitcnt vmcnt(0)
	v_subrev_nc_u32_e32 v36, s7, v36
	v_sub_nc_u32_e32 v37, 0, v36
	s_delay_alu instid0(VALU_DEP_1) | instskip(NEXT) | instid1(VALU_DEP_1)
	v_max_i32_e32 v37, v36, v37
	v_mul_hi_u32 v38, v37, v30
	s_delay_alu instid0(VALU_DEP_1) | instskip(NEXT) | instid1(VALU_DEP_1)
	v_mul_lo_u32 v39, v38, s17
	v_sub_nc_u32_e32 v37, v37, v39
	v_add_nc_u32_e32 v39, 1, v38
	s_delay_alu instid0(VALU_DEP_2) | instskip(SKIP_1) | instid1(VALU_DEP_2)
	v_subrev_nc_u32_e32 v40, s17, v37
	v_cmp_le_u32_e32 vcc_lo, s17, v37
	v_dual_cndmask_b32 v38, v38, v39 :: v_dual_cndmask_b32 v37, v37, v40
	v_ashrrev_i32_e32 v39, 31, v36
	s_delay_alu instid0(VALU_DEP_2) | instskip(NEXT) | instid1(VALU_DEP_3)
	v_add_nc_u32_e32 v40, 1, v38
	v_cmp_le_u32_e32 vcc_lo, s17, v37
	s_delay_alu instid0(VALU_DEP_3) | instskip(NEXT) | instid1(VALU_DEP_3)
	v_xor_b32_e32 v39, s10, v39
	v_cndmask_b32_e32 v37, v38, v40, vcc_lo
	s_delay_alu instid0(VALU_DEP_1) | instskip(NEXT) | instid1(VALU_DEP_1)
	v_xor_b32_e32 v37, v37, v39
	v_sub_nc_u32_e32 v38, v37, v39
	v_mov_b32_e32 v37, v35
	s_delay_alu instid0(VALU_DEP_2) | instskip(SKIP_1) | instid1(VALU_DEP_1)
	v_cmp_eq_u32_e32 vcc_lo, v38, v34
	v_cmp_ne_u32_e64 s0, v38, v34
	s_and_saveexec_b32 s21, s0
	s_delay_alu instid0(SALU_CYCLE_1)
	s_xor_b32 s0, exec_lo, s21
; %bb.15:                               ;   in Loop: Header=BB147_14 Depth=2
	v_min_i32_e32 v33, v38, v33
                                        ; implicit-def: $vgpr36
                                        ; implicit-def: $vgpr37
; %bb.16:                               ;   in Loop: Header=BB147_14 Depth=2
	s_or_saveexec_b32 s21, s0
	v_mov_b32_e32 v35, v11
	s_xor_b32 exec_lo, exec_lo, s21
	s_cbranch_execz .LBB147_13
; %bb.17:                               ;   in Loop: Header=BB147_14 Depth=2
	v_lshlrev_b64 v[38:39], 4, v[11:12]
	v_sub_nc_u32_e32 v12, v36, v5
	v_mov_b32_e32 v35, v37
	s_delay_alu instid0(VALU_DEP_2) | instskip(NEXT) | instid1(VALU_DEP_4)
	v_add_lshl_u32 v12, v16, v12, 4
	v_add_co_u32 v38, s0, s2, v38
	s_delay_alu instid0(VALU_DEP_1)
	v_add_co_ci_u32_e64 v39, s0, s3, v39, s0
	global_load_b128 v[38:41], v[38:39], off
	ds_store_b8 v13, v31 offset:8192
	s_waitcnt vmcnt(0)
	ds_store_2addr_b64 v12, v[38:39], v[40:41] offset1:1
	s_branch .LBB147_13
.LBB147_18:                             ;   in Loop: Header=BB147_11 Depth=1
	s_or_b32 exec_lo, exec_lo, s20
.LBB147_19:                             ;   in Loop: Header=BB147_11 Depth=1
	s_delay_alu instid0(SALU_CYCLE_1)
	s_or_b32 exec_lo, exec_lo, s11
	ds_bpermute_b32 v5, v17, v35
	s_waitcnt lgkmcnt(0)
	buffer_gl0_inv
	ds_load_u8 v12, v13 offset:8192
	s_mov_b32 s0, exec_lo
	v_mov_b32_e32 v36, 0
	v_min_i32_e32 v5, v5, v35
	ds_bpermute_b32 v11, v18, v5
	s_waitcnt lgkmcnt(0)
	v_min_i32_e32 v5, v11, v5
	ds_bpermute_b32 v11, v19, v5
	v_and_b32_e32 v5, 1, v12
	s_delay_alu instid0(VALU_DEP_1)
	v_cmpx_eq_u32_e32 1, v5
	s_cbranch_execz .LBB147_10
; %bb.20:                               ;   in Loop: Header=BB147_11 Depth=1
	v_ashrrev_i32_e32 v5, 31, v4
	v_mul_lo_u32 v12, s18, v4
	v_mad_u64_u32 v[35:36], null, s19, v4, 0
	v_add_nc_u32_e32 v41, s16, v34
	s_delay_alu instid0(VALU_DEP_4) | instskip(NEXT) | instid1(VALU_DEP_1)
	v_mul_lo_u32 v37, s19, v5
	v_add3_u32 v36, v36, v37, v12
	v_lshlrev_b64 v[37:38], 2, v[4:5]
	s_delay_alu instid0(VALU_DEP_2) | instskip(NEXT) | instid1(VALU_DEP_2)
	v_lshlrev_b64 v[39:40], 4, v[35:36]
	v_add_co_u32 v36, vcc_lo, s12, v37
	s_delay_alu instid0(VALU_DEP_3) | instskip(NEXT) | instid1(VALU_DEP_3)
	v_add_co_ci_u32_e32 v37, vcc_lo, s13, v38, vcc_lo
	v_add_co_u32 v34, vcc_lo, v20, v39
	s_delay_alu instid0(VALU_DEP_4)
	v_add_co_ci_u32_e32 v35, vcc_lo, v21, v40, vcc_lo
	v_add_co_u32 v5, vcc_lo, v22, v39
	v_add_co_ci_u32_e32 v12, vcc_lo, v23, v40, vcc_lo
	global_store_b32 v[36:37], v41, off
	s_and_saveexec_b32 s11, s9
	s_cbranch_execz .LBB147_24
; %bb.21:                               ;   in Loop: Header=BB147_11 Depth=1
	s_and_b32 vcc_lo, exec_lo, s4
	s_cbranch_vccz .LBB147_27
; %bb.22:                               ;   in Loop: Header=BB147_11 Depth=1
	ds_load_2addr_b64 v[36:39], v26 offset1:1
	v_add_co_u32 v40, vcc_lo, v34, v7
	v_add_co_ci_u32_e32 v41, vcc_lo, v35, v8, vcc_lo
	s_waitcnt lgkmcnt(0)
	global_store_b128 v[40:41], v[36:39], off
	s_cbranch_execnz .LBB147_24
.LBB147_23:                             ;   in Loop: Header=BB147_11 Depth=1
	ds_load_2addr_b64 v[36:39], v26 offset1:1
	v_add_co_u32 v40, vcc_lo, v5, v32
	v_add_co_ci_u32_e32 v41, vcc_lo, 0, v12, vcc_lo
	s_waitcnt lgkmcnt(0)
	global_store_b128 v[40:41], v[36:39], off
.LBB147_24:                             ;   in Loop: Header=BB147_11 Depth=1
	s_or_b32 exec_lo, exec_lo, s11
	v_mov_b32_e32 v36, 1
	s_and_saveexec_b32 s11, s1
	s_cbranch_execz .LBB147_9
; %bb.25:                               ;   in Loop: Header=BB147_11 Depth=1
	s_and_not1_b32 vcc_lo, exec_lo, s4
	s_cbranch_vccnz .LBB147_28
; %bb.26:                               ;   in Loop: Header=BB147_11 Depth=1
	ds_load_2addr_b64 v[36:39], v29 offset1:1
	v_add_co_u32 v34, vcc_lo, v34, v9
	v_add_co_ci_u32_e32 v35, vcc_lo, v35, v10, vcc_lo
	s_mov_b32 s20, 1
	s_waitcnt lgkmcnt(0)
	global_store_b128 v[34:35], v[36:39], off
	s_cbranch_execnz .LBB147_8
	s_branch .LBB147_29
.LBB147_27:                             ;   in Loop: Header=BB147_11 Depth=1
	s_branch .LBB147_23
.LBB147_28:                             ;   in Loop: Header=BB147_11 Depth=1
                                        ; implicit-def: $sgpr20
.LBB147_29:                             ;   in Loop: Header=BB147_11 Depth=1
	ds_load_2addr_b64 v[34:37], v29 offset1:1
	v_add_co_u32 v38, vcc_lo, v5, v32
	v_add_co_ci_u32_e32 v39, vcc_lo, 0, v12, vcc_lo
	s_mov_b32 s20, 1
	s_waitcnt lgkmcnt(0)
	global_store_b128 v[38:39], v[34:37], off offset:64
	s_branch .LBB147_8
.LBB147_30:
	s_endpgm
	.section	.rodata,"a",@progbits
	.p2align	6, 0x0
	.amdhsa_kernel _ZN9rocsparseL42csr2bsr_wavefront_per_row_multipass_kernelILj256ELj32ELj8E21rocsparse_complex_numIdEiiEEv20rocsparse_direction_T4_S4_S4_S4_S4_21rocsparse_index_base_PKT2_PKT3_PKS4_S5_PS6_PS9_PS4_
		.amdhsa_group_segment_fixed_size 8200
		.amdhsa_private_segment_fixed_size 0
		.amdhsa_kernarg_size 88
		.amdhsa_user_sgpr_count 15
		.amdhsa_user_sgpr_dispatch_ptr 0
		.amdhsa_user_sgpr_queue_ptr 0
		.amdhsa_user_sgpr_kernarg_segment_ptr 1
		.amdhsa_user_sgpr_dispatch_id 0
		.amdhsa_user_sgpr_private_segment_size 0
		.amdhsa_wavefront_size32 1
		.amdhsa_uses_dynamic_stack 0
		.amdhsa_enable_private_segment 0
		.amdhsa_system_sgpr_workgroup_id_x 1
		.amdhsa_system_sgpr_workgroup_id_y 0
		.amdhsa_system_sgpr_workgroup_id_z 0
		.amdhsa_system_sgpr_workgroup_info 0
		.amdhsa_system_vgpr_workitem_id 0
		.amdhsa_next_free_vgpr 42
		.amdhsa_next_free_sgpr 22
		.amdhsa_reserve_vcc 1
		.amdhsa_float_round_mode_32 0
		.amdhsa_float_round_mode_16_64 0
		.amdhsa_float_denorm_mode_32 3
		.amdhsa_float_denorm_mode_16_64 3
		.amdhsa_dx10_clamp 1
		.amdhsa_ieee_mode 1
		.amdhsa_fp16_overflow 0
		.amdhsa_workgroup_processor_mode 1
		.amdhsa_memory_ordered 1
		.amdhsa_forward_progress 0
		.amdhsa_shared_vgpr_count 0
		.amdhsa_exception_fp_ieee_invalid_op 0
		.amdhsa_exception_fp_denorm_src 0
		.amdhsa_exception_fp_ieee_div_zero 0
		.amdhsa_exception_fp_ieee_overflow 0
		.amdhsa_exception_fp_ieee_underflow 0
		.amdhsa_exception_fp_ieee_inexact 0
		.amdhsa_exception_int_div_zero 0
	.end_amdhsa_kernel
	.section	.text._ZN9rocsparseL42csr2bsr_wavefront_per_row_multipass_kernelILj256ELj32ELj8E21rocsparse_complex_numIdEiiEEv20rocsparse_direction_T4_S4_S4_S4_S4_21rocsparse_index_base_PKT2_PKT3_PKS4_S5_PS6_PS9_PS4_,"axG",@progbits,_ZN9rocsparseL42csr2bsr_wavefront_per_row_multipass_kernelILj256ELj32ELj8E21rocsparse_complex_numIdEiiEEv20rocsparse_direction_T4_S4_S4_S4_S4_21rocsparse_index_base_PKT2_PKT3_PKS4_S5_PS6_PS9_PS4_,comdat
.Lfunc_end147:
	.size	_ZN9rocsparseL42csr2bsr_wavefront_per_row_multipass_kernelILj256ELj32ELj8E21rocsparse_complex_numIdEiiEEv20rocsparse_direction_T4_S4_S4_S4_S4_21rocsparse_index_base_PKT2_PKT3_PKS4_S5_PS6_PS9_PS4_, .Lfunc_end147-_ZN9rocsparseL42csr2bsr_wavefront_per_row_multipass_kernelILj256ELj32ELj8E21rocsparse_complex_numIdEiiEEv20rocsparse_direction_T4_S4_S4_S4_S4_21rocsparse_index_base_PKT2_PKT3_PKS4_S5_PS6_PS9_PS4_
                                        ; -- End function
	.section	.AMDGPU.csdata,"",@progbits
; Kernel info:
; codeLenInByte = 1780
; NumSgprs: 24
; NumVgprs: 42
; ScratchSize: 0
; MemoryBound: 0
; FloatMode: 240
; IeeeMode: 1
; LDSByteSize: 8200 bytes/workgroup (compile time only)
; SGPRBlocks: 2
; VGPRBlocks: 5
; NumSGPRsForWavesPerEU: 24
; NumVGPRsForWavesPerEU: 42
; Occupancy: 16
; WaveLimiterHint : 0
; COMPUTE_PGM_RSRC2:SCRATCH_EN: 0
; COMPUTE_PGM_RSRC2:USER_SGPR: 15
; COMPUTE_PGM_RSRC2:TRAP_HANDLER: 0
; COMPUTE_PGM_RSRC2:TGID_X_EN: 1
; COMPUTE_PGM_RSRC2:TGID_Y_EN: 0
; COMPUTE_PGM_RSRC2:TGID_Z_EN: 0
; COMPUTE_PGM_RSRC2:TIDIG_COMP_CNT: 0
	.section	.text._ZN9rocsparseL42csr2bsr_wavefront_per_row_multipass_kernelILj256ELj64ELj16E21rocsparse_complex_numIdEiiEEv20rocsparse_direction_T4_S4_S4_S4_S4_21rocsparse_index_base_PKT2_PKT3_PKS4_S5_PS6_PS9_PS4_,"axG",@progbits,_ZN9rocsparseL42csr2bsr_wavefront_per_row_multipass_kernelILj256ELj64ELj16E21rocsparse_complex_numIdEiiEEv20rocsparse_direction_T4_S4_S4_S4_S4_21rocsparse_index_base_PKT2_PKT3_PKS4_S5_PS6_PS9_PS4_,comdat
	.globl	_ZN9rocsparseL42csr2bsr_wavefront_per_row_multipass_kernelILj256ELj64ELj16E21rocsparse_complex_numIdEiiEEv20rocsparse_direction_T4_S4_S4_S4_S4_21rocsparse_index_base_PKT2_PKT3_PKS4_S5_PS6_PS9_PS4_ ; -- Begin function _ZN9rocsparseL42csr2bsr_wavefront_per_row_multipass_kernelILj256ELj64ELj16E21rocsparse_complex_numIdEiiEEv20rocsparse_direction_T4_S4_S4_S4_S4_21rocsparse_index_base_PKT2_PKT3_PKS4_S5_PS6_PS9_PS4_
	.p2align	8
	.type	_ZN9rocsparseL42csr2bsr_wavefront_per_row_multipass_kernelILj256ELj64ELj16E21rocsparse_complex_numIdEiiEEv20rocsparse_direction_T4_S4_S4_S4_S4_21rocsparse_index_base_PKT2_PKT3_PKS4_S5_PS6_PS9_PS4_,@function
_ZN9rocsparseL42csr2bsr_wavefront_per_row_multipass_kernelILj256ELj64ELj16E21rocsparse_complex_numIdEiiEEv20rocsparse_direction_T4_S4_S4_S4_S4_21rocsparse_index_base_PKT2_PKT3_PKS4_S5_PS6_PS9_PS4_: ; @_ZN9rocsparseL42csr2bsr_wavefront_per_row_multipass_kernelILj256ELj64ELj16E21rocsparse_complex_numIdEiiEEv20rocsparse_direction_T4_S4_S4_S4_S4_21rocsparse_index_base_PKT2_PKT3_PKS4_S5_PS6_PS9_PS4_
; %bb.0:
	s_clause 0x1
	s_load_b128 s[4:7], s[0:1], 0xc
	s_load_b64 s[10:11], s[0:1], 0x0
	v_lshrrev_b32_e32 v17, 6, v0
	v_bfe_u32 v1, v0, 2, 4
	s_load_b64 s[8:9], s[0:1], 0x28
	v_dual_mov_b32 v18, 0 :: v_dual_mov_b32 v15, 0
	s_delay_alu instid0(VALU_DEP_3) | instskip(SKIP_1) | instid1(VALU_DEP_1)
	v_lshl_or_b32 v2, s15, 2, v17
	s_waitcnt lgkmcnt(0)
	v_mad_u64_u32 v[3:4], null, v2, s6, v[1:2]
	v_cmp_gt_i32_e32 vcc_lo, s6, v1
	s_delay_alu instid0(VALU_DEP_2) | instskip(NEXT) | instid1(VALU_DEP_1)
	v_cmp_gt_i32_e64 s2, s11, v3
	s_and_b32 s3, vcc_lo, s2
	s_delay_alu instid0(SALU_CYCLE_1)
	s_and_saveexec_b32 s11, s3
	s_cbranch_execz .LBB148_2
; %bb.1:
	v_ashrrev_i32_e32 v4, 31, v3
	s_delay_alu instid0(VALU_DEP_1) | instskip(NEXT) | instid1(VALU_DEP_1)
	v_lshlrev_b64 v[4:5], 2, v[3:4]
	v_add_co_u32 v4, s2, s8, v4
	s_delay_alu instid0(VALU_DEP_1)
	v_add_co_ci_u32_e64 v5, s2, s9, v5, s2
	global_load_b32 v4, v[4:5], off
	s_waitcnt vmcnt(0)
	v_subrev_nc_u32_e32 v15, s7, v4
.LBB148_2:
	s_or_b32 exec_lo, exec_lo, s11
	s_and_saveexec_b32 s11, s3
	s_cbranch_execz .LBB148_4
; %bb.3:
	v_ashrrev_i32_e32 v4, 31, v3
	s_delay_alu instid0(VALU_DEP_1) | instskip(NEXT) | instid1(VALU_DEP_1)
	v_lshlrev_b64 v[3:4], 2, v[3:4]
	v_add_co_u32 v3, s2, s8, v3
	s_delay_alu instid0(VALU_DEP_1)
	v_add_co_ci_u32_e64 v4, s2, s9, v4, s2
	global_load_b32 v3, v[3:4], off offset:4
	s_waitcnt vmcnt(0)
	v_subrev_nc_u32_e32 v18, s7, v3
.LBB148_4:
	s_or_b32 exec_lo, exec_lo, s11
	s_load_b32 s18, s[0:1], 0x38
	v_mov_b32_e32 v4, 0
	s_mov_b32 s3, exec_lo
	v_cmpx_gt_i32_e64 s4, v2
	s_cbranch_execz .LBB148_6
; %bb.5:
	s_load_b64 s[8:9], s[0:1], 0x48
	v_ashrrev_i32_e32 v3, 31, v2
	s_delay_alu instid0(VALU_DEP_1) | instskip(SKIP_1) | instid1(VALU_DEP_1)
	v_lshlrev_b64 v[2:3], 2, v[2:3]
	s_waitcnt lgkmcnt(0)
	v_add_co_u32 v2, s2, s8, v2
	s_delay_alu instid0(VALU_DEP_1)
	v_add_co_ci_u32_e64 v3, s2, s9, v3, s2
	global_load_b32 v2, v[2:3], off
	s_waitcnt vmcnt(0)
	v_subrev_nc_u32_e32 v4, s18, v2
.LBB148_6:
	s_or_b32 exec_lo, exec_lo, s3
	s_cmp_lt_i32 s5, 1
	s_cbranch_scc1 .LBB148_40
; %bb.7:
	v_mbcnt_lo_u32_b32 v2, -1, 0
	s_clause 0x3
	s_load_b64 s[12:13], s[0:1], 0x20
	s_load_b64 s[14:15], s[0:1], 0x50
	;; [unrolled: 1-line block ×4, first 2 shown]
	v_dual_mov_b32 v6, 0 :: v_dual_and_b32 v19, 3, v0
	v_xor_b32_e32 v3, 2, v2
	v_xor_b32_e32 v5, 1, v2
	v_lshlrev_b32_e32 v7, 4, v1
	s_mov_b32 s8, 0
	v_mov_b32_e32 v10, v6
	v_cmp_gt_i32_e64 s0, 32, v3
	s_cmp_lg_u32 s10, 0
	s_mov_b32 s10, s8
	s_mov_b32 s11, s8
	s_cselect_b32 s4, -1, 0
	v_cndmask_b32_e64 v0, v2, v3, s0
	v_cmp_gt_i32_e64 s0, 32, v5
	s_abs_i32 s21, s6
	s_lshl_b32 s9, s6, 2
	v_lshl_or_b32 v20, v17, 8, v7
	v_lshlrev_b32_e32 v21, 2, v0
	v_cndmask_b32_e64 v3, v2, v5, s0
	v_mul_lo_u32 v5, v1, s6
	s_waitcnt lgkmcnt(0)
	v_add_co_u32 v24, s0, s2, v7
	s_delay_alu instid0(VALU_DEP_1)
	v_add_co_ci_u32_e64 v25, null, s3, 0, s0
	v_lshlrev_b32_e32 v22, 2, v3
	v_or_b32_e32 v3, 32, v2
	v_xor_b32_e32 v7, 4, v2
	v_lshlrev_b64 v[0:1], 4, v[5:6]
	v_cvt_f32_u32_e32 v5, s21
	s_sub_i32 s1, 0, s21
	v_lshl_or_b32 v23, v2, 2, 12
	v_or_b32_e32 v8, v20, v19
	v_mov_b32_e32 v12, v6
	v_add_co_u32 v26, s0, s2, v0
	s_delay_alu instid0(VALU_DEP_1)
	v_add_co_ci_u32_e64 v27, s0, s3, v1, s0
	v_xor_b32_e32 v0, 16, v2
	v_cmp_gt_i32_e64 s0, 32, v3
	v_rcp_iflag_f32_e32 v9, v5
	v_mul_lo_u32 v5, v19, s6
	v_lshlrev_b32_e32 v29, 4, v8
	v_bfrev_b32_e32 v33, 0.5
	v_cndmask_b32_e64 v1, v2, v3, s0
	v_cmp_gt_i32_e64 s0, 32, v0
	v_xor_b32_e32 v3, 8, v2
	v_or_b32_e32 v34, 64, v29
	v_or_b32_e32 v35, 0x80, v29
	;; [unrolled: 1-line block ×3, first 2 shown]
	v_cndmask_b32_e64 v0, v2, v0, s0
	v_cmp_gt_i32_e64 s0, 32, v3
	s_mul_hi_u32 s19, s6, s6
	s_mul_i32 s20, s6, s6
	v_mov_b32_e32 v14, v6
	v_lshlrev_b32_e32 v30, 2, v0
	v_mul_f32_e32 v0, 0x4f7ffffe, v9
	v_add_nc_u32_e32 v9, s9, v5
	v_cndmask_b32_e64 v3, v2, v3, s0
	v_cmp_gt_i32_e64 s0, 32, v7
	v_mov_b32_e32 v38, 1
	v_cvt_u32_f32_e32 v0, v0
	v_add_nc_u32_e32 v11, s9, v9
	v_lshlrev_b32_e32 v31, 2, v3
	v_cndmask_b32_e64 v2, v2, v7, s0
	v_cmp_gt_u32_e64 s0, s6, v19
	v_mul_lo_u32 v3, s1, v0
	v_add_nc_u32_e32 v13, s9, v11
	s_mov_b32 s9, s8
	v_lshlrev_b32_e32 v28, 2, v1
	v_or_b32_e32 v1, 4, v19
	v_lshlrev_b32_e32 v32, 2, v2
	v_or_b32_e32 v2, 8, v19
	v_lshlrev_b64 v[7:8], 4, v[5:6]
	v_lshlrev_b64 v[13:14], 4, v[13:14]
	v_cmp_gt_u32_e64 s1, s6, v1
	v_or_b32_e32 v1, 12, v19
	v_cmp_gt_u32_e64 s2, s6, v2
	v_mov_b32_e32 v40, 0
	s_and_b32 s22, s0, vcc_lo
	s_and_b32 s1, vcc_lo, s1
	v_cmp_gt_u32_e64 s3, s6, v1
	v_mul_hi_u32 v1, v0, v3
	s_and_b32 s2, vcc_lo, s2
	s_delay_alu instid0(VALU_DEP_2) | instskip(NEXT) | instid1(VALU_DEP_1)
	s_and_b32 s3, vcc_lo, s3
	v_dual_mov_b32 v0, s8 :: v_dual_add_nc_u32 v37, v0, v1
	v_mov_b32_e32 v2, s10
	v_lshlrev_b64 v[9:10], 4, v[9:10]
	v_lshlrev_b64 v[11:12], 4, v[11:12]
	v_mov_b32_e32 v1, s9
	v_mov_b32_e32 v3, s11
	s_ashr_i32 s9, s6, 31
	s_branch .LBB148_11
.LBB148_8:                              ;   in Loop: Header=BB148_11 Depth=1
	v_mov_b32_e32 v42, s11
.LBB148_9:                              ;   in Loop: Header=BB148_11 Depth=1
	s_or_b32 exec_lo, exec_lo, s10
.LBB148_10:                             ;   in Loop: Header=BB148_11 Depth=1
	s_delay_alu instid0(SALU_CYCLE_1)
	s_or_b32 exec_lo, exec_lo, s0
	ds_bpermute_b32 v5, v28, v39
	v_add_nc_u32_e32 v4, v42, v4
	s_waitcnt lgkmcnt(0)
	s_waitcnt_vscnt null, 0x0
	buffer_gl0_inv
	buffer_gl0_inv
	v_min_i32_e32 v5, v5, v39
	ds_bpermute_b32 v16, v30, v5
	s_waitcnt lgkmcnt(0)
	v_min_i32_e32 v5, v16, v5
	ds_bpermute_b32 v16, v31, v5
	s_waitcnt lgkmcnt(0)
	;; [unrolled: 3-line block ×6, first 2 shown]
	v_cmp_le_i32_e32 vcc_lo, s5, v40
	s_or_b32 s8, vcc_lo, s8
	s_delay_alu instid0(SALU_CYCLE_1)
	s_and_not1_b32 exec_lo, exec_lo, s8
	s_cbranch_execz .LBB148_40
.LBB148_11:                             ; =>This Loop Header: Depth=1
                                        ;     Child Loop BB148_14 Depth 2
	v_add_nc_u32_e32 v15, v15, v19
	v_mov_b32_e32 v39, s5
	v_mov_b32_e32 v41, v18
	s_mov_b32 s10, exec_lo
	ds_store_b8 v17, v6 offset:16384
	ds_store_b128 v29, v[0:3]
	ds_store_b128 v29, v[0:3] offset:64
	ds_store_b128 v29, v[0:3] offset:128
	;; [unrolled: 1-line block ×3, first 2 shown]
	s_waitcnt lgkmcnt(0)
	buffer_gl0_inv
	v_cmpx_lt_i32_e64 v15, v18
	s_cbranch_execz .LBB148_19
; %bb.12:                               ;   in Loop: Header=BB148_11 Depth=1
	v_mul_lo_u32 v5, v40, s6
	v_mov_b32_e32 v39, s5
	v_mov_b32_e32 v41, v18
	s_mov_b32 s11, 0
	s_branch .LBB148_14
.LBB148_13:                             ;   in Loop: Header=BB148_14 Depth=2
	s_or_b32 exec_lo, exec_lo, s23
	v_add_nc_u32_e32 v15, 4, v15
	s_xor_b32 s23, vcc_lo, -1
	s_delay_alu instid0(VALU_DEP_1) | instskip(NEXT) | instid1(VALU_DEP_1)
	v_cmp_ge_i32_e64 s0, v15, v18
	s_or_b32 s0, s23, s0
	s_delay_alu instid0(SALU_CYCLE_1) | instskip(NEXT) | instid1(SALU_CYCLE_1)
	s_and_b32 s0, exec_lo, s0
	s_or_b32 s11, s0, s11
	s_delay_alu instid0(SALU_CYCLE_1)
	s_and_not1_b32 exec_lo, exec_lo, s11
	s_cbranch_execz .LBB148_18
.LBB148_14:                             ;   Parent Loop BB148_11 Depth=1
                                        ; =>  This Inner Loop Header: Depth=2
	v_ashrrev_i32_e32 v16, 31, v15
	s_delay_alu instid0(VALU_DEP_1) | instskip(NEXT) | instid1(VALU_DEP_1)
	v_lshlrev_b64 v[42:43], 2, v[15:16]
	v_add_co_u32 v42, vcc_lo, s16, v42
	s_delay_alu instid0(VALU_DEP_2) | instskip(SKIP_3) | instid1(VALU_DEP_1)
	v_add_co_ci_u32_e32 v43, vcc_lo, s17, v43, vcc_lo
	global_load_b32 v42, v[42:43], off
	s_waitcnt vmcnt(0)
	v_subrev_nc_u32_e32 v42, s7, v42
	v_sub_nc_u32_e32 v43, 0, v42
	s_delay_alu instid0(VALU_DEP_1) | instskip(NEXT) | instid1(VALU_DEP_1)
	v_max_i32_e32 v43, v42, v43
	v_mul_hi_u32 v44, v43, v37
	s_delay_alu instid0(VALU_DEP_1) | instskip(NEXT) | instid1(VALU_DEP_1)
	v_mul_lo_u32 v45, v44, s21
	v_sub_nc_u32_e32 v43, v43, v45
	v_add_nc_u32_e32 v45, 1, v44
	s_delay_alu instid0(VALU_DEP_2) | instskip(SKIP_1) | instid1(VALU_DEP_2)
	v_subrev_nc_u32_e32 v46, s21, v43
	v_cmp_le_u32_e32 vcc_lo, s21, v43
	v_dual_cndmask_b32 v44, v44, v45 :: v_dual_cndmask_b32 v43, v43, v46
	v_ashrrev_i32_e32 v45, 31, v42
	s_delay_alu instid0(VALU_DEP_2) | instskip(NEXT) | instid1(VALU_DEP_3)
	v_add_nc_u32_e32 v46, 1, v44
	v_cmp_le_u32_e32 vcc_lo, s21, v43
	s_delay_alu instid0(VALU_DEP_3) | instskip(NEXT) | instid1(VALU_DEP_3)
	v_xor_b32_e32 v45, s9, v45
	v_cndmask_b32_e32 v43, v44, v46, vcc_lo
	s_delay_alu instid0(VALU_DEP_1) | instskip(NEXT) | instid1(VALU_DEP_1)
	v_xor_b32_e32 v43, v43, v45
	v_sub_nc_u32_e32 v44, v43, v45
	v_mov_b32_e32 v43, v41
	s_delay_alu instid0(VALU_DEP_2) | instskip(SKIP_1) | instid1(VALU_DEP_1)
	v_cmp_eq_u32_e32 vcc_lo, v44, v40
	v_cmp_ne_u32_e64 s0, v44, v40
	s_and_saveexec_b32 s23, s0
	s_delay_alu instid0(SALU_CYCLE_1)
	s_xor_b32 s0, exec_lo, s23
; %bb.15:                               ;   in Loop: Header=BB148_14 Depth=2
	v_min_i32_e32 v39, v44, v39
                                        ; implicit-def: $vgpr42
                                        ; implicit-def: $vgpr43
; %bb.16:                               ;   in Loop: Header=BB148_14 Depth=2
	s_or_saveexec_b32 s23, s0
	v_mov_b32_e32 v41, v15
	s_xor_b32 exec_lo, exec_lo, s23
	s_cbranch_execz .LBB148_13
; %bb.17:                               ;   in Loop: Header=BB148_14 Depth=2
	v_lshlrev_b64 v[44:45], 4, v[15:16]
	v_sub_nc_u32_e32 v16, v42, v5
	v_mov_b32_e32 v41, v43
	s_delay_alu instid0(VALU_DEP_2) | instskip(NEXT) | instid1(VALU_DEP_4)
	v_add_lshl_u32 v16, v20, v16, 4
	v_add_co_u32 v44, s0, s12, v44
	s_delay_alu instid0(VALU_DEP_1)
	v_add_co_ci_u32_e64 v45, s0, s13, v45, s0
	global_load_b128 v[44:47], v[44:45], off
	ds_store_b8 v17, v38 offset:16384
	s_waitcnt vmcnt(0)
	ds_store_2addr_b64 v16, v[44:45], v[46:47] offset1:1
	s_branch .LBB148_13
.LBB148_18:                             ;   in Loop: Header=BB148_11 Depth=1
	s_or_b32 exec_lo, exec_lo, s11
.LBB148_19:                             ;   in Loop: Header=BB148_11 Depth=1
	s_delay_alu instid0(SALU_CYCLE_1)
	s_or_b32 exec_lo, exec_lo, s10
	ds_bpermute_b32 v5, v21, v41
	s_waitcnt lgkmcnt(0)
	buffer_gl0_inv
	ds_load_u8 v16, v17 offset:16384
	s_mov_b32 s0, exec_lo
	v_mov_b32_e32 v42, 0
	v_min_i32_e32 v5, v5, v41
	ds_bpermute_b32 v15, v22, v5
	s_waitcnt lgkmcnt(0)
	v_min_i32_e32 v5, v15, v5
	ds_bpermute_b32 v15, v23, v5
	v_and_b32_e32 v5, 1, v16
	s_delay_alu instid0(VALU_DEP_1)
	v_cmpx_eq_u32_e32 1, v5
	s_cbranch_execz .LBB148_10
; %bb.20:                               ;   in Loop: Header=BB148_11 Depth=1
	v_ashrrev_i32_e32 v5, 31, v4
	v_mul_lo_u32 v16, s19, v4
	v_mad_u64_u32 v[41:42], null, s20, v4, 0
	v_add_nc_u32_e32 v47, s18, v40
	s_delay_alu instid0(VALU_DEP_4) | instskip(NEXT) | instid1(VALU_DEP_1)
	v_mul_lo_u32 v43, s20, v5
	v_add3_u32 v42, v42, v43, v16
	v_lshlrev_b64 v[43:44], 2, v[4:5]
	s_delay_alu instid0(VALU_DEP_2) | instskip(NEXT) | instid1(VALU_DEP_2)
	v_lshlrev_b64 v[45:46], 4, v[41:42]
	v_add_co_u32 v42, vcc_lo, s14, v43
	s_delay_alu instid0(VALU_DEP_3) | instskip(NEXT) | instid1(VALU_DEP_3)
	v_add_co_ci_u32_e32 v43, vcc_lo, s15, v44, vcc_lo
	v_add_co_u32 v40, vcc_lo, v24, v45
	s_delay_alu instid0(VALU_DEP_4)
	v_add_co_ci_u32_e32 v41, vcc_lo, v25, v46, vcc_lo
	v_add_co_u32 v5, vcc_lo, v26, v45
	v_add_co_ci_u32_e32 v16, vcc_lo, v27, v46, vcc_lo
	global_store_b32 v[42:43], v47, off
	s_and_saveexec_b32 s10, s22
	s_cbranch_execz .LBB148_24
; %bb.21:                               ;   in Loop: Header=BB148_11 Depth=1
	s_and_b32 vcc_lo, exec_lo, s4
	s_cbranch_vccz .LBB148_35
; %bb.22:                               ;   in Loop: Header=BB148_11 Depth=1
	ds_load_2addr_b64 v[42:45], v29 offset1:1
	v_add_co_u32 v46, vcc_lo, v40, v7
	v_add_co_ci_u32_e32 v47, vcc_lo, v41, v8, vcc_lo
	s_waitcnt lgkmcnt(0)
	global_store_b128 v[46:47], v[42:45], off
	s_cbranch_execnz .LBB148_24
.LBB148_23:                             ;   in Loop: Header=BB148_11 Depth=1
	ds_load_2addr_b64 v[42:45], v29 offset1:1
	v_lshlrev_b32_e32 v46, 4, v19
	s_delay_alu instid0(VALU_DEP_1)
	v_add_co_u32 v46, vcc_lo, v5, v46
	v_add_co_ci_u32_e32 v47, vcc_lo, 0, v16, vcc_lo
	s_waitcnt lgkmcnt(0)
	global_store_b128 v[46:47], v[42:45], off
.LBB148_24:                             ;   in Loop: Header=BB148_11 Depth=1
	s_or_b32 exec_lo, exec_lo, s10
	s_and_saveexec_b32 s10, s1
	s_cbranch_execz .LBB148_28
; %bb.25:                               ;   in Loop: Header=BB148_11 Depth=1
	s_and_not1_b32 vcc_lo, exec_lo, s4
	s_cbranch_vccnz .LBB148_36
; %bb.26:                               ;   in Loop: Header=BB148_11 Depth=1
	ds_load_2addr_b64 v[42:45], v34 offset1:1
	v_add_co_u32 v46, vcc_lo, v40, v9
	v_add_co_ci_u32_e32 v47, vcc_lo, v41, v10, vcc_lo
	s_waitcnt lgkmcnt(0)
	global_store_b128 v[46:47], v[42:45], off
	s_cbranch_execnz .LBB148_28
.LBB148_27:                             ;   in Loop: Header=BB148_11 Depth=1
	ds_load_2addr_b64 v[42:45], v34 offset1:1
	v_lshlrev_b32_e32 v46, 4, v19
	s_delay_alu instid0(VALU_DEP_1)
	v_add_co_u32 v46, vcc_lo, v5, v46
	v_add_co_ci_u32_e32 v47, vcc_lo, 0, v16, vcc_lo
	s_waitcnt lgkmcnt(0)
	global_store_b128 v[46:47], v[42:45], off offset:64
.LBB148_28:                             ;   in Loop: Header=BB148_11 Depth=1
	s_or_b32 exec_lo, exec_lo, s10
	s_and_saveexec_b32 s10, s2
	s_cbranch_execz .LBB148_32
; %bb.29:                               ;   in Loop: Header=BB148_11 Depth=1
	s_and_not1_b32 vcc_lo, exec_lo, s4
	s_cbranch_vccnz .LBB148_37
; %bb.30:                               ;   in Loop: Header=BB148_11 Depth=1
	ds_load_2addr_b64 v[42:45], v35 offset1:1
	v_add_co_u32 v46, vcc_lo, v40, v11
	v_add_co_ci_u32_e32 v47, vcc_lo, v41, v12, vcc_lo
	s_waitcnt lgkmcnt(0)
	global_store_b128 v[46:47], v[42:45], off
	s_cbranch_execnz .LBB148_32
.LBB148_31:                             ;   in Loop: Header=BB148_11 Depth=1
	ds_load_2addr_b64 v[42:45], v35 offset1:1
	v_lshlrev_b32_e32 v46, 4, v19
	s_delay_alu instid0(VALU_DEP_1)
	v_add_co_u32 v46, vcc_lo, v5, v46
	v_add_co_ci_u32_e32 v47, vcc_lo, 0, v16, vcc_lo
	s_waitcnt lgkmcnt(0)
	global_store_b128 v[46:47], v[42:45], off offset:128
.LBB148_32:                             ;   in Loop: Header=BB148_11 Depth=1
	s_or_b32 exec_lo, exec_lo, s10
	v_mov_b32_e32 v42, 1
	s_and_saveexec_b32 s10, s3
	s_cbranch_execz .LBB148_9
; %bb.33:                               ;   in Loop: Header=BB148_11 Depth=1
	s_and_not1_b32 vcc_lo, exec_lo, s4
	s_cbranch_vccnz .LBB148_38
; %bb.34:                               ;   in Loop: Header=BB148_11 Depth=1
	ds_load_2addr_b64 v[42:45], v36 offset1:1
	v_add_co_u32 v40, vcc_lo, v40, v13
	v_add_co_ci_u32_e32 v41, vcc_lo, v41, v14, vcc_lo
	s_mov_b32 s11, 1
	s_waitcnt lgkmcnt(0)
	global_store_b128 v[40:41], v[42:45], off
	s_cbranch_execnz .LBB148_8
	s_branch .LBB148_39
.LBB148_35:                             ;   in Loop: Header=BB148_11 Depth=1
	s_branch .LBB148_23
.LBB148_36:                             ;   in Loop: Header=BB148_11 Depth=1
	s_branch .LBB148_27
.LBB148_37:                             ;   in Loop: Header=BB148_11 Depth=1
	s_branch .LBB148_31
.LBB148_38:                             ;   in Loop: Header=BB148_11 Depth=1
                                        ; implicit-def: $sgpr11
.LBB148_39:                             ;   in Loop: Header=BB148_11 Depth=1
	ds_load_2addr_b64 v[40:43], v36 offset1:1
	v_lshlrev_b32_e32 v44, 4, v19
	s_mov_b32 s11, 1
	s_delay_alu instid0(VALU_DEP_1)
	v_add_co_u32 v44, vcc_lo, v5, v44
	v_add_co_ci_u32_e32 v45, vcc_lo, 0, v16, vcc_lo
	s_waitcnt lgkmcnt(0)
	global_store_b128 v[44:45], v[40:43], off offset:192
	s_branch .LBB148_8
.LBB148_40:
	s_endpgm
	.section	.rodata,"a",@progbits
	.p2align	6, 0x0
	.amdhsa_kernel _ZN9rocsparseL42csr2bsr_wavefront_per_row_multipass_kernelILj256ELj64ELj16E21rocsparse_complex_numIdEiiEEv20rocsparse_direction_T4_S4_S4_S4_S4_21rocsparse_index_base_PKT2_PKT3_PKS4_S5_PS6_PS9_PS4_
		.amdhsa_group_segment_fixed_size 16392
		.amdhsa_private_segment_fixed_size 0
		.amdhsa_kernarg_size 88
		.amdhsa_user_sgpr_count 15
		.amdhsa_user_sgpr_dispatch_ptr 0
		.amdhsa_user_sgpr_queue_ptr 0
		.amdhsa_user_sgpr_kernarg_segment_ptr 1
		.amdhsa_user_sgpr_dispatch_id 0
		.amdhsa_user_sgpr_private_segment_size 0
		.amdhsa_wavefront_size32 1
		.amdhsa_uses_dynamic_stack 0
		.amdhsa_enable_private_segment 0
		.amdhsa_system_sgpr_workgroup_id_x 1
		.amdhsa_system_sgpr_workgroup_id_y 0
		.amdhsa_system_sgpr_workgroup_id_z 0
		.amdhsa_system_sgpr_workgroup_info 0
		.amdhsa_system_vgpr_workitem_id 0
		.amdhsa_next_free_vgpr 48
		.amdhsa_next_free_sgpr 24
		.amdhsa_reserve_vcc 1
		.amdhsa_float_round_mode_32 0
		.amdhsa_float_round_mode_16_64 0
		.amdhsa_float_denorm_mode_32 3
		.amdhsa_float_denorm_mode_16_64 3
		.amdhsa_dx10_clamp 1
		.amdhsa_ieee_mode 1
		.amdhsa_fp16_overflow 0
		.amdhsa_workgroup_processor_mode 1
		.amdhsa_memory_ordered 1
		.amdhsa_forward_progress 0
		.amdhsa_shared_vgpr_count 0
		.amdhsa_exception_fp_ieee_invalid_op 0
		.amdhsa_exception_fp_denorm_src 0
		.amdhsa_exception_fp_ieee_div_zero 0
		.amdhsa_exception_fp_ieee_overflow 0
		.amdhsa_exception_fp_ieee_underflow 0
		.amdhsa_exception_fp_ieee_inexact 0
		.amdhsa_exception_int_div_zero 0
	.end_amdhsa_kernel
	.section	.text._ZN9rocsparseL42csr2bsr_wavefront_per_row_multipass_kernelILj256ELj64ELj16E21rocsparse_complex_numIdEiiEEv20rocsparse_direction_T4_S4_S4_S4_S4_21rocsparse_index_base_PKT2_PKT3_PKS4_S5_PS6_PS9_PS4_,"axG",@progbits,_ZN9rocsparseL42csr2bsr_wavefront_per_row_multipass_kernelILj256ELj64ELj16E21rocsparse_complex_numIdEiiEEv20rocsparse_direction_T4_S4_S4_S4_S4_21rocsparse_index_base_PKT2_PKT3_PKS4_S5_PS6_PS9_PS4_,comdat
.Lfunc_end148:
	.size	_ZN9rocsparseL42csr2bsr_wavefront_per_row_multipass_kernelILj256ELj64ELj16E21rocsparse_complex_numIdEiiEEv20rocsparse_direction_T4_S4_S4_S4_S4_21rocsparse_index_base_PKT2_PKT3_PKS4_S5_PS6_PS9_PS4_, .Lfunc_end148-_ZN9rocsparseL42csr2bsr_wavefront_per_row_multipass_kernelILj256ELj64ELj16E21rocsparse_complex_numIdEiiEEv20rocsparse_direction_T4_S4_S4_S4_S4_21rocsparse_index_base_PKT2_PKT3_PKS4_S5_PS6_PS9_PS4_
                                        ; -- End function
	.section	.AMDGPU.csdata,"",@progbits
; Kernel info:
; codeLenInByte = 2108
; NumSgprs: 26
; NumVgprs: 48
; ScratchSize: 0
; MemoryBound: 0
; FloatMode: 240
; IeeeMode: 1
; LDSByteSize: 16392 bytes/workgroup (compile time only)
; SGPRBlocks: 3
; VGPRBlocks: 5
; NumSGPRsForWavesPerEU: 26
; NumVGPRsForWavesPerEU: 48
; Occupancy: 14
; WaveLimiterHint : 0
; COMPUTE_PGM_RSRC2:SCRATCH_EN: 0
; COMPUTE_PGM_RSRC2:USER_SGPR: 15
; COMPUTE_PGM_RSRC2:TRAP_HANDLER: 0
; COMPUTE_PGM_RSRC2:TGID_X_EN: 1
; COMPUTE_PGM_RSRC2:TGID_Y_EN: 0
; COMPUTE_PGM_RSRC2:TGID_Z_EN: 0
; COMPUTE_PGM_RSRC2:TIDIG_COMP_CNT: 0
	.section	.text._ZN9rocsparseL42csr2bsr_wavefront_per_row_multipass_kernelILj256ELj32ELj16E21rocsparse_complex_numIdEiiEEv20rocsparse_direction_T4_S4_S4_S4_S4_21rocsparse_index_base_PKT2_PKT3_PKS4_S5_PS6_PS9_PS4_,"axG",@progbits,_ZN9rocsparseL42csr2bsr_wavefront_per_row_multipass_kernelILj256ELj32ELj16E21rocsparse_complex_numIdEiiEEv20rocsparse_direction_T4_S4_S4_S4_S4_21rocsparse_index_base_PKT2_PKT3_PKS4_S5_PS6_PS9_PS4_,comdat
	.globl	_ZN9rocsparseL42csr2bsr_wavefront_per_row_multipass_kernelILj256ELj32ELj16E21rocsparse_complex_numIdEiiEEv20rocsparse_direction_T4_S4_S4_S4_S4_21rocsparse_index_base_PKT2_PKT3_PKS4_S5_PS6_PS9_PS4_ ; -- Begin function _ZN9rocsparseL42csr2bsr_wavefront_per_row_multipass_kernelILj256ELj32ELj16E21rocsparse_complex_numIdEiiEEv20rocsparse_direction_T4_S4_S4_S4_S4_21rocsparse_index_base_PKT2_PKT3_PKS4_S5_PS6_PS9_PS4_
	.p2align	8
	.type	_ZN9rocsparseL42csr2bsr_wavefront_per_row_multipass_kernelILj256ELj32ELj16E21rocsparse_complex_numIdEiiEEv20rocsparse_direction_T4_S4_S4_S4_S4_21rocsparse_index_base_PKT2_PKT3_PKS4_S5_PS6_PS9_PS4_,@function
_ZN9rocsparseL42csr2bsr_wavefront_per_row_multipass_kernelILj256ELj32ELj16E21rocsparse_complex_numIdEiiEEv20rocsparse_direction_T4_S4_S4_S4_S4_21rocsparse_index_base_PKT2_PKT3_PKS4_S5_PS6_PS9_PS4_: ; @_ZN9rocsparseL42csr2bsr_wavefront_per_row_multipass_kernelILj256ELj32ELj16E21rocsparse_complex_numIdEiiEEv20rocsparse_direction_T4_S4_S4_S4_S4_21rocsparse_index_base_PKT2_PKT3_PKS4_S5_PS6_PS9_PS4_
; %bb.0:
	s_clause 0x1
	s_load_b128 s[8:11], s[0:1], 0xc
	s_load_b64 s[4:5], s[0:1], 0x0
	v_lshrrev_b32_e32 v25, 5, v0
	v_bfe_u32 v1, v0, 1, 4
	s_load_b64 s[6:7], s[0:1], 0x28
	v_dual_mov_b32 v26, 0 :: v_dual_mov_b32 v23, 0
	s_delay_alu instid0(VALU_DEP_3) | instskip(SKIP_1) | instid1(VALU_DEP_1)
	v_lshl_or_b32 v2, s15, 3, v25
	s_waitcnt lgkmcnt(0)
	v_mad_u64_u32 v[3:4], null, v2, s10, v[1:2]
	v_cmp_gt_i32_e32 vcc_lo, s10, v1
	s_delay_alu instid0(VALU_DEP_2) | instskip(NEXT) | instid1(VALU_DEP_1)
	v_cmp_gt_i32_e64 s2, s5, v3
	s_and_b32 s3, vcc_lo, s2
	s_delay_alu instid0(SALU_CYCLE_1)
	s_and_saveexec_b32 s5, s3
	s_cbranch_execz .LBB149_2
; %bb.1:
	v_ashrrev_i32_e32 v4, 31, v3
	s_delay_alu instid0(VALU_DEP_1) | instskip(NEXT) | instid1(VALU_DEP_1)
	v_lshlrev_b64 v[4:5], 2, v[3:4]
	v_add_co_u32 v4, s2, s6, v4
	s_delay_alu instid0(VALU_DEP_1)
	v_add_co_ci_u32_e64 v5, s2, s7, v5, s2
	global_load_b32 v4, v[4:5], off
	s_waitcnt vmcnt(0)
	v_subrev_nc_u32_e32 v23, s11, v4
.LBB149_2:
	s_or_b32 exec_lo, exec_lo, s5
	s_and_saveexec_b32 s5, s3
	s_cbranch_execz .LBB149_4
; %bb.3:
	v_ashrrev_i32_e32 v4, 31, v3
	s_delay_alu instid0(VALU_DEP_1) | instskip(NEXT) | instid1(VALU_DEP_1)
	v_lshlrev_b64 v[3:4], 2, v[3:4]
	v_add_co_u32 v3, s2, s6, v3
	s_delay_alu instid0(VALU_DEP_1)
	v_add_co_ci_u32_e64 v4, s2, s7, v4, s2
	global_load_b32 v3, v[3:4], off offset:4
	s_waitcnt vmcnt(0)
	v_subrev_nc_u32_e32 v26, s11, v3
.LBB149_4:
	s_or_b32 exec_lo, exec_lo, s5
	s_load_b32 s22, s[0:1], 0x38
	v_mov_b32_e32 v4, 0
	s_mov_b32 s3, exec_lo
	v_cmpx_gt_i32_e64 s8, v2
	s_cbranch_execz .LBB149_6
; %bb.5:
	s_load_b64 s[6:7], s[0:1], 0x48
	v_ashrrev_i32_e32 v3, 31, v2
	s_delay_alu instid0(VALU_DEP_1) | instskip(SKIP_1) | instid1(VALU_DEP_1)
	v_lshlrev_b64 v[2:3], 2, v[2:3]
	s_waitcnt lgkmcnt(0)
	v_add_co_u32 v2, s2, s6, v2
	s_delay_alu instid0(VALU_DEP_1)
	v_add_co_ci_u32_e64 v3, s2, s7, v3, s2
	global_load_b32 v2, v[2:3], off
	s_waitcnt vmcnt(0)
	v_subrev_nc_u32_e32 v4, s22, v2
.LBB149_6:
	s_or_b32 exec_lo, exec_lo, s3
	s_cmp_lt_i32 s9, 1
	s_cbranch_scc1 .LBB149_60
; %bb.7:
	v_mbcnt_lo_u32_b32 v2, -1, 0
	s_clause 0x3
	s_load_b64 s[2:3], s[0:1], 0x40
	s_load_b64 s[16:17], s[0:1], 0x50
	;; [unrolled: 1-line block ×4, first 2 shown]
	v_mul_lo_u32 v5, v1, s10
	v_dual_mov_b32 v6, 0 :: v_dual_and_b32 v27, 1, v0
	v_xor_b32_e32 v3, 1, v2
	s_mov_b32 s12, 0
	v_dual_mov_b32 v40, 0x7c :: v_dual_lshlrev_b32 v7, 4, v1
	s_mov_b32 s14, s12
	s_delay_alu instid0(VALU_DEP_2)
	v_cmp_gt_i32_e64 s0, 32, v3
	s_mov_b32 s15, s12
	s_cmp_lg_u32 s4, 0
	v_lshl_or_b32 v29, v2, 2, 4
	s_cselect_b32 s24, -1, 0
	v_cndmask_b32_e64 v0, v2, v3, s0
	v_xor_b32_e32 v3, 16, v2
	s_abs_i32 s25, s10
	s_waitcnt lgkmcnt(0)
	v_add_co_u32 v31, s0, s2, v7
	v_lshlrev_b32_e32 v30, 2, v0
	v_lshlrev_b64 v[0:1], 4, v[5:6]
	v_add_co_ci_u32_e64 v32, null, s3, 0, s0
	v_xor_b32_e32 v5, 2, v2
	s_lshl_b32 s13, s10, 1
	s_sub_i32 s6, 0, s25
	s_delay_alu instid0(VALU_DEP_3) | instskip(NEXT) | instid1(VALU_DEP_1)
	v_add_co_u32 v33, s0, s2, v0
	v_add_co_ci_u32_e64 v34, s0, s3, v1, s0
	v_xor_b32_e32 v0, 8, v2
	v_cmp_gt_i32_e64 s0, 32, v3
	v_lshl_or_b32 v28, v25, 8, v7
	v_lshlrev_b32_e32 v50, 4, v27
	v_mov_b32_e32 v52, 0
	s_mul_hi_u32 s8, s10, s10
	v_cndmask_b32_e64 v1, v2, v3, s0
	v_cmp_gt_i32_e64 s0, 32, v0
	v_xor_b32_e32 v3, 4, v2
	v_or_b32_e32 v7, v28, v27
	s_delay_alu instid0(VALU_DEP_4) | instskip(NEXT) | instid1(VALU_DEP_4)
	v_dual_mov_b32 v10, v6 :: v_dual_lshlrev_b32 v35, 2, v1
	v_cndmask_b32_e64 v0, v2, v0, s0
	s_delay_alu instid0(VALU_DEP_4)
	v_cmp_gt_i32_e64 s0, 32, v3
	v_or_b32_e32 v1, 4, v27
	v_mov_b32_e32 v12, v6
	s_mul_i32 s23, s10, s10
	v_lshlrev_b32_e32 v37, 2, v0
	v_or_b32_e32 v0, 2, v27
	v_cndmask_b32_e64 v3, v2, v3, s0
	v_cmp_gt_i32_e64 s0, 32, v5
	v_cmp_gt_u32_e64 s2, s10, v1
	v_or_b32_e32 v1, 8, v27
	v_cmp_gt_u32_e64 s1, s10, v0
	v_cvt_f32_u32_e32 v0, s25
	v_cndmask_b32_e64 v2, v2, v5, s0
	v_mul_lo_u32 v5, v27, s10
	v_dual_mov_b32 v49, 1 :: v_dual_lshlrev_b32 v38, 2, v3
	s_delay_alu instid0(VALU_DEP_4) | instskip(NEXT) | instid1(VALU_DEP_3)
	v_rcp_iflag_f32_e32 v0, v0
	v_dual_mov_b32 v14, v6 :: v_dual_lshlrev_b32 v39, 2, v2
	v_mov_b32_e32 v16, v6
	v_or_b32_e32 v2, 6, v27
	v_add_nc_u32_e32 v9, s13, v5
	v_cmp_gt_u32_e64 s4, s10, v1
	v_or_b32_e32 v1, 12, v27
	v_mov_b32_e32 v18, v6
	v_cmp_gt_u32_e64 s3, s10, v2
	s_delay_alu instid0(TRANS32_DEP_1) | instskip(SKIP_3) | instid1(VALU_DEP_4)
	v_dual_mul_f32 v0, 0x4f7ffffe, v0 :: v_dual_add_nc_u32 v11, s13, v9
	v_or_b32_e32 v2, 10, v27
	v_mov_b32_e32 v20, v6
	v_cmp_gt_u32_e64 s0, s10, v27
	v_cvt_u32_f32_e32 v0, v0
	v_add_nc_u32_e32 v13, s13, v11
	v_cmp_gt_u32_e64 s5, s10, v2
	v_mov_b32_e32 v22, v6
	v_or_b32_e32 v2, 14, v27
	v_mul_lo_u32 v3, s6, v0
	v_add_nc_u32_e32 v15, s13, v13
	v_cmp_gt_u32_e64 s6, s10, v1
	v_lshlrev_b64 v[9:10], 4, v[9:10]
	v_cmp_gt_u32_e64 s7, s10, v2
	v_lshlrev_b64 v[11:12], 4, v[11:12]
	v_add_nc_u32_e32 v17, s13, v15
	v_lshlrev_b64 v[13:14], 4, v[13:14]
	v_mul_hi_u32 v1, v0, v3
	v_lshlrev_b64 v[15:16], 4, v[15:16]
	s_and_b32 s26, s0, vcc_lo
	v_add_nc_u32_e32 v19, s13, v17
	v_lshlrev_b64 v[17:18], 4, v[17:18]
	s_and_b32 s1, vcc_lo, s1
	s_and_b32 s2, vcc_lo, s2
	s_and_b32 s3, vcc_lo, s3
	v_add_nc_u32_e32 v21, s13, v19
	s_mov_b32 s13, s12
	v_lshlrev_b32_e32 v36, 4, v7
	v_add_nc_u32_e32 v48, v0, v1
	v_dual_mov_b32 v0, s12 :: v_dual_mov_b32 v3, s15
	v_mov_b32_e32 v2, s14
	v_lshlrev_b64 v[7:8], 4, v[5:6]
	v_lshlrev_b64 v[19:20], 4, v[19:20]
	;; [unrolled: 1-line block ×3, first 2 shown]
	v_or_b32_e32 v41, 32, v36
	v_or_b32_e32 v42, 64, v36
	;; [unrolled: 1-line block ×7, first 2 shown]
	v_mov_b32_e32 v1, s13
	s_and_b32 s4, vcc_lo, s4
	s_and_b32 s5, vcc_lo, s5
	s_and_b32 s6, vcc_lo, s6
	s_and_b32 s7, vcc_lo, s7
	s_ashr_i32 s13, s10, 31
	s_branch .LBB149_11
.LBB149_8:                              ;   in Loop: Header=BB149_11 Depth=1
	v_mov_b32_e32 v54, s15
.LBB149_9:                              ;   in Loop: Header=BB149_11 Depth=1
	s_or_b32 exec_lo, exec_lo, s14
.LBB149_10:                             ;   in Loop: Header=BB149_11 Depth=1
	s_delay_alu instid0(SALU_CYCLE_1)
	s_or_b32 exec_lo, exec_lo, s0
	ds_bpermute_b32 v5, v35, v51
	v_add_nc_u32_e32 v4, v54, v4
	s_waitcnt lgkmcnt(0)
	s_waitcnt_vscnt null, 0x0
	buffer_gl0_inv
	buffer_gl0_inv
	v_min_i32_e32 v5, v5, v51
	ds_bpermute_b32 v24, v37, v5
	s_waitcnt lgkmcnt(0)
	v_min_i32_e32 v5, v24, v5
	ds_bpermute_b32 v24, v38, v5
	s_waitcnt lgkmcnt(0)
	;; [unrolled: 3-line block ×5, first 2 shown]
	v_cmp_le_i32_e32 vcc_lo, s9, v52
	s_or_b32 s12, vcc_lo, s12
	s_delay_alu instid0(SALU_CYCLE_1)
	s_and_not1_b32 exec_lo, exec_lo, s12
	s_cbranch_execz .LBB149_60
.LBB149_11:                             ; =>This Loop Header: Depth=1
                                        ;     Child Loop BB149_14 Depth 2
	v_add_nc_u32_e32 v23, v23, v27
	v_mov_b32_e32 v51, s9
	v_mov_b32_e32 v53, v26
	s_mov_b32 s14, exec_lo
	ds_store_b8 v25, v6 offset:32768
	ds_store_b128 v36, v[0:3]
	ds_store_b128 v36, v[0:3] offset:32
	ds_store_b128 v36, v[0:3] offset:64
	;; [unrolled: 1-line block ×7, first 2 shown]
	s_waitcnt lgkmcnt(0)
	buffer_gl0_inv
	v_cmpx_lt_i32_e64 v23, v26
	s_cbranch_execz .LBB149_19
; %bb.12:                               ;   in Loop: Header=BB149_11 Depth=1
	v_mul_lo_u32 v5, v52, s10
	v_mov_b32_e32 v51, s9
	v_mov_b32_e32 v53, v26
	s_mov_b32 s15, 0
	s_branch .LBB149_14
.LBB149_13:                             ;   in Loop: Header=BB149_14 Depth=2
	s_or_b32 exec_lo, exec_lo, s27
	v_add_nc_u32_e32 v23, 2, v23
	s_xor_b32 s27, vcc_lo, -1
	s_delay_alu instid0(VALU_DEP_1) | instskip(NEXT) | instid1(VALU_DEP_1)
	v_cmp_ge_i32_e64 s0, v23, v26
	s_or_b32 s0, s27, s0
	s_delay_alu instid0(SALU_CYCLE_1) | instskip(NEXT) | instid1(SALU_CYCLE_1)
	s_and_b32 s0, exec_lo, s0
	s_or_b32 s15, s0, s15
	s_delay_alu instid0(SALU_CYCLE_1)
	s_and_not1_b32 exec_lo, exec_lo, s15
	s_cbranch_execz .LBB149_18
.LBB149_14:                             ;   Parent Loop BB149_11 Depth=1
                                        ; =>  This Inner Loop Header: Depth=2
	v_ashrrev_i32_e32 v24, 31, v23
	s_delay_alu instid0(VALU_DEP_1) | instskip(NEXT) | instid1(VALU_DEP_1)
	v_lshlrev_b64 v[54:55], 2, v[23:24]
	v_add_co_u32 v54, vcc_lo, s20, v54
	s_delay_alu instid0(VALU_DEP_2) | instskip(SKIP_3) | instid1(VALU_DEP_1)
	v_add_co_ci_u32_e32 v55, vcc_lo, s21, v55, vcc_lo
	global_load_b32 v54, v[54:55], off
	s_waitcnt vmcnt(0)
	v_subrev_nc_u32_e32 v54, s11, v54
	v_sub_nc_u32_e32 v55, 0, v54
	s_delay_alu instid0(VALU_DEP_1) | instskip(NEXT) | instid1(VALU_DEP_1)
	v_max_i32_e32 v55, v54, v55
	v_mul_hi_u32 v56, v55, v48
	s_delay_alu instid0(VALU_DEP_1) | instskip(NEXT) | instid1(VALU_DEP_1)
	v_mul_lo_u32 v57, v56, s25
	v_sub_nc_u32_e32 v55, v55, v57
	v_add_nc_u32_e32 v57, 1, v56
	s_delay_alu instid0(VALU_DEP_2) | instskip(SKIP_1) | instid1(VALU_DEP_2)
	v_subrev_nc_u32_e32 v58, s25, v55
	v_cmp_le_u32_e32 vcc_lo, s25, v55
	v_dual_cndmask_b32 v56, v56, v57 :: v_dual_cndmask_b32 v55, v55, v58
	v_ashrrev_i32_e32 v57, 31, v54
	s_delay_alu instid0(VALU_DEP_2) | instskip(NEXT) | instid1(VALU_DEP_3)
	v_add_nc_u32_e32 v58, 1, v56
	v_cmp_le_u32_e32 vcc_lo, s25, v55
	s_delay_alu instid0(VALU_DEP_3) | instskip(NEXT) | instid1(VALU_DEP_3)
	v_xor_b32_e32 v57, s13, v57
	v_cndmask_b32_e32 v55, v56, v58, vcc_lo
	s_delay_alu instid0(VALU_DEP_1) | instskip(NEXT) | instid1(VALU_DEP_1)
	v_xor_b32_e32 v55, v55, v57
	v_sub_nc_u32_e32 v56, v55, v57
	v_mov_b32_e32 v55, v53
	s_delay_alu instid0(VALU_DEP_2) | instskip(SKIP_1) | instid1(VALU_DEP_1)
	v_cmp_eq_u32_e32 vcc_lo, v56, v52
	v_cmp_ne_u32_e64 s0, v56, v52
	s_and_saveexec_b32 s27, s0
	s_delay_alu instid0(SALU_CYCLE_1)
	s_xor_b32 s0, exec_lo, s27
; %bb.15:                               ;   in Loop: Header=BB149_14 Depth=2
	v_min_i32_e32 v51, v56, v51
                                        ; implicit-def: $vgpr54
                                        ; implicit-def: $vgpr55
; %bb.16:                               ;   in Loop: Header=BB149_14 Depth=2
	s_or_saveexec_b32 s27, s0
	v_mov_b32_e32 v53, v23
	s_xor_b32 exec_lo, exec_lo, s27
	s_cbranch_execz .LBB149_13
; %bb.17:                               ;   in Loop: Header=BB149_14 Depth=2
	v_lshlrev_b64 v[56:57], 4, v[23:24]
	v_sub_nc_u32_e32 v24, v54, v5
	v_mov_b32_e32 v53, v55
	s_delay_alu instid0(VALU_DEP_2) | instskip(NEXT) | instid1(VALU_DEP_4)
	v_add_lshl_u32 v24, v28, v24, 4
	v_add_co_u32 v56, s0, s18, v56
	s_delay_alu instid0(VALU_DEP_1)
	v_add_co_ci_u32_e64 v57, s0, s19, v57, s0
	global_load_b128 v[56:59], v[56:57], off
	ds_store_b8 v25, v49 offset:32768
	s_waitcnt vmcnt(0)
	ds_store_2addr_b64 v24, v[56:57], v[58:59] offset1:1
	s_branch .LBB149_13
.LBB149_18:                             ;   in Loop: Header=BB149_11 Depth=1
	s_or_b32 exec_lo, exec_lo, s15
.LBB149_19:                             ;   in Loop: Header=BB149_11 Depth=1
	s_delay_alu instid0(SALU_CYCLE_1)
	s_or_b32 exec_lo, exec_lo, s14
	ds_bpermute_b32 v5, v30, v53
	s_waitcnt lgkmcnt(0)
	buffer_gl0_inv
	ds_load_u8 v24, v25 offset:32768
	s_mov_b32 s0, exec_lo
	v_mov_b32_e32 v54, 0
	v_min_i32_e32 v5, v5, v53
	ds_bpermute_b32 v23, v29, v5
	s_waitcnt lgkmcnt(1)
	v_and_b32_e32 v5, 1, v24
	s_delay_alu instid0(VALU_DEP_1)
	v_cmpx_eq_u32_e32 1, v5
	s_cbranch_execz .LBB149_10
; %bb.20:                               ;   in Loop: Header=BB149_11 Depth=1
	v_ashrrev_i32_e32 v5, 31, v4
	v_mul_lo_u32 v24, s8, v4
	v_mad_u64_u32 v[53:54], null, s23, v4, 0
	v_add_nc_u32_e32 v59, s22, v52
	s_delay_alu instid0(VALU_DEP_4) | instskip(NEXT) | instid1(VALU_DEP_1)
	v_mul_lo_u32 v55, s23, v5
	v_add3_u32 v54, v54, v55, v24
	v_lshlrev_b64 v[55:56], 2, v[4:5]
	s_delay_alu instid0(VALU_DEP_2) | instskip(NEXT) | instid1(VALU_DEP_2)
	v_lshlrev_b64 v[57:58], 4, v[53:54]
	v_add_co_u32 v54, vcc_lo, s16, v55
	s_delay_alu instid0(VALU_DEP_3) | instskip(NEXT) | instid1(VALU_DEP_3)
	v_add_co_ci_u32_e32 v55, vcc_lo, s17, v56, vcc_lo
	v_add_co_u32 v52, vcc_lo, v31, v57
	s_delay_alu instid0(VALU_DEP_4)
	v_add_co_ci_u32_e32 v53, vcc_lo, v32, v58, vcc_lo
	v_add_co_u32 v5, vcc_lo, v33, v57
	v_add_co_ci_u32_e32 v24, vcc_lo, v34, v58, vcc_lo
	global_store_b32 v[54:55], v59, off
	s_and_saveexec_b32 s14, s26
	s_cbranch_execz .LBB149_24
; %bb.21:                               ;   in Loop: Header=BB149_11 Depth=1
	s_and_b32 vcc_lo, exec_lo, s24
	s_cbranch_vccz .LBB149_51
; %bb.22:                               ;   in Loop: Header=BB149_11 Depth=1
	ds_load_2addr_b64 v[54:57], v36 offset1:1
	v_add_co_u32 v58, vcc_lo, v52, v7
	v_add_co_ci_u32_e32 v59, vcc_lo, v53, v8, vcc_lo
	s_waitcnt lgkmcnt(0)
	global_store_b128 v[58:59], v[54:57], off
	s_cbranch_execnz .LBB149_24
.LBB149_23:                             ;   in Loop: Header=BB149_11 Depth=1
	ds_load_2addr_b64 v[54:57], v36 offset1:1
	v_add_co_u32 v58, vcc_lo, v5, v50
	v_add_co_ci_u32_e32 v59, vcc_lo, 0, v24, vcc_lo
	s_waitcnt lgkmcnt(0)
	global_store_b128 v[58:59], v[54:57], off
.LBB149_24:                             ;   in Loop: Header=BB149_11 Depth=1
	s_or_b32 exec_lo, exec_lo, s14
	s_and_saveexec_b32 s14, s1
	s_cbranch_execz .LBB149_28
; %bb.25:                               ;   in Loop: Header=BB149_11 Depth=1
	s_and_not1_b32 vcc_lo, exec_lo, s24
	s_cbranch_vccnz .LBB149_52
; %bb.26:                               ;   in Loop: Header=BB149_11 Depth=1
	ds_load_2addr_b64 v[54:57], v41 offset1:1
	v_add_co_u32 v58, vcc_lo, v52, v9
	v_add_co_ci_u32_e32 v59, vcc_lo, v53, v10, vcc_lo
	s_waitcnt lgkmcnt(0)
	global_store_b128 v[58:59], v[54:57], off
	s_cbranch_execnz .LBB149_28
.LBB149_27:                             ;   in Loop: Header=BB149_11 Depth=1
	ds_load_2addr_b64 v[54:57], v41 offset1:1
	v_add_co_u32 v58, vcc_lo, v5, v50
	v_add_co_ci_u32_e32 v59, vcc_lo, 0, v24, vcc_lo
	s_waitcnt lgkmcnt(0)
	global_store_b128 v[58:59], v[54:57], off offset:32
.LBB149_28:                             ;   in Loop: Header=BB149_11 Depth=1
	s_or_b32 exec_lo, exec_lo, s14
	s_and_saveexec_b32 s14, s2
	s_cbranch_execz .LBB149_32
; %bb.29:                               ;   in Loop: Header=BB149_11 Depth=1
	s_and_not1_b32 vcc_lo, exec_lo, s24
	s_cbranch_vccnz .LBB149_53
; %bb.30:                               ;   in Loop: Header=BB149_11 Depth=1
	ds_load_2addr_b64 v[54:57], v42 offset1:1
	v_add_co_u32 v58, vcc_lo, v52, v11
	v_add_co_ci_u32_e32 v59, vcc_lo, v53, v12, vcc_lo
	s_waitcnt lgkmcnt(0)
	global_store_b128 v[58:59], v[54:57], off
	s_cbranch_execnz .LBB149_32
.LBB149_31:                             ;   in Loop: Header=BB149_11 Depth=1
	ds_load_2addr_b64 v[54:57], v42 offset1:1
	v_add_co_u32 v58, vcc_lo, v5, v50
	v_add_co_ci_u32_e32 v59, vcc_lo, 0, v24, vcc_lo
	s_waitcnt lgkmcnt(0)
	global_store_b128 v[58:59], v[54:57], off offset:64
.LBB149_32:                             ;   in Loop: Header=BB149_11 Depth=1
	s_or_b32 exec_lo, exec_lo, s14
	s_and_saveexec_b32 s14, s3
	s_cbranch_execz .LBB149_36
; %bb.33:                               ;   in Loop: Header=BB149_11 Depth=1
	s_and_not1_b32 vcc_lo, exec_lo, s24
	s_cbranch_vccnz .LBB149_54
; %bb.34:                               ;   in Loop: Header=BB149_11 Depth=1
	ds_load_2addr_b64 v[54:57], v43 offset1:1
	v_add_co_u32 v58, vcc_lo, v52, v13
	v_add_co_ci_u32_e32 v59, vcc_lo, v53, v14, vcc_lo
	s_waitcnt lgkmcnt(0)
	global_store_b128 v[58:59], v[54:57], off
	s_cbranch_execnz .LBB149_36
.LBB149_35:                             ;   in Loop: Header=BB149_11 Depth=1
	ds_load_2addr_b64 v[54:57], v43 offset1:1
	v_add_co_u32 v58, vcc_lo, v5, v50
	v_add_co_ci_u32_e32 v59, vcc_lo, 0, v24, vcc_lo
	s_waitcnt lgkmcnt(0)
	global_store_b128 v[58:59], v[54:57], off offset:96
.LBB149_36:                             ;   in Loop: Header=BB149_11 Depth=1
	s_or_b32 exec_lo, exec_lo, s14
	s_and_saveexec_b32 s14, s4
	s_cbranch_execz .LBB149_40
; %bb.37:                               ;   in Loop: Header=BB149_11 Depth=1
	s_and_not1_b32 vcc_lo, exec_lo, s24
	s_cbranch_vccnz .LBB149_55
; %bb.38:                               ;   in Loop: Header=BB149_11 Depth=1
	ds_load_2addr_b64 v[54:57], v44 offset1:1
	v_add_co_u32 v58, vcc_lo, v52, v15
	v_add_co_ci_u32_e32 v59, vcc_lo, v53, v16, vcc_lo
	s_waitcnt lgkmcnt(0)
	global_store_b128 v[58:59], v[54:57], off
	s_cbranch_execnz .LBB149_40
.LBB149_39:                             ;   in Loop: Header=BB149_11 Depth=1
	ds_load_2addr_b64 v[54:57], v44 offset1:1
	v_add_co_u32 v58, vcc_lo, v5, v50
	v_add_co_ci_u32_e32 v59, vcc_lo, 0, v24, vcc_lo
	s_waitcnt lgkmcnt(0)
	global_store_b128 v[58:59], v[54:57], off offset:128
.LBB149_40:                             ;   in Loop: Header=BB149_11 Depth=1
	s_or_b32 exec_lo, exec_lo, s14
	s_and_saveexec_b32 s14, s5
	s_cbranch_execz .LBB149_44
; %bb.41:                               ;   in Loop: Header=BB149_11 Depth=1
	s_and_not1_b32 vcc_lo, exec_lo, s24
	s_cbranch_vccnz .LBB149_56
; %bb.42:                               ;   in Loop: Header=BB149_11 Depth=1
	ds_load_2addr_b64 v[54:57], v45 offset1:1
	v_add_co_u32 v58, vcc_lo, v52, v17
	v_add_co_ci_u32_e32 v59, vcc_lo, v53, v18, vcc_lo
	s_waitcnt lgkmcnt(0)
	global_store_b128 v[58:59], v[54:57], off
	s_cbranch_execnz .LBB149_44
.LBB149_43:                             ;   in Loop: Header=BB149_11 Depth=1
	ds_load_2addr_b64 v[54:57], v45 offset1:1
	v_add_co_u32 v58, vcc_lo, v5, v50
	v_add_co_ci_u32_e32 v59, vcc_lo, 0, v24, vcc_lo
	s_waitcnt lgkmcnt(0)
	global_store_b128 v[58:59], v[54:57], off offset:160
.LBB149_44:                             ;   in Loop: Header=BB149_11 Depth=1
	s_or_b32 exec_lo, exec_lo, s14
	s_and_saveexec_b32 s14, s6
	s_cbranch_execz .LBB149_48
; %bb.45:                               ;   in Loop: Header=BB149_11 Depth=1
	s_and_not1_b32 vcc_lo, exec_lo, s24
	s_cbranch_vccnz .LBB149_57
; %bb.46:                               ;   in Loop: Header=BB149_11 Depth=1
	ds_load_2addr_b64 v[54:57], v46 offset1:1
	v_add_co_u32 v58, vcc_lo, v52, v19
	v_add_co_ci_u32_e32 v59, vcc_lo, v53, v20, vcc_lo
	s_waitcnt lgkmcnt(0)
	global_store_b128 v[58:59], v[54:57], off
	s_cbranch_execnz .LBB149_48
.LBB149_47:                             ;   in Loop: Header=BB149_11 Depth=1
	ds_load_2addr_b64 v[54:57], v46 offset1:1
	v_add_co_u32 v58, vcc_lo, v5, v50
	v_add_co_ci_u32_e32 v59, vcc_lo, 0, v24, vcc_lo
	s_waitcnt lgkmcnt(0)
	global_store_b128 v[58:59], v[54:57], off offset:192
.LBB149_48:                             ;   in Loop: Header=BB149_11 Depth=1
	s_or_b32 exec_lo, exec_lo, s14
	v_mov_b32_e32 v54, 1
	s_and_saveexec_b32 s14, s7
	s_cbranch_execz .LBB149_9
; %bb.49:                               ;   in Loop: Header=BB149_11 Depth=1
	s_and_not1_b32 vcc_lo, exec_lo, s24
	s_cbranch_vccnz .LBB149_58
; %bb.50:                               ;   in Loop: Header=BB149_11 Depth=1
	ds_load_2addr_b64 v[54:57], v47 offset1:1
	v_add_co_u32 v52, vcc_lo, v52, v21
	v_add_co_ci_u32_e32 v53, vcc_lo, v53, v22, vcc_lo
	s_mov_b32 s15, 1
	s_waitcnt lgkmcnt(0)
	global_store_b128 v[52:53], v[54:57], off
	s_cbranch_execnz .LBB149_8
	s_branch .LBB149_59
.LBB149_51:                             ;   in Loop: Header=BB149_11 Depth=1
	s_branch .LBB149_23
.LBB149_52:                             ;   in Loop: Header=BB149_11 Depth=1
	s_branch .LBB149_27
.LBB149_53:                             ;   in Loop: Header=BB149_11 Depth=1
	s_branch .LBB149_31
.LBB149_54:                             ;   in Loop: Header=BB149_11 Depth=1
	s_branch .LBB149_35
.LBB149_55:                             ;   in Loop: Header=BB149_11 Depth=1
	s_branch .LBB149_39
.LBB149_56:                             ;   in Loop: Header=BB149_11 Depth=1
	s_branch .LBB149_43
.LBB149_57:                             ;   in Loop: Header=BB149_11 Depth=1
	s_branch .LBB149_47
.LBB149_58:                             ;   in Loop: Header=BB149_11 Depth=1
                                        ; implicit-def: $sgpr15
.LBB149_59:                             ;   in Loop: Header=BB149_11 Depth=1
	ds_load_2addr_b64 v[52:55], v47 offset1:1
	v_add_co_u32 v56, vcc_lo, v5, v50
	v_add_co_ci_u32_e32 v57, vcc_lo, 0, v24, vcc_lo
	s_mov_b32 s15, 1
	s_waitcnt lgkmcnt(0)
	global_store_b128 v[56:57], v[52:55], off offset:224
	s_branch .LBB149_8
.LBB149_60:
	s_endpgm
	.section	.rodata,"a",@progbits
	.p2align	6, 0x0
	.amdhsa_kernel _ZN9rocsparseL42csr2bsr_wavefront_per_row_multipass_kernelILj256ELj32ELj16E21rocsparse_complex_numIdEiiEEv20rocsparse_direction_T4_S4_S4_S4_S4_21rocsparse_index_base_PKT2_PKT3_PKS4_S5_PS6_PS9_PS4_
		.amdhsa_group_segment_fixed_size 32776
		.amdhsa_private_segment_fixed_size 0
		.amdhsa_kernarg_size 88
		.amdhsa_user_sgpr_count 15
		.amdhsa_user_sgpr_dispatch_ptr 0
		.amdhsa_user_sgpr_queue_ptr 0
		.amdhsa_user_sgpr_kernarg_segment_ptr 1
		.amdhsa_user_sgpr_dispatch_id 0
		.amdhsa_user_sgpr_private_segment_size 0
		.amdhsa_wavefront_size32 1
		.amdhsa_uses_dynamic_stack 0
		.amdhsa_enable_private_segment 0
		.amdhsa_system_sgpr_workgroup_id_x 1
		.amdhsa_system_sgpr_workgroup_id_y 0
		.amdhsa_system_sgpr_workgroup_id_z 0
		.amdhsa_system_sgpr_workgroup_info 0
		.amdhsa_system_vgpr_workitem_id 0
		.amdhsa_next_free_vgpr 60
		.amdhsa_next_free_sgpr 28
		.amdhsa_reserve_vcc 1
		.amdhsa_float_round_mode_32 0
		.amdhsa_float_round_mode_16_64 0
		.amdhsa_float_denorm_mode_32 3
		.amdhsa_float_denorm_mode_16_64 3
		.amdhsa_dx10_clamp 1
		.amdhsa_ieee_mode 1
		.amdhsa_fp16_overflow 0
		.amdhsa_workgroup_processor_mode 1
		.amdhsa_memory_ordered 1
		.amdhsa_forward_progress 0
		.amdhsa_shared_vgpr_count 0
		.amdhsa_exception_fp_ieee_invalid_op 0
		.amdhsa_exception_fp_denorm_src 0
		.amdhsa_exception_fp_ieee_div_zero 0
		.amdhsa_exception_fp_ieee_overflow 0
		.amdhsa_exception_fp_ieee_underflow 0
		.amdhsa_exception_fp_ieee_inexact 0
		.amdhsa_exception_int_div_zero 0
	.end_amdhsa_kernel
	.section	.text._ZN9rocsparseL42csr2bsr_wavefront_per_row_multipass_kernelILj256ELj32ELj16E21rocsparse_complex_numIdEiiEEv20rocsparse_direction_T4_S4_S4_S4_S4_21rocsparse_index_base_PKT2_PKT3_PKS4_S5_PS6_PS9_PS4_,"axG",@progbits,_ZN9rocsparseL42csr2bsr_wavefront_per_row_multipass_kernelILj256ELj32ELj16E21rocsparse_complex_numIdEiiEEv20rocsparse_direction_T4_S4_S4_S4_S4_21rocsparse_index_base_PKT2_PKT3_PKS4_S5_PS6_PS9_PS4_,comdat
.Lfunc_end149:
	.size	_ZN9rocsparseL42csr2bsr_wavefront_per_row_multipass_kernelILj256ELj32ELj16E21rocsparse_complex_numIdEiiEEv20rocsparse_direction_T4_S4_S4_S4_S4_21rocsparse_index_base_PKT2_PKT3_PKS4_S5_PS6_PS9_PS4_, .Lfunc_end149-_ZN9rocsparseL42csr2bsr_wavefront_per_row_multipass_kernelILj256ELj32ELj16E21rocsparse_complex_numIdEiiEEv20rocsparse_direction_T4_S4_S4_S4_S4_21rocsparse_index_base_PKT2_PKT3_PKS4_S5_PS6_PS9_PS4_
                                        ; -- End function
	.section	.AMDGPU.csdata,"",@progbits
; Kernel info:
; codeLenInByte = 2600
; NumSgprs: 30
; NumVgprs: 60
; ScratchSize: 0
; MemoryBound: 0
; FloatMode: 240
; IeeeMode: 1
; LDSByteSize: 32776 bytes/workgroup (compile time only)
; SGPRBlocks: 3
; VGPRBlocks: 7
; NumSGPRsForWavesPerEU: 30
; NumVGPRsForWavesPerEU: 60
; Occupancy: 6
; WaveLimiterHint : 0
; COMPUTE_PGM_RSRC2:SCRATCH_EN: 0
; COMPUTE_PGM_RSRC2:USER_SGPR: 15
; COMPUTE_PGM_RSRC2:TRAP_HANDLER: 0
; COMPUTE_PGM_RSRC2:TGID_X_EN: 1
; COMPUTE_PGM_RSRC2:TGID_Y_EN: 0
; COMPUTE_PGM_RSRC2:TGID_Z_EN: 0
; COMPUTE_PGM_RSRC2:TIDIG_COMP_CNT: 0
	.section	.text._ZN9rocsparseL38csr2bsr_block_per_row_multipass_kernelILj256ELj32E21rocsparse_complex_numIdEiiEEv20rocsparse_direction_T3_S4_S4_S4_S4_21rocsparse_index_base_PKT1_PKT2_PKS4_S5_PS6_PS9_PS4_,"axG",@progbits,_ZN9rocsparseL38csr2bsr_block_per_row_multipass_kernelILj256ELj32E21rocsparse_complex_numIdEiiEEv20rocsparse_direction_T3_S4_S4_S4_S4_21rocsparse_index_base_PKT1_PKT2_PKS4_S5_PS6_PS9_PS4_,comdat
	.globl	_ZN9rocsparseL38csr2bsr_block_per_row_multipass_kernelILj256ELj32E21rocsparse_complex_numIdEiiEEv20rocsparse_direction_T3_S4_S4_S4_S4_21rocsparse_index_base_PKT1_PKT2_PKS4_S5_PS6_PS9_PS4_ ; -- Begin function _ZN9rocsparseL38csr2bsr_block_per_row_multipass_kernelILj256ELj32E21rocsparse_complex_numIdEiiEEv20rocsparse_direction_T3_S4_S4_S4_S4_21rocsparse_index_base_PKT1_PKT2_PKS4_S5_PS6_PS9_PS4_
	.p2align	8
	.type	_ZN9rocsparseL38csr2bsr_block_per_row_multipass_kernelILj256ELj32E21rocsparse_complex_numIdEiiEEv20rocsparse_direction_T3_S4_S4_S4_S4_21rocsparse_index_base_PKT1_PKT2_PKS4_S5_PS6_PS9_PS4_,@function
_ZN9rocsparseL38csr2bsr_block_per_row_multipass_kernelILj256ELj32E21rocsparse_complex_numIdEiiEEv20rocsparse_direction_T3_S4_S4_S4_S4_21rocsparse_index_base_PKT1_PKT2_PKS4_S5_PS6_PS9_PS4_: ; @_ZN9rocsparseL38csr2bsr_block_per_row_multipass_kernelILj256ELj32E21rocsparse_complex_numIdEiiEEv20rocsparse_direction_T3_S4_S4_S4_S4_21rocsparse_index_base_PKT1_PKT2_PKS4_S5_PS6_PS9_PS4_
; %bb.0:
	s_mov_b32 s10, s15
	s_clause 0x1
	s_load_b128 s[12:15], s[0:1], 0x10
	s_load_b64 s[8:9], s[0:1], 0x0
	v_lshrrev_b32_e32 v1, 3, v0
	s_load_b64 s[4:5], s[0:1], 0x28
	v_mov_b32_e32 v16, 0
	v_mov_b32_e32 v14, 0
	s_waitcnt lgkmcnt(0)
	v_mad_u64_u32 v[2:3], null, s10, s13, v[1:2]
	v_cmp_gt_i32_e32 vcc_lo, s13, v1
	s_delay_alu instid0(VALU_DEP_2) | instskip(NEXT) | instid1(VALU_DEP_1)
	v_cmp_gt_i32_e64 s2, s9, v2
	s_and_b32 s3, vcc_lo, s2
	s_delay_alu instid0(SALU_CYCLE_1)
	s_and_saveexec_b32 s6, s3
	s_cbranch_execnz .LBB150_3
; %bb.1:
	s_or_b32 exec_lo, exec_lo, s6
	s_and_saveexec_b32 s6, s3
	s_cbranch_execnz .LBB150_4
.LBB150_2:
	s_or_b32 exec_lo, exec_lo, s6
	s_cmp_lt_i32 s12, 1
	s_cbranch_scc0 .LBB150_5
	s_branch .LBB150_41
.LBB150_3:
	v_ashrrev_i32_e32 v3, 31, v2
	s_delay_alu instid0(VALU_DEP_1) | instskip(NEXT) | instid1(VALU_DEP_1)
	v_lshlrev_b64 v[3:4], 2, v[2:3]
	v_add_co_u32 v3, s2, s4, v3
	s_delay_alu instid0(VALU_DEP_1)
	v_add_co_ci_u32_e64 v4, s2, s5, v4, s2
	global_load_b32 v3, v[3:4], off
	s_waitcnt vmcnt(0)
	v_subrev_nc_u32_e32 v14, s14, v3
	s_or_b32 exec_lo, exec_lo, s6
	s_and_saveexec_b32 s6, s3
	s_cbranch_execz .LBB150_2
.LBB150_4:
	v_ashrrev_i32_e32 v3, 31, v2
	s_delay_alu instid0(VALU_DEP_1) | instskip(NEXT) | instid1(VALU_DEP_1)
	v_lshlrev_b64 v[2:3], 2, v[2:3]
	v_add_co_u32 v2, s2, s4, v2
	s_delay_alu instid0(VALU_DEP_1)
	v_add_co_ci_u32_e64 v3, s2, s5, v3, s2
	global_load_b32 v2, v[2:3], off offset:4
	s_waitcnt vmcnt(0)
	v_subrev_nc_u32_e32 v16, s14, v2
	s_or_b32 exec_lo, exec_lo, s6
	s_cmp_lt_i32 s12, 1
	s_cbranch_scc1 .LBB150_41
.LBB150_5:
	s_clause 0x4
	s_load_b128 s[4:7], s[0:1], 0x40
	s_load_b64 s[20:21], s[0:1], 0x50
	s_load_b64 s[22:23], s[0:1], 0x20
	;; [unrolled: 1-line block ×3, first 2 shown]
	s_load_b32 s15, s[0:1], 0x38
	v_mbcnt_lo_u32_b32 v2, -1, 0
	s_ashr_i32 s11, s10, 31
	s_mov_b32 s16, 0
	s_lshl_b64 s[0:1], s[10:11], 2
	v_dual_mov_b32 v5, 0 :: v_dual_lshlrev_b32 v18, 5, v1
	v_xor_b32_e32 v6, 4, v2
	v_mul_lo_u32 v4, v1, s13
	s_mov_b32 s18, s16
	s_mov_b32 s19, s16
	v_lshlrev_b32_e32 v3, 4, v1
	v_xor_b32_e32 v1, 2, v2
	v_xor_b32_e32 v7, 1, v2
	v_lshl_or_b32 v19, v2, 2, 28
	v_and_b32_e32 v17, 7, v0
	s_waitcnt lgkmcnt(0)
	s_add_u32 s0, s6, s0
	s_addc_u32 s1, s7, s1
	v_dual_mov_b32 v34, 0 :: v_dual_lshlrev_b32 v27, 2, v0
	s_load_b32 s1, s[0:1], 0x0
	v_cmp_gt_i32_e64 s0, 32, v6
	v_lshlrev_b32_e32 v9, 4, v17
	v_cmp_gt_u32_e64 s2, 64, v0
	v_cmp_gt_u32_e64 s3, 32, v0
	;; [unrolled: 1-line block ×3, first 2 shown]
	v_cndmask_b32_e64 v6, v2, v6, s0
	v_cmp_gt_i32_e64 s0, 32, v1
	v_cmp_gt_u32_e64 s7, 2, v0
	s_mul_hi_u32 s28, s13, s13
	s_mul_i32 s29, s13, s13
	v_lshlrev_b32_e32 v20, 2, v6
	v_cndmask_b32_e64 v8, v2, v1, s0
	v_cmp_gt_i32_e64 s0, 32, v7
	v_mov_b32_e32 v11, v5
	v_mov_b32_e32 v13, v5
	s_delay_alu instid0(VALU_DEP_4) | instskip(NEXT) | instid1(VALU_DEP_4)
	v_lshlrev_b32_e32 v21, 2, v8
	v_cndmask_b32_e64 v7, v2, v7, s0
	v_lshlrev_b64 v[1:2], 4, v[4:5]
	v_add_co_u32 v23, s0, s4, v3
	s_delay_alu instid0(VALU_DEP_1) | instskip(SKIP_2) | instid1(VALU_DEP_3)
	v_add_co_ci_u32_e64 v24, null, s5, 0, s0
	s_waitcnt lgkmcnt(0)
	s_sub_i32 s26, s1, s15
	v_add_co_u32 v1, s0, s4, v1
	s_cmp_eq_u32 s8, 0
	v_add_co_ci_u32_e64 v2, s0, s5, v2, s0
	s_cselect_b32 s0, -1, 0
	s_abs_i32 s11, s13
	v_add_co_u32 v25, s1, v1, v9
	v_cvt_f32_u32_e32 v1, s11
	v_add_co_ci_u32_e64 v26, s1, 0, v2, s1
	v_cmp_gt_u32_e64 s1, 0x80, v0
	v_cmp_gt_u32_e64 s4, 16, v0
	s_delay_alu instid0(VALU_DEP_4)
	v_rcp_iflag_f32_e32 v1, v1
	v_cmp_gt_u32_e64 s5, 8, v0
	v_cmp_eq_u32_e64 s8, 0, v0
	s_sub_i32 s10, 0, s11
	s_lshl_b32 s17, s13, 3
	v_dual_mov_b32 v9, v5 :: v_dual_lshlrev_b32 v22, 2, v7
	s_waitcnt_depctr 0xfff
	v_mul_f32_e32 v0, 0x4f7ffffe, v1
	v_mul_lo_u32 v4, v17, s13
	v_cmp_gt_u32_e64 s9, s13, v17
	v_or_b32_e32 v1, 8, v17
	v_or_b32_e32 v2, v18, v17
	v_cvt_u32_f32_e32 v0, v0
	v_or_b32_e32 v3, 24, v17
	s_and_b32 s30, vcc_lo, s9
	v_cmp_gt_u32_e64 s9, s13, v1
	v_add_nc_u32_e32 v8, s17, v4
	v_mul_lo_u32 v1, s10, v0
	v_lshlrev_b32_e32 v28, 4, v2
	v_or_b32_e32 v2, 16, v17
	s_and_b32 s31, vcc_lo, s9
	v_add_nc_u32_e32 v10, s17, v8
	v_cmp_gt_u32_e64 s10, s13, v3
	v_lshlrev_b64 v[6:7], 4, v[4:5]
	v_cmp_gt_u32_e64 s9, s13, v2
	v_mul_hi_u32 v1, v0, v1
	v_add_nc_u32_e32 v12, s17, v10
	s_mov_b32 s17, s16
	v_or_b32_e32 v29, 0x80, v28
	v_or_b32_e32 v30, 0x100, v28
	;; [unrolled: 1-line block ×3, first 2 shown]
	v_lshlrev_b64 v[12:13], 4, v[12:13]
	v_mov_b32_e32 v4, 1
	v_add_nc_u32_e32 v32, v0, v1
	v_dual_mov_b32 v0, s16 :: v_dual_mov_b32 v3, s19
	v_mov_b32_e32 v1, s17
	v_lshlrev_b64 v[8:9], 4, v[8:9]
	v_lshlrev_b64 v[10:11], 4, v[10:11]
	v_mov_b32_e32 v2, s18
	s_and_b32 s16, vcc_lo, s9
	s_and_b32 s10, vcc_lo, s10
	s_ashr_i32 s17, s13, 31
	s_branch .LBB150_7
.LBB150_6:                              ;   in Loop: Header=BB150_7 Depth=1
	s_or_b32 exec_lo, exec_lo, s18
	s_waitcnt lgkmcnt(0)
	s_barrier
	buffer_gl0_inv
	ds_load_b32 v34, v5
	s_add_i32 s26, s9, s26
	s_waitcnt lgkmcnt(0)
	s_barrier
	buffer_gl0_inv
	v_cmp_gt_i32_e32 vcc_lo, s12, v34
	s_cbranch_vccz .LBB150_41
.LBB150_7:                              ; =>This Loop Header: Depth=1
                                        ;     Child Loop BB150_10 Depth 2
	v_dual_mov_b32 v33, s12 :: v_dual_add_nc_u32 v14, v14, v17
	v_mov_b32_e32 v36, v16
	s_mov_b32 s18, exec_lo
	ds_store_b8 v5, v5 offset:16384
	ds_store_b128 v28, v[0:3]
	ds_store_b128 v28, v[0:3] offset:128
	ds_store_b128 v28, v[0:3] offset:256
	;; [unrolled: 1-line block ×3, first 2 shown]
	s_waitcnt lgkmcnt(0)
	s_barrier
	buffer_gl0_inv
	v_cmpx_lt_i32_e64 v14, v16
	s_cbranch_execz .LBB150_15
; %bb.8:                                ;   in Loop: Header=BB150_7 Depth=1
	v_mul_lo_u32 v35, v34, s13
	v_dual_mov_b32 v33, s12 :: v_dual_mov_b32 v36, v16
	s_mov_b32 s19, 0
	s_branch .LBB150_10
.LBB150_9:                              ;   in Loop: Header=BB150_10 Depth=2
	s_or_b32 exec_lo, exec_lo, s27
	v_add_nc_u32_e32 v14, 8, v14
	s_xor_b32 s27, vcc_lo, -1
	s_delay_alu instid0(VALU_DEP_1) | instskip(NEXT) | instid1(VALU_DEP_1)
	v_cmp_ge_i32_e64 s9, v14, v16
	s_or_b32 s9, s27, s9
	s_delay_alu instid0(SALU_CYCLE_1) | instskip(NEXT) | instid1(SALU_CYCLE_1)
	s_and_b32 s9, exec_lo, s9
	s_or_b32 s19, s9, s19
	s_delay_alu instid0(SALU_CYCLE_1)
	s_and_not1_b32 exec_lo, exec_lo, s19
	s_cbranch_execz .LBB150_14
.LBB150_10:                             ;   Parent Loop BB150_7 Depth=1
                                        ; =>  This Inner Loop Header: Depth=2
	v_ashrrev_i32_e32 v15, 31, v14
	s_delay_alu instid0(VALU_DEP_1) | instskip(NEXT) | instid1(VALU_DEP_1)
	v_lshlrev_b64 v[37:38], 2, v[14:15]
	v_add_co_u32 v37, vcc_lo, s24, v37
	s_delay_alu instid0(VALU_DEP_2) | instskip(SKIP_3) | instid1(VALU_DEP_1)
	v_add_co_ci_u32_e32 v38, vcc_lo, s25, v38, vcc_lo
	global_load_b32 v37, v[37:38], off
	s_waitcnt vmcnt(0)
	v_subrev_nc_u32_e32 v37, s14, v37
	v_sub_nc_u32_e32 v38, 0, v37
	s_delay_alu instid0(VALU_DEP_1) | instskip(NEXT) | instid1(VALU_DEP_1)
	v_max_i32_e32 v38, v37, v38
	v_mul_hi_u32 v39, v38, v32
	s_delay_alu instid0(VALU_DEP_1) | instskip(NEXT) | instid1(VALU_DEP_1)
	v_mul_lo_u32 v40, v39, s11
	v_sub_nc_u32_e32 v38, v38, v40
	v_add_nc_u32_e32 v40, 1, v39
	s_delay_alu instid0(VALU_DEP_2) | instskip(SKIP_1) | instid1(VALU_DEP_2)
	v_subrev_nc_u32_e32 v41, s11, v38
	v_cmp_le_u32_e32 vcc_lo, s11, v38
	v_dual_cndmask_b32 v39, v39, v40 :: v_dual_cndmask_b32 v38, v38, v41
	v_ashrrev_i32_e32 v40, 31, v37
	s_delay_alu instid0(VALU_DEP_2) | instskip(NEXT) | instid1(VALU_DEP_3)
	v_add_nc_u32_e32 v41, 1, v39
	v_cmp_le_u32_e32 vcc_lo, s11, v38
	s_delay_alu instid0(VALU_DEP_3) | instskip(NEXT) | instid1(VALU_DEP_3)
	v_xor_b32_e32 v40, s17, v40
	v_cndmask_b32_e32 v38, v39, v41, vcc_lo
	s_delay_alu instid0(VALU_DEP_1) | instskip(NEXT) | instid1(VALU_DEP_1)
	v_xor_b32_e32 v38, v38, v40
	v_sub_nc_u32_e32 v39, v38, v40
	v_mov_b32_e32 v38, v36
	s_delay_alu instid0(VALU_DEP_2) | instskip(SKIP_1) | instid1(VALU_DEP_1)
	v_cmp_eq_u32_e32 vcc_lo, v39, v34
	v_cmp_ne_u32_e64 s9, v39, v34
	s_and_saveexec_b32 s27, s9
	s_delay_alu instid0(SALU_CYCLE_1)
	s_xor_b32 s9, exec_lo, s27
; %bb.11:                               ;   in Loop: Header=BB150_10 Depth=2
	v_min_i32_e32 v33, v39, v33
                                        ; implicit-def: $vgpr37
                                        ; implicit-def: $vgpr38
; %bb.12:                               ;   in Loop: Header=BB150_10 Depth=2
	s_or_saveexec_b32 s27, s9
	v_mov_b32_e32 v36, v14
	s_xor_b32 exec_lo, exec_lo, s27
	s_cbranch_execz .LBB150_9
; %bb.13:                               ;   in Loop: Header=BB150_10 Depth=2
	v_lshlrev_b64 v[39:40], 4, v[14:15]
	v_sub_nc_u32_e32 v15, v37, v35
	v_mov_b32_e32 v36, v38
	s_delay_alu instid0(VALU_DEP_2) | instskip(NEXT) | instid1(VALU_DEP_4)
	v_add_lshl_u32 v15, v15, v18, 4
	v_add_co_u32 v39, s9, s22, v39
	s_delay_alu instid0(VALU_DEP_1)
	v_add_co_ci_u32_e64 v40, s9, s23, v40, s9
	global_load_b128 v[39:42], v[39:40], off
	ds_store_b8 v5, v4 offset:16384
	s_waitcnt vmcnt(0)
	ds_store_2addr_b64 v15, v[39:40], v[41:42] offset1:1
	s_branch .LBB150_9
.LBB150_14:                             ;   in Loop: Header=BB150_7 Depth=1
	s_or_b32 exec_lo, exec_lo, s19
.LBB150_15:                             ;   in Loop: Header=BB150_7 Depth=1
	s_delay_alu instid0(SALU_CYCLE_1)
	s_or_b32 exec_lo, exec_lo, s18
	ds_bpermute_b32 v14, v20, v36
	s_waitcnt lgkmcnt(0)
	s_barrier
	buffer_gl0_inv
	ds_load_u8 v35, v5 offset:16384
	s_mov_b32 s9, 0
	v_min_i32_e32 v14, v14, v36
	s_waitcnt lgkmcnt(0)
	v_cmp_eq_u32_e32 vcc_lo, 0, v35
	ds_bpermute_b32 v15, v21, v14
	s_and_b32 vcc_lo, exec_lo, vcc_lo
	s_waitcnt lgkmcnt(0)
	v_min_i32_e32 v14, v15, v14
	ds_bpermute_b32 v15, v22, v14
	s_waitcnt lgkmcnt(0)
	v_min_i32_e32 v14, v15, v14
	ds_bpermute_b32 v14, v19, v14
	s_cbranch_vccnz .LBB150_22
; %bb.16:                               ;   in Loop: Header=BB150_7 Depth=1
	s_ashr_i32 s27, s26, 31
	s_mul_hi_u32 s9, s29, s26
	s_lshl_b64 s[18:19], s[26:27], 2
	s_mul_i32 s27, s29, s27
	s_add_u32 s18, s20, s18
	s_addc_u32 s19, s21, s19
	s_add_i32 s9, s9, s27
	s_mul_i32 s27, s28, s26
	s_mul_i32 s34, s29, s26
	s_add_i32 s35, s9, s27
	v_add_nc_u32_e32 v37, s15, v34
	s_lshl_b64 s[34:35], s[34:35], 4
	s_delay_alu instid0(SALU_CYCLE_1)
	v_add_co_u32 v15, vcc_lo, v23, s34
	v_add_co_ci_u32_e32 v34, vcc_lo, s35, v24, vcc_lo
	v_add_co_u32 v35, vcc_lo, v25, s34
	v_add_co_ci_u32_e32 v36, vcc_lo, s35, v26, vcc_lo
	global_store_b32 v5, v37, s[18:19]
	s_and_saveexec_b32 s9, s30
	s_cbranch_execnz .LBB150_38
; %bb.17:                               ;   in Loop: Header=BB150_7 Depth=1
	s_or_b32 exec_lo, exec_lo, s9
	s_and_saveexec_b32 s9, s31
	s_cbranch_execnz .LBB150_39
.LBB150_18:                             ;   in Loop: Header=BB150_7 Depth=1
	s_or_b32 exec_lo, exec_lo, s9
	s_and_saveexec_b32 s9, s16
	s_cbranch_execnz .LBB150_40
.LBB150_19:                             ;   in Loop: Header=BB150_7 Depth=1
	s_or_b32 exec_lo, exec_lo, s9
	s_and_saveexec_b32 s9, s10
	s_cbranch_execz .LBB150_21
.LBB150_20:                             ;   in Loop: Header=BB150_7 Depth=1
	ds_load_2addr_b64 v[37:40], v31 offset1:1
	v_add_co_u32 v41, vcc_lo, 0x180, v35
	v_add_co_ci_u32_e32 v35, vcc_lo, 0, v36, vcc_lo
	v_add_co_u32 v15, vcc_lo, v15, v12
	v_add_co_ci_u32_e32 v34, vcc_lo, v34, v13, vcc_lo
	s_delay_alu instid0(VALU_DEP_1) | instskip(NEXT) | instid1(VALU_DEP_3)
	v_cndmask_b32_e64 v35, v34, v35, s0
	v_cndmask_b32_e64 v34, v15, v41, s0
	s_waitcnt lgkmcnt(0)
	global_store_b128 v[34:35], v[37:40], off
.LBB150_21:                             ;   in Loop: Header=BB150_7 Depth=1
	s_or_b32 exec_lo, exec_lo, s9
	s_mov_b32 s9, 1
.LBB150_22:                             ;   in Loop: Header=BB150_7 Depth=1
	s_waitcnt lgkmcnt(0)
	s_waitcnt_vscnt null, 0x0
	s_barrier
	buffer_gl0_inv
	ds_store_b32 v27, v33
	s_waitcnt lgkmcnt(0)
	s_barrier
	buffer_gl0_inv
	s_and_saveexec_b32 s18, s1
	s_cbranch_execz .LBB150_24
; %bb.23:                               ;   in Loop: Header=BB150_7 Depth=1
	ds_load_2addr_stride64_b32 v[33:34], v27 offset1:2
	s_waitcnt lgkmcnt(0)
	v_min_i32_e32 v15, v34, v33
	ds_store_b32 v27, v15
.LBB150_24:                             ;   in Loop: Header=BB150_7 Depth=1
	s_or_b32 exec_lo, exec_lo, s18
	s_waitcnt lgkmcnt(0)
	s_barrier
	buffer_gl0_inv
	s_and_saveexec_b32 s18, s2
	s_cbranch_execz .LBB150_26
; %bb.25:                               ;   in Loop: Header=BB150_7 Depth=1
	ds_load_2addr_stride64_b32 v[33:34], v27 offset1:1
	s_waitcnt lgkmcnt(0)
	v_min_i32_e32 v15, v34, v33
	ds_store_b32 v27, v15
.LBB150_26:                             ;   in Loop: Header=BB150_7 Depth=1
	s_or_b32 exec_lo, exec_lo, s18
	s_waitcnt lgkmcnt(0)
	s_barrier
	buffer_gl0_inv
	s_and_saveexec_b32 s18, s3
	s_cbranch_execz .LBB150_28
; %bb.27:                               ;   in Loop: Header=BB150_7 Depth=1
	ds_load_2addr_b32 v[33:34], v27 offset1:32
	s_waitcnt lgkmcnt(0)
	v_min_i32_e32 v15, v34, v33
	ds_store_b32 v27, v15
.LBB150_28:                             ;   in Loop: Header=BB150_7 Depth=1
	s_or_b32 exec_lo, exec_lo, s18
	s_waitcnt lgkmcnt(0)
	s_barrier
	buffer_gl0_inv
	s_and_saveexec_b32 s18, s4
	s_cbranch_execz .LBB150_30
; %bb.29:                               ;   in Loop: Header=BB150_7 Depth=1
	ds_load_2addr_b32 v[33:34], v27 offset1:16
	s_waitcnt lgkmcnt(0)
	v_min_i32_e32 v15, v34, v33
	ds_store_b32 v27, v15
.LBB150_30:                             ;   in Loop: Header=BB150_7 Depth=1
	;; [unrolled: 12-line block ×5, first 2 shown]
	s_or_b32 exec_lo, exec_lo, s18
	s_waitcnt lgkmcnt(0)
	s_barrier
	buffer_gl0_inv
	s_and_saveexec_b32 s18, s8
	s_cbranch_execz .LBB150_6
; %bb.37:                               ;   in Loop: Header=BB150_7 Depth=1
	ds_load_b64 v[33:34], v5
	s_waitcnt lgkmcnt(0)
	v_min_i32_e32 v15, v34, v33
	ds_store_b32 v5, v15
	s_branch .LBB150_6
.LBB150_38:                             ;   in Loop: Header=BB150_7 Depth=1
	ds_load_2addr_b64 v[37:40], v28 offset1:1
	v_add_co_u32 v41, vcc_lo, v15, v6
	v_add_co_ci_u32_e32 v42, vcc_lo, v34, v7, vcc_lo
	s_delay_alu instid0(VALU_DEP_2) | instskip(NEXT) | instid1(VALU_DEP_2)
	v_cndmask_b32_e64 v41, v41, v35, s0
	v_cndmask_b32_e64 v42, v42, v36, s0
	s_waitcnt lgkmcnt(0)
	global_store_b128 v[41:42], v[37:40], off
	s_or_b32 exec_lo, exec_lo, s9
	s_and_saveexec_b32 s9, s31
	s_cbranch_execz .LBB150_18
.LBB150_39:                             ;   in Loop: Header=BB150_7 Depth=1
	ds_load_2addr_b64 v[37:40], v29 offset1:1
	v_add_co_u32 v41, vcc_lo, 0x80, v35
	v_add_co_ci_u32_e32 v42, vcc_lo, 0, v36, vcc_lo
	v_add_co_u32 v43, vcc_lo, v15, v8
	v_add_co_ci_u32_e32 v44, vcc_lo, v34, v9, vcc_lo
	s_delay_alu instid0(VALU_DEP_2) | instskip(NEXT) | instid1(VALU_DEP_2)
	v_cndmask_b32_e64 v41, v43, v41, s0
	v_cndmask_b32_e64 v42, v44, v42, s0
	s_waitcnt lgkmcnt(0)
	global_store_b128 v[41:42], v[37:40], off
	s_or_b32 exec_lo, exec_lo, s9
	s_and_saveexec_b32 s9, s16
	s_cbranch_execz .LBB150_19
.LBB150_40:                             ;   in Loop: Header=BB150_7 Depth=1
	ds_load_2addr_b64 v[37:40], v30 offset1:1
	v_add_co_u32 v41, vcc_lo, 0x100, v35
	v_add_co_ci_u32_e32 v42, vcc_lo, 0, v36, vcc_lo
	v_add_co_u32 v43, vcc_lo, v15, v10
	v_add_co_ci_u32_e32 v44, vcc_lo, v34, v11, vcc_lo
	s_delay_alu instid0(VALU_DEP_2) | instskip(NEXT) | instid1(VALU_DEP_2)
	v_cndmask_b32_e64 v41, v43, v41, s0
	v_cndmask_b32_e64 v42, v44, v42, s0
	s_waitcnt lgkmcnt(0)
	global_store_b128 v[41:42], v[37:40], off
	s_or_b32 exec_lo, exec_lo, s9
	s_and_saveexec_b32 s9, s10
	s_cbranch_execnz .LBB150_20
	s_branch .LBB150_21
.LBB150_41:
	s_endpgm
	.section	.rodata,"a",@progbits
	.p2align	6, 0x0
	.amdhsa_kernel _ZN9rocsparseL38csr2bsr_block_per_row_multipass_kernelILj256ELj32E21rocsparse_complex_numIdEiiEEv20rocsparse_direction_T3_S4_S4_S4_S4_21rocsparse_index_base_PKT1_PKT2_PKS4_S5_PS6_PS9_PS4_
		.amdhsa_group_segment_fixed_size 16392
		.amdhsa_private_segment_fixed_size 0
		.amdhsa_kernarg_size 88
		.amdhsa_user_sgpr_count 15
		.amdhsa_user_sgpr_dispatch_ptr 0
		.amdhsa_user_sgpr_queue_ptr 0
		.amdhsa_user_sgpr_kernarg_segment_ptr 1
		.amdhsa_user_sgpr_dispatch_id 0
		.amdhsa_user_sgpr_private_segment_size 0
		.amdhsa_wavefront_size32 1
		.amdhsa_uses_dynamic_stack 0
		.amdhsa_enable_private_segment 0
		.amdhsa_system_sgpr_workgroup_id_x 1
		.amdhsa_system_sgpr_workgroup_id_y 0
		.amdhsa_system_sgpr_workgroup_id_z 0
		.amdhsa_system_sgpr_workgroup_info 0
		.amdhsa_system_vgpr_workitem_id 0
		.amdhsa_next_free_vgpr 45
		.amdhsa_next_free_sgpr 36
		.amdhsa_reserve_vcc 1
		.amdhsa_float_round_mode_32 0
		.amdhsa_float_round_mode_16_64 0
		.amdhsa_float_denorm_mode_32 3
		.amdhsa_float_denorm_mode_16_64 3
		.amdhsa_dx10_clamp 1
		.amdhsa_ieee_mode 1
		.amdhsa_fp16_overflow 0
		.amdhsa_workgroup_processor_mode 1
		.amdhsa_memory_ordered 1
		.amdhsa_forward_progress 0
		.amdhsa_shared_vgpr_count 0
		.amdhsa_exception_fp_ieee_invalid_op 0
		.amdhsa_exception_fp_denorm_src 0
		.amdhsa_exception_fp_ieee_div_zero 0
		.amdhsa_exception_fp_ieee_overflow 0
		.amdhsa_exception_fp_ieee_underflow 0
		.amdhsa_exception_fp_ieee_inexact 0
		.amdhsa_exception_int_div_zero 0
	.end_amdhsa_kernel
	.section	.text._ZN9rocsparseL38csr2bsr_block_per_row_multipass_kernelILj256ELj32E21rocsparse_complex_numIdEiiEEv20rocsparse_direction_T3_S4_S4_S4_S4_21rocsparse_index_base_PKT1_PKT2_PKS4_S5_PS6_PS9_PS4_,"axG",@progbits,_ZN9rocsparseL38csr2bsr_block_per_row_multipass_kernelILj256ELj32E21rocsparse_complex_numIdEiiEEv20rocsparse_direction_T3_S4_S4_S4_S4_21rocsparse_index_base_PKT1_PKT2_PKS4_S5_PS6_PS9_PS4_,comdat
.Lfunc_end150:
	.size	_ZN9rocsparseL38csr2bsr_block_per_row_multipass_kernelILj256ELj32E21rocsparse_complex_numIdEiiEEv20rocsparse_direction_T3_S4_S4_S4_S4_21rocsparse_index_base_PKT1_PKT2_PKS4_S5_PS6_PS9_PS4_, .Lfunc_end150-_ZN9rocsparseL38csr2bsr_block_per_row_multipass_kernelILj256ELj32E21rocsparse_complex_numIdEiiEEv20rocsparse_direction_T3_S4_S4_S4_S4_21rocsparse_index_base_PKT1_PKT2_PKS4_S5_PS6_PS9_PS4_
                                        ; -- End function
	.section	.AMDGPU.csdata,"",@progbits
; Kernel info:
; codeLenInByte = 2340
; NumSgprs: 38
; NumVgprs: 45
; ScratchSize: 0
; MemoryBound: 0
; FloatMode: 240
; IeeeMode: 1
; LDSByteSize: 16392 bytes/workgroup (compile time only)
; SGPRBlocks: 4
; VGPRBlocks: 5
; NumSGPRsForWavesPerEU: 38
; NumVGPRsForWavesPerEU: 45
; Occupancy: 14
; WaveLimiterHint : 0
; COMPUTE_PGM_RSRC2:SCRATCH_EN: 0
; COMPUTE_PGM_RSRC2:USER_SGPR: 15
; COMPUTE_PGM_RSRC2:TRAP_HANDLER: 0
; COMPUTE_PGM_RSRC2:TGID_X_EN: 1
; COMPUTE_PGM_RSRC2:TGID_Y_EN: 0
; COMPUTE_PGM_RSRC2:TGID_Z_EN: 0
; COMPUTE_PGM_RSRC2:TIDIG_COMP_CNT: 0
	.section	.text._ZN9rocsparseL21csr2bsr_65_inf_kernelILj32E21rocsparse_complex_numIdEiiEEv20rocsparse_direction_T2_S4_S4_S4_S4_S4_21rocsparse_index_base_PKT0_PKT1_PKS4_S5_PS6_PS9_PS4_SF_SG_SE_,"axG",@progbits,_ZN9rocsparseL21csr2bsr_65_inf_kernelILj32E21rocsparse_complex_numIdEiiEEv20rocsparse_direction_T2_S4_S4_S4_S4_S4_21rocsparse_index_base_PKT0_PKT1_PKS4_S5_PS6_PS9_PS4_SF_SG_SE_,comdat
	.globl	_ZN9rocsparseL21csr2bsr_65_inf_kernelILj32E21rocsparse_complex_numIdEiiEEv20rocsparse_direction_T2_S4_S4_S4_S4_S4_21rocsparse_index_base_PKT0_PKT1_PKS4_S5_PS6_PS9_PS4_SF_SG_SE_ ; -- Begin function _ZN9rocsparseL21csr2bsr_65_inf_kernelILj32E21rocsparse_complex_numIdEiiEEv20rocsparse_direction_T2_S4_S4_S4_S4_S4_21rocsparse_index_base_PKT0_PKT1_PKS4_S5_PS6_PS9_PS4_SF_SG_SE_
	.p2align	8
	.type	_ZN9rocsparseL21csr2bsr_65_inf_kernelILj32E21rocsparse_complex_numIdEiiEEv20rocsparse_direction_T2_S4_S4_S4_S4_S4_21rocsparse_index_base_PKT0_PKT1_PKS4_S5_PS6_PS9_PS4_SF_SG_SE_,@function
_ZN9rocsparseL21csr2bsr_65_inf_kernelILj32E21rocsparse_complex_numIdEiiEEv20rocsparse_direction_T2_S4_S4_S4_S4_S4_21rocsparse_index_base_PKT0_PKT1_PKS4_S5_PS6_PS9_PS4_SF_SG_SE_: ; @_ZN9rocsparseL21csr2bsr_65_inf_kernelILj32E21rocsparse_complex_numIdEiiEEv20rocsparse_direction_T2_S4_S4_S4_S4_S4_21rocsparse_index_base_PKT0_PKT1_PKS4_S5_PS6_PS9_PS4_SF_SG_SE_
; %bb.0:
	s_clause 0x2
	s_load_b128 s[4:7], s[0:1], 0x0
	s_load_b64 s[2:3], s[0:1], 0x58
	s_load_b32 s26, s[0:1], 0x38
	s_mov_b32 s22, s15
	s_mov_b32 s25, 0
	s_waitcnt lgkmcnt(0)
	s_cmp_ge_i32 s15, s7
	s_mov_b32 s7, 0
	s_cbranch_scc1 .LBB151_2
; %bb.1:
	s_load_b64 s[8:9], s[0:1], 0x48
	s_ashr_i32 s23, s22, 31
	s_delay_alu instid0(SALU_CYCLE_1)
	s_lshl_b64 s[10:11], s[22:23], 2
	s_waitcnt lgkmcnt(0)
	s_add_u32 s8, s8, s10
	s_addc_u32 s9, s9, s11
	s_load_b32 s7, s[8:9], 0x0
	s_waitcnt lgkmcnt(0)
	s_sub_i32 s7, s7, s26
.LBB151_2:
	s_load_b128 s[8:11], s[0:1], 0x14
	s_waitcnt lgkmcnt(0)
	v_mul_lo_u32 v7, v0, s9
	s_mul_i32 s11, s22, s9
	s_delay_alu instid0(SALU_CYCLE_1) | instskip(NEXT) | instid1(SALU_CYCLE_1)
	s_lshl_b32 s24, s11, 6
	s_lshl_b64 s[12:13], s[24:25], 2
	s_delay_alu instid0(SALU_CYCLE_1) | instskip(NEXT) | instid1(VALU_DEP_1)
	s_add_u32 s27, s2, s12
	v_ashrrev_i32_e32 v8, 31, v7
	s_addc_u32 s28, s3, s13
	s_lshl_b32 s24, s9, 5
	s_cmp_gt_i32 s9, 0
	s_cselect_b32 s11, -1, 0
	v_lshlrev_b64 v[2:3], 2, v[7:8]
	s_cmp_lt_i32 s9, 1
	s_delay_alu instid0(VALU_DEP_1) | instskip(NEXT) | instid1(VALU_DEP_2)
	v_add_co_u32 v5, vcc_lo, s27, v2
	v_add_co_ci_u32_e32 v6, vcc_lo, s28, v3, vcc_lo
	s_cbranch_scc1 .LBB151_7
; %bb.3:
	s_load_b64 s[12:13], s[0:1], 0x28
	v_dual_mov_b32 v1, 0 :: v_dual_mov_b32 v4, v0
	s_delay_alu instid0(VALU_DEP_2)
	v_dual_mov_b32 v10, v6 :: v_dual_mov_b32 v9, v5
	s_mul_i32 s16, s22, s8
	s_lshl_b64 s[14:15], s[24:25], 2
	s_mov_b32 s17, s9
	s_set_inst_prefetch_distance 0x1
	s_branch .LBB151_5
	.p2align	6
.LBB151_4:                              ;   in Loop: Header=BB151_5 Depth=1
	s_or_b32 exec_lo, exec_lo, s2
	v_add_co_u32 v9, vcc_lo, v9, 4
	v_add_co_ci_u32_e32 v10, vcc_lo, 0, v10, vcc_lo
	v_add_nc_u32_e32 v4, 32, v4
	s_add_i32 s17, s17, -1
	s_delay_alu instid0(SALU_CYCLE_1)
	s_cmp_eq_u32 s17, 0
	s_cbranch_scc1 .LBB151_7
.LBB151_5:                              ; =>This Inner Loop Header: Depth=1
	s_delay_alu instid0(VALU_DEP_1) | instskip(SKIP_2) | instid1(VALU_DEP_1)
	v_add_nc_u32_e32 v13, s16, v4
	v_cmp_gt_u32_e32 vcc_lo, s8, v4
	v_add_co_u32 v11, s3, v9, s14
	v_add_co_ci_u32_e64 v12, s3, s15, v10, s3
	s_delay_alu instid0(VALU_DEP_4) | instskip(SKIP_4) | instid1(SALU_CYCLE_1)
	v_cmp_gt_i32_e64 s2, s5, v13
	s_clause 0x1
	global_store_b32 v[9:10], v1, off
	global_store_b32 v[11:12], v1, off
	s_and_b32 s3, vcc_lo, s2
	s_and_saveexec_b32 s2, s3
	s_cbranch_execz .LBB151_4
; %bb.6:                                ;   in Loop: Header=BB151_5 Depth=1
	v_ashrrev_i32_e32 v14, 31, v13
	s_delay_alu instid0(VALU_DEP_1) | instskip(SKIP_1) | instid1(VALU_DEP_1)
	v_lshlrev_b64 v[13:14], 2, v[13:14]
	s_waitcnt lgkmcnt(0)
	v_add_co_u32 v13, vcc_lo, s12, v13
	s_delay_alu instid0(VALU_DEP_2)
	v_add_co_ci_u32_e32 v14, vcc_lo, s13, v14, vcc_lo
	global_load_b64 v[13:14], v[13:14], off
	s_waitcnt vmcnt(0)
	v_subrev_nc_u32_e32 v13, s10, v13
	v_subrev_nc_u32_e32 v14, s10, v14
	s_clause 0x1
	global_store_b32 v[9:10], v13, off
	global_store_b32 v[11:12], v14, off
	s_branch .LBB151_4
.LBB151_7:
	s_set_inst_prefetch_distance 0x2
	s_cmp_lt_i32 s6, 1
	s_cbranch_scc1 .LBB151_37
; %bb.8:
	s_waitcnt lgkmcnt(0)
	s_clause 0x4
	s_load_b128 s[12:15], s[0:1], 0x60
	s_load_b64 s[2:3], s[0:1], 0x20
	s_load_b64 s[16:17], s[0:1], 0x50
	;; [unrolled: 1-line block ×4, first 2 shown]
	s_lshl_b64 s[30:31], s[24:25], 2
	s_mul_i32 s22, s24, s22
	s_mov_b32 s23, 0
	s_add_u32 s1, s27, s30
	s_addc_u32 s27, s28, s31
	s_lshl_b64 s[24:25], s[22:23], 2
	v_mbcnt_lo_u32_b32 v4, -1, 0
	v_add_co_u32 v24, vcc_lo, s1, v2
	v_add_co_ci_u32_e32 v25, vcc_lo, s27, v3, vcc_lo
	s_delay_alu instid0(VALU_DEP_3)
	v_xor_b32_e32 v10, 16, v4
	v_xor_b32_e32 v13, 8, v4
	;; [unrolled: 1-line block ×4, first 2 shown]
	s_waitcnt lgkmcnt(0)
	s_add_u32 s24, s12, s24
	s_addc_u32 s25, s13, s25
	s_lshl_b64 s[12:13], s[22:23], 4
	v_cmp_gt_i32_e32 vcc_lo, 32, v10
	s_add_u32 s14, s14, s12
	s_addc_u32 s15, s15, s13
	s_cmp_lg_u32 s4, 0
	v_xor_b32_e32 v16, 1, v4
	s_cselect_b32 s12, -1, 0
	s_abs_i32 s13, s8
	v_lshlrev_b64 v[11:12], 4, v[7:8]
	v_cvt_f32_u32_e32 v9, s13
	s_sub_i32 s1, 0, s13
	v_mul_lo_u32 v23, v0, s8
	v_cmp_eq_u32_e64 s0, 31, v0
	v_dual_mov_b32 v22, 0x7c :: v_dual_mov_b32 v1, 0
	v_rcp_iflag_f32_e32 v9, v9
	v_dual_mov_b32 v8, 0 :: v_dual_mov_b32 v7, 0
	s_mul_hi_i32 s5, s8, s8
	s_mul_i32 s4, s8, s8
	v_cndmask_b32_e32 v10, v4, v10, vcc_lo
	v_cmp_gt_i32_e32 vcc_lo, 32, v13
	v_dual_mov_b32 v33, 0 :: v_dual_mov_b32 v32, 0
	s_waitcnt_depctr 0xfff
	v_mul_f32_e32 v9, 0x4f7ffffe, v9
	v_dual_cndmask_b32 v13, v4, v13 :: v_dual_lshlrev_b32 v26, 2, v10
	v_cmp_gt_i32_e32 vcc_lo, 32, v14
	s_delay_alu instid0(VALU_DEP_3) | instskip(NEXT) | instid1(VALU_DEP_3)
	v_cvt_u32_f32_e32 v17, v9
	v_lshlrev_b32_e32 v27, 2, v13
	v_cndmask_b32_e32 v9, v4, v14, vcc_lo
	v_cmp_gt_i32_e32 vcc_lo, 32, v15
	v_cndmask_b32_e32 v14, v4, v15, vcc_lo
	v_cmp_gt_i32_e32 vcc_lo, 32, v16
	v_mul_lo_u32 v15, s1, v17
	s_delay_alu instid0(VALU_DEP_3) | instskip(NEXT) | instid1(VALU_DEP_1)
	v_dual_cndmask_b32 v4, v4, v16 :: v_dual_lshlrev_b32 v29, 2, v14
	v_lshlrev_b32_e32 v30, 2, v4
	s_delay_alu instid0(VALU_DEP_3)
	v_mul_hi_u32 v4, v17, v15
	v_lshlrev_b32_e32 v28, 2, v9
	v_add_co_u32 v9, vcc_lo, s24, v2
	v_add_co_ci_u32_e32 v10, vcc_lo, s25, v3, vcc_lo
	v_add_co_u32 v11, vcc_lo, s14, v11
	v_add_co_ci_u32_e32 v12, vcc_lo, s15, v12, vcc_lo
	v_add_nc_u32_e32 v31, v17, v4
	s_add_i32 s14, s7, -1
	s_ashr_i32 s15, s8, 31
	s_lshl_b32 s24, s8, 5
	s_mov_b32 s25, 0
	s_branch .LBB151_10
.LBB151_9:                              ;   in Loop: Header=BB151_10 Depth=1
	s_waitcnt lgkmcnt(1)
	v_add_nc_u32_e32 v7, 1, v4
	s_delay_alu instid0(VALU_DEP_1) | instskip(SKIP_1) | instid1(SALU_CYCLE_1)
	v_cmp_le_i32_e32 vcc_lo, s6, v7
	s_or_b32 s25, vcc_lo, s25
	s_and_not1_b32 exec_lo, exec_lo, s25
	s_cbranch_execz .LBB151_37
.LBB151_10:                             ; =>This Loop Header: Depth=1
                                        ;     Child Loop BB151_14 Depth 2
                                        ;       Child Loop BB151_17 Depth 3
                                        ;     Child Loop BB151_31 Depth 2
	v_mov_b32_e32 v34, s6
	s_and_not1_b32 vcc_lo, exec_lo, s11
	s_cbranch_vccnz .LBB151_23
; %bb.11:                               ;   in Loop: Header=BB151_10 Depth=1
	v_mov_b32_e32 v34, s6
	s_mov_b32 s22, 0
	s_branch .LBB151_14
.LBB151_12:                             ;   in Loop: Header=BB151_14 Depth=2
	s_or_b32 exec_lo, exec_lo, s1
.LBB151_13:                             ;   in Loop: Header=BB151_14 Depth=2
	s_delay_alu instid0(SALU_CYCLE_1) | instskip(SKIP_1) | instid1(SALU_CYCLE_1)
	s_or_b32 exec_lo, exec_lo, s27
	s_add_i32 s22, s22, 1
	s_cmp_eq_u32 s22, s9
	s_cbranch_scc1 .LBB151_23
.LBB151_14:                             ;   Parent Loop BB151_10 Depth=1
                                        ; =>  This Loop Header: Depth=2
                                        ;       Child Loop BB151_17 Depth 3
	s_lshl_b64 s[28:29], s[22:23], 2
	s_lshl_b64 s[30:31], s[22:23], 4
	v_add_co_u32 v13, vcc_lo, v5, s28
	v_add_co_ci_u32_e32 v14, vcc_lo, s29, v6, vcc_lo
	v_add_co_u32 v2, vcc_lo, v24, s28
	v_add_co_ci_u32_e32 v3, vcc_lo, s29, v25, vcc_lo
	v_add_co_u32 v17, vcc_lo, v11, s30
	s_clause 0x1
	global_load_b32 v19, v[13:14], off
	global_load_b32 v35, v[2:3], off
	v_add_co_ci_u32_e32 v18, vcc_lo, s31, v12, vcc_lo
	v_add_co_u32 v15, vcc_lo, v9, s28
	v_mov_b32_e32 v2, v1
	v_dual_mov_b32 v3, v1 :: v_dual_mov_b32 v20, s6
	v_mov_b32_e32 v4, v1
	v_add_co_ci_u32_e32 v16, vcc_lo, s29, v10, vcc_lo
	s_mov_b32 s27, exec_lo
	global_store_b128 v[17:18], v[1:4], off
	global_store_b32 v[15:16], v20, off
	s_waitcnt vmcnt(0)
	v_cmpx_lt_i32_e64 v19, v35
	s_cbranch_execz .LBB151_13
; %bb.15:                               ;   in Loop: Header=BB151_14 Depth=2
	v_ashrrev_i32_e32 v20, 31, v19
	s_mov_b32 s28, 0
                                        ; implicit-def: $sgpr29
                                        ; implicit-def: $sgpr31
                                        ; implicit-def: $sgpr30
	s_delay_alu instid0(VALU_DEP_1) | instskip(SKIP_1) | instid1(VALU_DEP_2)
	v_lshlrev_b64 v[2:3], 4, v[19:20]
	v_lshlrev_b64 v[20:21], 2, v[19:20]
	v_add_co_u32 v2, vcc_lo, s2, v2
	s_delay_alu instid0(VALU_DEP_3) | instskip(NEXT) | instid1(VALU_DEP_3)
	v_add_co_ci_u32_e32 v3, vcc_lo, s3, v3, vcc_lo
	v_add_co_u32 v20, vcc_lo, s20, v20
	s_delay_alu instid0(VALU_DEP_4)
	v_add_co_ci_u32_e32 v21, vcc_lo, s21, v21, vcc_lo
	s_set_inst_prefetch_distance 0x1
	s_branch .LBB151_17
	.p2align	6
.LBB151_16:                             ;   in Loop: Header=BB151_17 Depth=3
	s_or_b32 exec_lo, exec_lo, s33
	s_delay_alu instid0(SALU_CYCLE_1) | instskip(NEXT) | instid1(SALU_CYCLE_1)
	s_and_b32 s1, exec_lo, s31
	s_or_b32 s28, s1, s28
	s_and_not1_b32 s1, s29, exec_lo
	s_and_b32 s29, s30, exec_lo
	s_delay_alu instid0(SALU_CYCLE_1)
	s_or_b32 s29, s1, s29
	s_and_not1_b32 exec_lo, exec_lo, s28
	s_cbranch_execz .LBB151_19
.LBB151_17:                             ;   Parent Loop BB151_10 Depth=1
                                        ;     Parent Loop BB151_14 Depth=2
                                        ; =>    This Inner Loop Header: Depth=3
	global_load_b128 v[36:39], v[2:3], off
	s_or_b32 s30, s30, exec_lo
	s_or_b32 s31, s31, exec_lo
	s_mov_b32 s33, exec_lo
	s_waitcnt vmcnt(0)
	global_store_b128 v[17:18], v[36:39], off
	global_load_b32 v4, v[20:21], off
	s_waitcnt vmcnt(0)
	v_subrev_nc_u32_e32 v36, s10, v4
	v_mov_b32_e32 v4, v19
                                        ; implicit-def: $vgpr19
	s_delay_alu instid0(VALU_DEP_2)
	v_cmpx_lt_i32_e64 v36, v7
	s_cbranch_execz .LBB151_16
; %bb.18:                               ;   in Loop: Header=BB151_17 Depth=3
	s_delay_alu instid0(VALU_DEP_2) | instskip(SKIP_2) | instid1(VALU_DEP_3)
	v_add_nc_u32_e32 v19, 1, v4
	v_add_co_u32 v2, vcc_lo, v2, 16
	v_add_co_ci_u32_e32 v3, vcc_lo, 0, v3, vcc_lo
	v_cmp_ge_i32_e32 vcc_lo, v19, v35
	v_add_co_u32 v20, s1, v20, 4
	s_delay_alu instid0(VALU_DEP_1)
	v_add_co_ci_u32_e64 v21, s1, 0, v21, s1
	s_and_not1_b32 s1, s31, exec_lo
	s_and_b32 s31, vcc_lo, exec_lo
	s_and_not1_b32 s30, s30, exec_lo
	s_or_b32 s31, s1, s31
	s_branch .LBB151_16
.LBB151_19:                             ;   in Loop: Header=BB151_14 Depth=2
	s_set_inst_prefetch_distance 0x2
	s_or_b32 exec_lo, exec_lo, s28
	s_xor_b32 s1, s29, -1
	s_delay_alu instid0(SALU_CYCLE_1) | instskip(NEXT) | instid1(SALU_CYCLE_1)
	s_and_saveexec_b32 s28, s1
	s_xor_b32 s1, exec_lo, s28
	s_cbranch_execz .LBB151_21
; %bb.20:                               ;   in Loop: Header=BB151_14 Depth=2
	global_store_b32 v[15:16], v36, off
                                        ; implicit-def: $vgpr15_vgpr16
                                        ; implicit-def: $vgpr13_vgpr14
.LBB151_21:                             ;   in Loop: Header=BB151_14 Depth=2
	s_and_not1_saveexec_b32 s1, s1
	s_cbranch_execz .LBB151_12
; %bb.22:                               ;   in Loop: Header=BB151_14 Depth=2
	v_min_i32_e32 v34, v36, v34
	global_store_b32 v[15:16], v36, off
	global_store_b32 v[13:14], v4, off
	s_branch .LBB151_12
.LBB151_23:                             ;   in Loop: Header=BB151_10 Depth=1
	ds_bpermute_b32 v2, v26, v34
	s_waitcnt lgkmcnt(0)
	v_min_i32_e32 v2, v2, v34
	ds_bpermute_b32 v3, v27, v2
	s_waitcnt lgkmcnt(0)
	v_min_i32_e32 v2, v3, v2
	;; [unrolled: 3-line block ×5, first 2 shown]
	s_delay_alu instid0(VALU_DEP_1) | instskip(SKIP_1) | instid1(SALU_CYCLE_1)
	v_cmp_gt_i32_e32 vcc_lo, s6, v2
	s_and_b32 s22, s0, vcc_lo
	s_and_saveexec_b32 s1, s22
	s_cbranch_execz .LBB151_27
; %bb.24:                               ;   in Loop: Header=BB151_10 Depth=1
	v_sub_nc_u32_e32 v3, 0, v2
	s_mov_b32 s22, exec_lo
	s_delay_alu instid0(VALU_DEP_1) | instskip(NEXT) | instid1(VALU_DEP_1)
	v_max_i32_e32 v3, v2, v3
	v_mul_hi_u32 v4, v3, v31
	s_delay_alu instid0(VALU_DEP_1) | instskip(NEXT) | instid1(VALU_DEP_1)
	v_mul_lo_u32 v7, v4, s13
	v_sub_nc_u32_e32 v3, v3, v7
	v_add_nc_u32_e32 v7, 1, v4
	s_delay_alu instid0(VALU_DEP_2) | instskip(SKIP_1) | instid1(VALU_DEP_2)
	v_subrev_nc_u32_e32 v13, s13, v3
	v_cmp_le_u32_e32 vcc_lo, s13, v3
	v_dual_cndmask_b32 v4, v4, v7 :: v_dual_cndmask_b32 v3, v3, v13
	v_ashrrev_i32_e32 v7, 31, v2
	s_delay_alu instid0(VALU_DEP_2) | instskip(NEXT) | instid1(VALU_DEP_3)
	v_add_nc_u32_e32 v13, 1, v4
	v_cmp_le_u32_e32 vcc_lo, s13, v3
	s_delay_alu instid0(VALU_DEP_3) | instskip(NEXT) | instid1(VALU_DEP_3)
	v_xor_b32_e32 v7, s15, v7
	v_cndmask_b32_e32 v3, v4, v13, vcc_lo
	s_delay_alu instid0(VALU_DEP_1) | instskip(NEXT) | instid1(VALU_DEP_1)
	v_xor_b32_e32 v3, v3, v7
	v_sub_nc_u32_e32 v3, v3, v7
	s_delay_alu instid0(VALU_DEP_1)
	v_cmpx_ge_i32_e64 v3, v32
	s_cbranch_execz .LBB151_26
; %bb.25:                               ;   in Loop: Header=BB151_10 Depth=1
	v_add_nc_u32_e32 v13, s7, v33
	v_add_nc_u32_e32 v32, 1, v3
	;; [unrolled: 1-line block ×4, first 2 shown]
	s_delay_alu instid0(VALU_DEP_4) | instskip(NEXT) | instid1(VALU_DEP_1)
	v_ashrrev_i32_e32 v14, 31, v13
	v_lshlrev_b64 v[13:14], 2, v[13:14]
	s_delay_alu instid0(VALU_DEP_1) | instskip(NEXT) | instid1(VALU_DEP_2)
	v_add_co_u32 v13, vcc_lo, s16, v13
	v_add_co_ci_u32_e32 v14, vcc_lo, s17, v14, vcc_lo
	global_store_b32 v[13:14], v3, off
.LBB151_26:                             ;   in Loop: Header=BB151_10 Depth=1
	s_or_b32 exec_lo, exec_lo, s22
.LBB151_27:                             ;   in Loop: Header=BB151_10 Depth=1
	s_delay_alu instid0(SALU_CYCLE_1)
	s_or_b32 exec_lo, exec_lo, s1
	ds_bpermute_b32 v4, v22, v2
	ds_bpermute_b32 v33, v22, v33
	s_and_not1_b32 vcc_lo, exec_lo, s11
	s_cbranch_vccnz .LBB151_9
; %bb.28:                               ;   in Loop: Header=BB151_10 Depth=1
	s_waitcnt lgkmcnt(1)
	v_sub_nc_u32_e32 v2, 0, v4
	s_mov_b32 s1, s9
	s_delay_alu instid0(VALU_DEP_1) | instskip(NEXT) | instid1(VALU_DEP_1)
	v_max_i32_e32 v2, v4, v2
	v_mul_hi_u32 v7, v2, v31
	s_delay_alu instid0(VALU_DEP_1) | instskip(SKIP_1) | instid1(VALU_DEP_2)
	v_mul_lo_u32 v3, v7, s13
	v_add_nc_u32_e32 v17, 1, v7
	v_sub_nc_u32_e32 v16, v2, v3
	s_delay_alu instid0(VALU_DEP_1) | instskip(SKIP_3) | instid1(VALU_DEP_2)
	v_cmp_le_u32_e32 vcc_lo, s13, v16
	s_waitcnt lgkmcnt(0)
	v_add_nc_u32_e32 v13, s14, v33
	v_cndmask_b32_e32 v7, v7, v17, vcc_lo
	v_ashrrev_i32_e32 v14, 31, v13
	v_mul_lo_u32 v15, s5, v13
	v_mad_u64_u32 v[2:3], null, s4, v13, 0
	v_ashrrev_i32_e32 v17, 31, v4
	s_delay_alu instid0(VALU_DEP_4) | instskip(SKIP_1) | instid1(VALU_DEP_3)
	v_mul_lo_u32 v13, s4, v14
	v_subrev_nc_u32_e32 v14, s13, v16
	v_xor_b32_e32 v18, s15, v17
	s_delay_alu instid0(VALU_DEP_2) | instskip(NEXT) | instid1(VALU_DEP_4)
	v_cndmask_b32_e32 v14, v16, v14, vcc_lo
	v_add3_u32 v3, v3, v13, v15
	v_mov_b32_e32 v15, v0
	s_delay_alu instid0(VALU_DEP_3) | instskip(SKIP_2) | instid1(VALU_DEP_1)
	v_cmp_le_u32_e32 vcc_lo, s13, v14
	v_mov_b32_e32 v14, v10
	v_dual_mov_b32 v13, v9 :: v_dual_add_nc_u32 v16, 1, v7
	v_cndmask_b32_e32 v7, v7, v16, vcc_lo
	v_lshlrev_b64 v[16:17], 4, v[2:3]
	v_dual_mov_b32 v2, v11 :: v_dual_mov_b32 v3, v12
	s_delay_alu instid0(VALU_DEP_3) | instskip(NEXT) | instid1(VALU_DEP_3)
	v_xor_b32_e32 v7, v7, v18
	v_add_co_u32 v21, vcc_lo, s18, v16
	s_delay_alu instid0(VALU_DEP_4) | instskip(NEXT) | instid1(VALU_DEP_3)
	v_add_co_ci_u32_e32 v34, vcc_lo, s19, v17, vcc_lo
	v_sub_nc_u32_e32 v35, v7, v18
	v_mov_b32_e32 v7, v23
	s_branch .LBB151_31
.LBB151_29:                             ;   in Loop: Header=BB151_31 Depth=2
	global_load_b128 v[36:39], v[2:3], off
	v_lshlrev_b64 v[16:17], 4, v[17:18]
	v_lshlrev_b64 v[18:19], 4, v[19:20]
	s_delay_alu instid0(VALU_DEP_2) | instskip(NEXT) | instid1(VALU_DEP_3)
	v_add_co_u32 v16, vcc_lo, v21, v16
	v_add_co_ci_u32_e32 v17, vcc_lo, v34, v17, vcc_lo
	s_delay_alu instid0(VALU_DEP_2) | instskip(NEXT) | instid1(VALU_DEP_2)
	v_add_co_u32 v16, vcc_lo, v16, v18
	v_add_co_ci_u32_e32 v17, vcc_lo, v17, v19, vcc_lo
	s_waitcnt vmcnt(0)
	global_store_b128 v[16:17], v[36:39], off
.LBB151_30:                             ;   in Loop: Header=BB151_31 Depth=2
	s_or_b32 exec_lo, exec_lo, s22
	v_add_co_u32 v13, vcc_lo, v13, 4
	v_add_co_ci_u32_e32 v14, vcc_lo, 0, v14, vcc_lo
	v_add_co_u32 v2, vcc_lo, v2, 16
	v_add_nc_u32_e32 v7, s24, v7
	v_add_nc_u32_e32 v15, 32, v15
	v_add_co_ci_u32_e32 v3, vcc_lo, 0, v3, vcc_lo
	s_add_i32 s1, s1, -1
	s_delay_alu instid0(SALU_CYCLE_1)
	s_cmp_eq_u32 s1, 0
	s_cbranch_scc1 .LBB151_9
.LBB151_31:                             ;   Parent Loop BB151_10 Depth=1
                                        ; =>  This Inner Loop Header: Depth=2
	global_load_b32 v16, v[13:14], off
	s_mov_b32 s22, exec_lo
	s_waitcnt vmcnt(0)
	v_cmpx_gt_i32_e64 s6, v16
	s_cbranch_execz .LBB151_30
; %bb.32:                               ;   in Loop: Header=BB151_31 Depth=2
	v_sub_nc_u32_e32 v17, 0, v16
	v_ashrrev_i32_e32 v37, 31, v16
	s_delay_alu instid0(VALU_DEP_2) | instskip(NEXT) | instid1(VALU_DEP_2)
	v_max_i32_e32 v17, v16, v17
	v_xor_b32_e32 v20, s15, v37
	s_delay_alu instid0(VALU_DEP_2) | instskip(NEXT) | instid1(VALU_DEP_1)
	v_mul_hi_u32 v18, v17, v31
	v_mul_lo_u32 v19, v18, s13
	s_delay_alu instid0(VALU_DEP_1) | instskip(SKIP_1) | instid1(VALU_DEP_2)
	v_sub_nc_u32_e32 v36, v17, v19
	v_add_nc_u32_e32 v17, 1, v18
	v_subrev_nc_u32_e32 v38, s13, v36
	v_cmp_le_u32_e32 vcc_lo, s13, v36
	s_delay_alu instid0(VALU_DEP_2) | instskip(NEXT) | instid1(VALU_DEP_1)
	v_dual_cndmask_b32 v17, v18, v17 :: v_dual_cndmask_b32 v18, v36, v38
	v_add_nc_u32_e32 v19, 1, v17
	s_delay_alu instid0(VALU_DEP_2) | instskip(NEXT) | instid1(VALU_DEP_2)
	v_cmp_le_u32_e32 vcc_lo, s13, v18
	v_cndmask_b32_e32 v17, v17, v19, vcc_lo
	s_delay_alu instid0(VALU_DEP_1) | instskip(NEXT) | instid1(VALU_DEP_1)
	v_xor_b32_e32 v17, v17, v20
	v_sub_nc_u32_e32 v17, v17, v20
	s_delay_alu instid0(VALU_DEP_1)
	v_cmp_eq_u32_e32 vcc_lo, v17, v35
	s_and_b32 exec_lo, exec_lo, vcc_lo
	s_cbranch_execz .LBB151_30
; %bb.33:                               ;   in Loop: Header=BB151_31 Depth=2
	s_and_b32 vcc_lo, exec_lo, s12
	s_cbranch_vccz .LBB151_35
; %bb.34:                               ;   in Loop: Header=BB151_31 Depth=2
	v_mul_lo_u32 v17, v35, s8
	s_delay_alu instid0(VALU_DEP_1) | instskip(NEXT) | instid1(VALU_DEP_1)
	v_sub_nc_u32_e32 v16, v16, v17
	v_mul_lo_u32 v17, v16, s8
	v_mov_b32_e32 v16, v1
	s_delay_alu instid0(VALU_DEP_1) | instskip(NEXT) | instid1(VALU_DEP_3)
	v_dual_mov_b32 v20, v16 :: v_dual_mov_b32 v19, v15
	v_ashrrev_i32_e32 v18, 31, v17
	s_cbranch_execnz .LBB151_29
	s_branch .LBB151_36
.LBB151_35:                             ;   in Loop: Header=BB151_31 Depth=2
                                        ; implicit-def: $vgpr19_vgpr20
                                        ; implicit-def: $vgpr17_vgpr18
.LBB151_36:                             ;   in Loop: Header=BB151_31 Depth=2
	v_cmp_le_u32_e32 vcc_lo, s13, v36
	v_cndmask_b32_e32 v16, v36, v38, vcc_lo
	s_delay_alu instid0(VALU_DEP_1) | instskip(SKIP_1) | instid1(VALU_DEP_2)
	v_subrev_nc_u32_e32 v17, s13, v16
	v_cmp_le_u32_e32 vcc_lo, s13, v16
	v_cndmask_b32_e32 v16, v16, v17, vcc_lo
	v_dual_mov_b32 v18, v8 :: v_dual_mov_b32 v17, v7
	s_delay_alu instid0(VALU_DEP_2) | instskip(NEXT) | instid1(VALU_DEP_1)
	v_xor_b32_e32 v16, v16, v37
	v_sub_nc_u32_e32 v19, v16, v37
	s_delay_alu instid0(VALU_DEP_1)
	v_ashrrev_i32_e32 v20, 31, v19
	s_branch .LBB151_29
.LBB151_37:
	s_nop 0
	s_sendmsg sendmsg(MSG_DEALLOC_VGPRS)
	s_endpgm
	.section	.rodata,"a",@progbits
	.p2align	6, 0x0
	.amdhsa_kernel _ZN9rocsparseL21csr2bsr_65_inf_kernelILj32E21rocsparse_complex_numIdEiiEEv20rocsparse_direction_T2_S4_S4_S4_S4_S4_21rocsparse_index_base_PKT0_PKT1_PKS4_S5_PS6_PS9_PS4_SF_SG_SE_
		.amdhsa_group_segment_fixed_size 0
		.amdhsa_private_segment_fixed_size 0
		.amdhsa_kernarg_size 112
		.amdhsa_user_sgpr_count 15
		.amdhsa_user_sgpr_dispatch_ptr 0
		.amdhsa_user_sgpr_queue_ptr 0
		.amdhsa_user_sgpr_kernarg_segment_ptr 1
		.amdhsa_user_sgpr_dispatch_id 0
		.amdhsa_user_sgpr_private_segment_size 0
		.amdhsa_wavefront_size32 1
		.amdhsa_uses_dynamic_stack 0
		.amdhsa_enable_private_segment 0
		.amdhsa_system_sgpr_workgroup_id_x 1
		.amdhsa_system_sgpr_workgroup_id_y 0
		.amdhsa_system_sgpr_workgroup_id_z 0
		.amdhsa_system_sgpr_workgroup_info 0
		.amdhsa_system_vgpr_workitem_id 0
		.amdhsa_next_free_vgpr 40
		.amdhsa_next_free_sgpr 34
		.amdhsa_reserve_vcc 1
		.amdhsa_float_round_mode_32 0
		.amdhsa_float_round_mode_16_64 0
		.amdhsa_float_denorm_mode_32 3
		.amdhsa_float_denorm_mode_16_64 3
		.amdhsa_dx10_clamp 1
		.amdhsa_ieee_mode 1
		.amdhsa_fp16_overflow 0
		.amdhsa_workgroup_processor_mode 1
		.amdhsa_memory_ordered 1
		.amdhsa_forward_progress 0
		.amdhsa_shared_vgpr_count 0
		.amdhsa_exception_fp_ieee_invalid_op 0
		.amdhsa_exception_fp_denorm_src 0
		.amdhsa_exception_fp_ieee_div_zero 0
		.amdhsa_exception_fp_ieee_overflow 0
		.amdhsa_exception_fp_ieee_underflow 0
		.amdhsa_exception_fp_ieee_inexact 0
		.amdhsa_exception_int_div_zero 0
	.end_amdhsa_kernel
	.section	.text._ZN9rocsparseL21csr2bsr_65_inf_kernelILj32E21rocsparse_complex_numIdEiiEEv20rocsparse_direction_T2_S4_S4_S4_S4_S4_21rocsparse_index_base_PKT0_PKT1_PKS4_S5_PS6_PS9_PS4_SF_SG_SE_,"axG",@progbits,_ZN9rocsparseL21csr2bsr_65_inf_kernelILj32E21rocsparse_complex_numIdEiiEEv20rocsparse_direction_T2_S4_S4_S4_S4_S4_21rocsparse_index_base_PKT0_PKT1_PKS4_S5_PS6_PS9_PS4_SF_SG_SE_,comdat
.Lfunc_end151:
	.size	_ZN9rocsparseL21csr2bsr_65_inf_kernelILj32E21rocsparse_complex_numIdEiiEEv20rocsparse_direction_T2_S4_S4_S4_S4_S4_21rocsparse_index_base_PKT0_PKT1_PKS4_S5_PS6_PS9_PS4_SF_SG_SE_, .Lfunc_end151-_ZN9rocsparseL21csr2bsr_65_inf_kernelILj32E21rocsparse_complex_numIdEiiEEv20rocsparse_direction_T2_S4_S4_S4_S4_S4_21rocsparse_index_base_PKT0_PKT1_PKS4_S5_PS6_PS9_PS4_SF_SG_SE_
                                        ; -- End function
	.section	.AMDGPU.csdata,"",@progbits
; Kernel info:
; codeLenInByte = 2244
; NumSgprs: 36
; NumVgprs: 40
; ScratchSize: 0
; MemoryBound: 0
; FloatMode: 240
; IeeeMode: 1
; LDSByteSize: 0 bytes/workgroup (compile time only)
; SGPRBlocks: 4
; VGPRBlocks: 4
; NumSGPRsForWavesPerEU: 36
; NumVGPRsForWavesPerEU: 40
; Occupancy: 16
; WaveLimiterHint : 0
; COMPUTE_PGM_RSRC2:SCRATCH_EN: 0
; COMPUTE_PGM_RSRC2:USER_SGPR: 15
; COMPUTE_PGM_RSRC2:TRAP_HANDLER: 0
; COMPUTE_PGM_RSRC2:TGID_X_EN: 1
; COMPUTE_PGM_RSRC2:TGID_Y_EN: 0
; COMPUTE_PGM_RSRC2:TGID_Z_EN: 0
; COMPUTE_PGM_RSRC2:TIDIG_COMP_CNT: 0
	.section	.text._ZN9rocsparseL35csr2bsr_block_dim_equals_one_kernelILj256E21rocsparse_complex_numIdEliEEvT2_S3_S3_S3_21rocsparse_index_base_PKT0_PKT1_PKS3_S4_PS5_PS8_PS3_,"axG",@progbits,_ZN9rocsparseL35csr2bsr_block_dim_equals_one_kernelILj256E21rocsparse_complex_numIdEliEEvT2_S3_S3_S3_21rocsparse_index_base_PKT0_PKT1_PKS3_S4_PS5_PS8_PS3_,comdat
	.globl	_ZN9rocsparseL35csr2bsr_block_dim_equals_one_kernelILj256E21rocsparse_complex_numIdEliEEvT2_S3_S3_S3_21rocsparse_index_base_PKT0_PKT1_PKS3_S4_PS5_PS8_PS3_ ; -- Begin function _ZN9rocsparseL35csr2bsr_block_dim_equals_one_kernelILj256E21rocsparse_complex_numIdEliEEvT2_S3_S3_S3_21rocsparse_index_base_PKT0_PKT1_PKS3_S4_PS5_PS8_PS3_
	.p2align	8
	.type	_ZN9rocsparseL35csr2bsr_block_dim_equals_one_kernelILj256E21rocsparse_complex_numIdEliEEvT2_S3_S3_S3_21rocsparse_index_base_PKT0_PKT1_PKS3_S4_PS5_PS8_PS3_,@function
_ZN9rocsparseL35csr2bsr_block_dim_equals_one_kernelILj256E21rocsparse_complex_numIdEliEEvT2_S3_S3_S3_21rocsparse_index_base_PKT0_PKT1_PKS3_S4_PS5_PS8_PS3_: ; @_ZN9rocsparseL35csr2bsr_block_dim_equals_one_kernelILj256E21rocsparse_complex_numIdEliEEvT2_S3_S3_S3_21rocsparse_index_base_PKT0_PKT1_PKS3_S4_PS5_PS8_PS3_
; %bb.0:
	s_clause 0x1
	s_load_b32 s2, s[0:1], 0x0
	s_load_b128 s[4:7], s[0:1], 0x18
	v_lshl_or_b32 v0, s15, 8, v0
	s_delay_alu instid0(VALU_DEP_1) | instskip(SKIP_2) | instid1(SALU_CYCLE_1)
	v_ashrrev_i32_e32 v1, 31, v0
	s_waitcnt lgkmcnt(0)
	s_ashr_i32 s3, s2, 31
	s_lshl_b64 s[2:3], s[2:3], 3
	s_delay_alu instid0(SALU_CYCLE_1)
	s_add_u32 s2, s6, s2
	s_addc_u32 s3, s7, s3
	s_clause 0x1
	s_load_b64 s[2:3], s[2:3], 0x0
	s_load_b64 s[6:7], s[6:7], 0x0
	s_waitcnt lgkmcnt(0)
	s_sub_u32 s2, s2, s6
	s_subb_u32 s3, s3, s7
	s_mov_b32 s6, exec_lo
	v_cmpx_gt_i64_e64 s[2:3], v[0:1]
	s_cbranch_execz .LBB152_3
; %bb.1:
	s_clause 0x5
	s_load_b32 s14, s[0:1], 0x30
	s_load_b64 s[6:7], s[0:1], 0x38
	s_load_b32 s12, s[0:1], 0x50
	s_load_b32 s15, s[0:1], 0x10
	s_load_b64 s[8:9], s[0:1], 0x28
	s_load_b64 s[10:11], s[0:1], 0x48
	v_lshlrev_b64 v[2:3], 4, v[0:1]
	v_lshlrev_b64 v[4:5], 2, v[0:1]
	s_mov_b32 s13, 0
	s_waitcnt lgkmcnt(0)
	s_lshl_b32 s12, s12, 8
	s_sub_i32 s1, s14, s15
	s_lshl_b64 s[14:15], s[12:13], 4
	s_lshl_b64 s[16:17], s[12:13], 2
	s_set_inst_prefetch_distance 0x1
	.p2align	6
.LBB152_2:                              ; =>This Inner Loop Header: Depth=1
	v_add_co_u32 v6, vcc_lo, s8, v4
	v_add_co_ci_u32_e32 v7, vcc_lo, s9, v5, vcc_lo
	global_load_b32 v9, v[6:7], off
	v_add_co_u32 v6, vcc_lo, s10, v4
	v_add_co_ci_u32_e32 v7, vcc_lo, s11, v5, vcc_lo
	v_add_co_u32 v8, vcc_lo, s4, v2
	v_add_co_u32 v4, s0, v4, s16
	s_delay_alu instid0(VALU_DEP_1)
	v_add_co_ci_u32_e64 v5, s0, s17, v5, s0
	s_waitcnt vmcnt(0)
	v_add_nc_u32_e32 v10, s1, v9
	v_add_co_ci_u32_e32 v9, vcc_lo, s5, v3, vcc_lo
	global_store_b32 v[6:7], v10, off
	global_load_b128 v[6:9], v[8:9], off
	v_add_co_u32 v10, vcc_lo, s6, v2
	v_add_co_ci_u32_e32 v11, vcc_lo, s7, v3, vcc_lo
	v_add_co_u32 v0, vcc_lo, v0, s12
	v_add_co_ci_u32_e32 v1, vcc_lo, 0, v1, vcc_lo
	;; [unrolled: 2-line block ×3, first 2 shown]
	s_delay_alu instid0(VALU_DEP_3)
	v_cmp_le_i64_e32 vcc_lo, s[2:3], v[0:1]
	s_or_b32 s13, vcc_lo, s13
	s_waitcnt vmcnt(0)
	global_store_b128 v[10:11], v[6:9], off
	s_and_not1_b32 exec_lo, exec_lo, s13
	s_cbranch_execnz .LBB152_2
.LBB152_3:
	s_set_inst_prefetch_distance 0x2
	s_nop 0
	s_sendmsg sendmsg(MSG_DEALLOC_VGPRS)
	s_endpgm
	.section	.rodata,"a",@progbits
	.p2align	6, 0x0
	.amdhsa_kernel _ZN9rocsparseL35csr2bsr_block_dim_equals_one_kernelILj256E21rocsparse_complex_numIdEliEEvT2_S3_S3_S3_21rocsparse_index_base_PKT0_PKT1_PKS3_S4_PS5_PS8_PS3_
		.amdhsa_group_segment_fixed_size 0
		.amdhsa_private_segment_fixed_size 0
		.amdhsa_kernarg_size 336
		.amdhsa_user_sgpr_count 15
		.amdhsa_user_sgpr_dispatch_ptr 0
		.amdhsa_user_sgpr_queue_ptr 0
		.amdhsa_user_sgpr_kernarg_segment_ptr 1
		.amdhsa_user_sgpr_dispatch_id 0
		.amdhsa_user_sgpr_private_segment_size 0
		.amdhsa_wavefront_size32 1
		.amdhsa_uses_dynamic_stack 0
		.amdhsa_enable_private_segment 0
		.amdhsa_system_sgpr_workgroup_id_x 1
		.amdhsa_system_sgpr_workgroup_id_y 0
		.amdhsa_system_sgpr_workgroup_id_z 0
		.amdhsa_system_sgpr_workgroup_info 0
		.amdhsa_system_vgpr_workitem_id 0
		.amdhsa_next_free_vgpr 12
		.amdhsa_next_free_sgpr 18
		.amdhsa_reserve_vcc 1
		.amdhsa_float_round_mode_32 0
		.amdhsa_float_round_mode_16_64 0
		.amdhsa_float_denorm_mode_32 3
		.amdhsa_float_denorm_mode_16_64 3
		.amdhsa_dx10_clamp 1
		.amdhsa_ieee_mode 1
		.amdhsa_fp16_overflow 0
		.amdhsa_workgroup_processor_mode 1
		.amdhsa_memory_ordered 1
		.amdhsa_forward_progress 0
		.amdhsa_shared_vgpr_count 0
		.amdhsa_exception_fp_ieee_invalid_op 0
		.amdhsa_exception_fp_denorm_src 0
		.amdhsa_exception_fp_ieee_div_zero 0
		.amdhsa_exception_fp_ieee_overflow 0
		.amdhsa_exception_fp_ieee_underflow 0
		.amdhsa_exception_fp_ieee_inexact 0
		.amdhsa_exception_int_div_zero 0
	.end_amdhsa_kernel
	.section	.text._ZN9rocsparseL35csr2bsr_block_dim_equals_one_kernelILj256E21rocsparse_complex_numIdEliEEvT2_S3_S3_S3_21rocsparse_index_base_PKT0_PKT1_PKS3_S4_PS5_PS8_PS3_,"axG",@progbits,_ZN9rocsparseL35csr2bsr_block_dim_equals_one_kernelILj256E21rocsparse_complex_numIdEliEEvT2_S3_S3_S3_21rocsparse_index_base_PKT0_PKT1_PKS3_S4_PS5_PS8_PS3_,comdat
.Lfunc_end152:
	.size	_ZN9rocsparseL35csr2bsr_block_dim_equals_one_kernelILj256E21rocsparse_complex_numIdEliEEvT2_S3_S3_S3_21rocsparse_index_base_PKT0_PKT1_PKS3_S4_PS5_PS8_PS3_, .Lfunc_end152-_ZN9rocsparseL35csr2bsr_block_dim_equals_one_kernelILj256E21rocsparse_complex_numIdEliEEvT2_S3_S3_S3_21rocsparse_index_base_PKT0_PKT1_PKS3_S4_PS5_PS8_PS3_
                                        ; -- End function
	.section	.AMDGPU.csdata,"",@progbits
; Kernel info:
; codeLenInByte = 376
; NumSgprs: 20
; NumVgprs: 12
; ScratchSize: 0
; MemoryBound: 0
; FloatMode: 240
; IeeeMode: 1
; LDSByteSize: 0 bytes/workgroup (compile time only)
; SGPRBlocks: 2
; VGPRBlocks: 1
; NumSGPRsForWavesPerEU: 20
; NumVGPRsForWavesPerEU: 12
; Occupancy: 16
; WaveLimiterHint : 0
; COMPUTE_PGM_RSRC2:SCRATCH_EN: 0
; COMPUTE_PGM_RSRC2:USER_SGPR: 15
; COMPUTE_PGM_RSRC2:TRAP_HANDLER: 0
; COMPUTE_PGM_RSRC2:TGID_X_EN: 1
; COMPUTE_PGM_RSRC2:TGID_Y_EN: 0
; COMPUTE_PGM_RSRC2:TGID_Z_EN: 0
; COMPUTE_PGM_RSRC2:TIDIG_COMP_CNT: 0
	.section	.text._ZN9rocsparseL42csr2bsr_wavefront_per_row_multipass_kernelILj256ELj16ELj4E21rocsparse_complex_numIdEliEEv20rocsparse_direction_T4_S4_S4_S4_S4_21rocsparse_index_base_PKT2_PKT3_PKS4_S5_PS6_PS9_PS4_,"axG",@progbits,_ZN9rocsparseL42csr2bsr_wavefront_per_row_multipass_kernelILj256ELj16ELj4E21rocsparse_complex_numIdEliEEv20rocsparse_direction_T4_S4_S4_S4_S4_21rocsparse_index_base_PKT2_PKT3_PKS4_S5_PS6_PS9_PS4_,comdat
	.globl	_ZN9rocsparseL42csr2bsr_wavefront_per_row_multipass_kernelILj256ELj16ELj4E21rocsparse_complex_numIdEliEEv20rocsparse_direction_T4_S4_S4_S4_S4_21rocsparse_index_base_PKT2_PKT3_PKS4_S5_PS6_PS9_PS4_ ; -- Begin function _ZN9rocsparseL42csr2bsr_wavefront_per_row_multipass_kernelILj256ELj16ELj4E21rocsparse_complex_numIdEliEEv20rocsparse_direction_T4_S4_S4_S4_S4_21rocsparse_index_base_PKT2_PKT3_PKS4_S5_PS6_PS9_PS4_
	.p2align	8
	.type	_ZN9rocsparseL42csr2bsr_wavefront_per_row_multipass_kernelILj256ELj16ELj4E21rocsparse_complex_numIdEliEEv20rocsparse_direction_T4_S4_S4_S4_S4_21rocsparse_index_base_PKT2_PKT3_PKS4_S5_PS6_PS9_PS4_,@function
_ZN9rocsparseL42csr2bsr_wavefront_per_row_multipass_kernelILj256ELj16ELj4E21rocsparse_complex_numIdEliEEv20rocsparse_direction_T4_S4_S4_S4_S4_21rocsparse_index_base_PKT2_PKT3_PKS4_S5_PS6_PS9_PS4_: ; @_ZN9rocsparseL42csr2bsr_wavefront_per_row_multipass_kernelILj256ELj16ELj4E21rocsparse_complex_numIdEliEEv20rocsparse_direction_T4_S4_S4_S4_S4_21rocsparse_index_base_PKT2_PKT3_PKS4_S5_PS6_PS9_PS4_
; %bb.0:
	s_clause 0x1
	s_load_b128 s[4:7], s[0:1], 0xc
	s_load_b64 s[10:11], s[0:1], 0x0
	v_lshrrev_b32_e32 v22, 4, v0
	v_bfe_u32 v2, v0, 2, 2
	s_load_b64 s[8:9], s[0:1], 0x28
	v_mov_b32_e32 v5, 0
	v_mov_b32_e32 v6, 0
	v_lshl_or_b32 v3, s15, 4, v22
	s_delay_alu instid0(VALU_DEP_2) | instskip(SKIP_1) | instid1(VALU_DEP_2)
	v_dual_mov_b32 v10, v6 :: v_dual_mov_b32 v9, v5
	s_waitcnt lgkmcnt(0)
	v_mad_u64_u32 v[7:8], null, v3, s6, v[2:3]
	v_cmp_gt_i32_e32 vcc_lo, s6, v2
	s_delay_alu instid0(VALU_DEP_2) | instskip(NEXT) | instid1(VALU_DEP_1)
	v_cmp_gt_i32_e64 s2, s11, v7
	s_and_b32 s3, vcc_lo, s2
	s_delay_alu instid0(SALU_CYCLE_1)
	s_and_saveexec_b32 s11, s3
	s_cbranch_execz .LBB153_2
; %bb.1:
	v_ashrrev_i32_e32 v8, 31, v7
	s_delay_alu instid0(VALU_DEP_1) | instskip(NEXT) | instid1(VALU_DEP_1)
	v_lshlrev_b64 v[8:9], 3, v[7:8]
	v_add_co_u32 v8, s2, s8, v8
	s_delay_alu instid0(VALU_DEP_1) | instskip(SKIP_3) | instid1(VALU_DEP_1)
	v_add_co_ci_u32_e64 v9, s2, s9, v9, s2
	global_load_b64 v[9:10], v[8:9], off
	s_waitcnt vmcnt(0)
	v_sub_co_u32 v9, s2, v9, s7
	v_subrev_co_ci_u32_e64 v10, s2, 0, v10, s2
.LBB153_2:
	s_or_b32 exec_lo, exec_lo, s11
	s_and_saveexec_b32 s11, s3
	s_cbranch_execz .LBB153_4
; %bb.3:
	v_ashrrev_i32_e32 v8, 31, v7
	s_delay_alu instid0(VALU_DEP_1) | instskip(NEXT) | instid1(VALU_DEP_1)
	v_lshlrev_b64 v[4:5], 3, v[7:8]
	v_add_co_u32 v4, s2, s8, v4
	s_delay_alu instid0(VALU_DEP_1) | instskip(SKIP_3) | instid1(VALU_DEP_1)
	v_add_co_ci_u32_e64 v5, s2, s9, v5, s2
	global_load_b64 v[5:6], v[4:5], off offset:8
	s_waitcnt vmcnt(0)
	v_sub_co_u32 v5, s2, v5, s7
	v_subrev_co_ci_u32_e64 v6, s2, 0, v6, s2
.LBB153_4:
	s_or_b32 exec_lo, exec_lo, s11
	s_load_b32 s12, s[0:1], 0x38
	v_mov_b32_e32 v7, 0
	v_mov_b32_e32 v8, 0
	s_mov_b32 s3, exec_lo
	v_cmpx_gt_i32_e64 s4, v3
	s_cbranch_execz .LBB153_6
; %bb.5:
	s_load_b64 s[8:9], s[0:1], 0x48
	v_ashrrev_i32_e32 v4, 31, v3
	s_delay_alu instid0(VALU_DEP_1) | instskip(SKIP_1) | instid1(VALU_DEP_1)
	v_lshlrev_b64 v[3:4], 3, v[3:4]
	s_waitcnt lgkmcnt(0)
	v_add_co_u32 v3, s2, s8, v3
	s_delay_alu instid0(VALU_DEP_1) | instskip(SKIP_3) | instid1(VALU_DEP_1)
	v_add_co_ci_u32_e64 v4, s2, s9, v4, s2
	global_load_b64 v[3:4], v[3:4], off
	s_waitcnt vmcnt(0)
	v_sub_co_u32 v7, s2, v3, s12
	v_subrev_co_ci_u32_e64 v8, s2, 0, v4, s2
.LBB153_6:
	s_or_b32 exec_lo, exec_lo, s3
	s_cmp_lt_i32 s5, 1
	s_cbranch_scc1 .LBB153_21
; %bb.7:
	s_load_b64 s[14:15], s[0:1], 0x40
	v_mov_b32_e32 v1, 0
	v_and_b32_e32 v23, 3, v0
	v_mul_lo_u32 v11, v2, s6
	v_and_b32_e32 v0, 0xf0, v0
	s_delay_alu instid0(VALU_DEP_4) | instskip(NEXT) | instid1(VALU_DEP_4)
	v_dual_mov_b32 v4, v1 :: v_dual_lshlrev_b32 v13, 4, v2
	v_mul_lo_u32 v3, v23, s6
	v_lshlrev_b32_e32 v14, 4, v23
	v_mov_b32_e32 v12, v1
	v_cmp_gt_u32_e64 s2, s6, v23
	v_mov_b32_e32 v34, 1
	s_delay_alu instid0(VALU_DEP_3) | instskip(SKIP_1) | instid1(VALU_DEP_4)
	v_lshlrev_b64 v[11:12], 4, v[11:12]
	v_lshlrev_b64 v[3:4], 4, v[3:4]
	s_and_b32 s4, vcc_lo, s2
	s_cmp_eq_u32 s10, 0
	s_clause 0x1
	s_load_b64 s[10:11], s[0:1], 0x50
	s_load_b64 s[8:9], s[0:1], 0x30
	s_waitcnt lgkmcnt(0)
	v_add_co_u32 v3, vcc_lo, s14, v3
	v_add_co_ci_u32_e32 v4, vcc_lo, s15, v4, vcc_lo
	v_add_co_u32 v11, vcc_lo, s14, v11
	v_add_co_ci_u32_e32 v12, vcc_lo, s15, v12, vcc_lo
	s_delay_alu instid0(VALU_DEP_4) | instskip(NEXT) | instid1(VALU_DEP_4)
	v_add_co_u32 v3, vcc_lo, v3, v13
	v_add_co_ci_u32_e32 v4, vcc_lo, 0, v4, vcc_lo
	s_delay_alu instid0(VALU_DEP_4) | instskip(NEXT) | instid1(VALU_DEP_4)
	v_add_co_u32 v11, vcc_lo, v11, v14
	v_add_co_ci_u32_e32 v12, vcc_lo, 0, v12, vcc_lo
	s_cselect_b32 vcc_lo, -1, 0
	s_abs_i32 s13, s6
	v_mbcnt_lo_u32_b32 v14, -1, 0
	v_cvt_f32_u32_e32 v13, s13
	v_dual_cndmask_b32 v31, v4, v12 :: v_dual_cndmask_b32 v32, v3, v11
	v_mov_b32_e32 v11, 0
	v_lshl_or_b32 v0, v2, 2, v0
	s_delay_alu instid0(VALU_DEP_4)
	v_rcp_iflag_f32_e32 v13, v13
	v_xor_b32_e32 v2, 2, v14
	v_lshlrev_b32_e32 v18, 2, v14
	v_xor_b32_e32 v16, 4, v14
	v_or_b32_e32 v15, v0, v23
	v_mov_b32_e32 v4, v1
	v_cmp_gt_i32_e64 s2, 32, v2
	v_or_b32_e32 v27, 12, v18
	v_or_b32_e32 v30, 60, v18
	s_delay_alu instid0(TRANS32_DEP_1) | instskip(NEXT) | instid1(VALU_DEP_4)
	v_dual_mul_f32 v13, 0x4f7ffffe, v13 :: v_dual_lshlrev_b32 v24, 4, v15
	v_cndmask_b32_e64 v2, v14, v2, s2
	s_load_b64 s[2:3], s[0:1], 0x20
	s_sub_i32 s0, 0, s13
	v_xor_b32_e32 v15, 8, v14
	s_delay_alu instid0(VALU_DEP_2)
	v_dual_mov_b32 v12, 0 :: v_dual_lshlrev_b32 v25, 2, v2
	v_cvt_u32_f32_e32 v2, v13
	v_xor_b32_e32 v13, 1, v14
	s_mov_b32 s1, 0
	s_mul_hi_u32 s14, s6, s6
	s_mul_i32 s15, s6, s6
	v_mul_lo_u32 v17, s0, v2
	v_cmp_gt_i32_e64 s0, 32, v13
	v_mov_b32_e32 v3, v1
	s_ashr_i32 s16, s6, 31
	s_delay_alu instid0(VALU_DEP_2) | instskip(SKIP_1) | instid1(VALU_DEP_2)
	v_cndmask_b32_e64 v13, v14, v13, s0
	v_cmp_gt_i32_e64 s0, 32, v15
	v_lshlrev_b32_e32 v26, 2, v13
	s_delay_alu instid0(VALU_DEP_2) | instskip(SKIP_1) | instid1(VALU_DEP_2)
	v_cndmask_b32_e64 v15, v14, v15, s0
	v_cmp_gt_i32_e64 s0, 32, v16
	v_lshlrev_b32_e32 v28, 2, v15
	s_delay_alu instid0(VALU_DEP_2) | instskip(SKIP_1) | instid1(VALU_DEP_2)
	v_cndmask_b32_e64 v14, v14, v16, s0
	v_mul_hi_u32 v16, v2, v17
	v_lshlrev_b32_e32 v29, 2, v14
	s_delay_alu instid0(VALU_DEP_2)
	v_dual_mov_b32 v2, v1 :: v_dual_add_nc_u32 v33, v2, v16
	s_branch .LBB153_10
.LBB153_8:                              ;   in Loop: Header=BB153_10 Depth=1
	s_or_b32 exec_lo, exec_lo, s17
	v_mov_b32_e32 v12, 1
	v_mov_b32_e32 v13, 0
.LBB153_9:                              ;   in Loop: Header=BB153_10 Depth=1
	s_or_b32 exec_lo, exec_lo, s0
	ds_bpermute_b32 v11, v28, v35
	v_add_co_u32 v7, s0, v12, v7
	s_delay_alu instid0(VALU_DEP_1)
	v_add_co_ci_u32_e64 v8, s0, v13, v8, s0
	s_waitcnt lgkmcnt(0)
	s_waitcnt_vscnt null, 0x0
	buffer_gl0_inv
	buffer_gl0_inv
	v_min_i32_e32 v11, v11, v35
	ds_bpermute_b32 v14, v29, v11
	s_waitcnt lgkmcnt(0)
	v_min_i32_e32 v11, v14, v11
	ds_bpermute_b32 v14, v25, v11
	s_waitcnt lgkmcnt(0)
	;; [unrolled: 3-line block ×4, first 2 shown]
	v_cmp_le_i32_e32 vcc_lo, s5, v11
	v_ashrrev_i32_e32 v12, 31, v11
	s_or_b32 s1, vcc_lo, s1
	s_delay_alu instid0(SALU_CYCLE_1)
	s_and_not1_b32 exec_lo, exec_lo, s1
	s_cbranch_execz .LBB153_21
.LBB153_10:                             ; =>This Loop Header: Depth=1
                                        ;     Child Loop BB153_13 Depth 2
	v_add_co_u32 v9, vcc_lo, v9, v23
	v_dual_mov_b32 v35, s5 :: v_dual_mov_b32 v18, v6
	v_add_co_ci_u32_e32 v10, vcc_lo, 0, v10, vcc_lo
	v_mov_b32_e32 v17, v5
	s_mov_b32 s17, exec_lo
	ds_store_b8 v22, v1 offset:4096
	ds_store_b128 v24, v[1:4]
	s_waitcnt lgkmcnt(0)
	buffer_gl0_inv
	v_cmpx_lt_i64_e64 v[9:10], v[5:6]
	s_cbranch_execz .LBB153_18
; %bb.11:                               ;   in Loop: Header=BB153_10 Depth=1
	v_lshlrev_b64 v[13:14], 4, v[9:10]
	v_lshlrev_b64 v[15:16], 2, v[9:10]
	v_dual_mov_b32 v35, s5 :: v_dual_mov_b32 v18, v6
	v_mov_b32_e32 v17, v5
	s_mov_b32 s18, 0
	s_delay_alu instid0(VALU_DEP_4)
	v_add_co_u32 v13, vcc_lo, s2, v13
	v_add_co_ci_u32_e32 v14, vcc_lo, s3, v14, vcc_lo
	v_add_co_u32 v15, vcc_lo, s8, v15
	v_add_co_ci_u32_e32 v16, vcc_lo, s9, v16, vcc_lo
	s_branch .LBB153_13
.LBB153_12:                             ;   in Loop: Header=BB153_13 Depth=2
	s_or_b32 exec_lo, exec_lo, s0
	v_add_co_u32 v9, s0, v9, 4
	s_delay_alu instid0(VALU_DEP_1) | instskip(SKIP_2) | instid1(VALU_DEP_2)
	v_add_co_ci_u32_e64 v10, s0, 0, v10, s0
	s_xor_b32 s19, vcc_lo, -1
	v_add_co_u32 v13, vcc_lo, v13, 64
	v_cmp_ge_i64_e64 s0, v[9:10], v[5:6]
	v_add_co_ci_u32_e32 v14, vcc_lo, 0, v14, vcc_lo
	v_add_co_u32 v15, vcc_lo, v15, 16
	v_add_co_ci_u32_e32 v16, vcc_lo, 0, v16, vcc_lo
	s_delay_alu instid0(VALU_DEP_4) | instskip(NEXT) | instid1(SALU_CYCLE_1)
	s_or_b32 s0, s19, s0
	s_and_b32 s0, exec_lo, s0
	s_delay_alu instid0(SALU_CYCLE_1) | instskip(NEXT) | instid1(SALU_CYCLE_1)
	s_or_b32 s18, s0, s18
	s_and_not1_b32 exec_lo, exec_lo, s18
	s_cbranch_execz .LBB153_17
.LBB153_13:                             ;   Parent Loop BB153_10 Depth=1
                                        ; =>  This Inner Loop Header: Depth=2
	global_load_b32 v19, v[15:16], off
	s_waitcnt vmcnt(0)
	v_subrev_nc_u32_e32 v36, s7, v19
	s_delay_alu instid0(VALU_DEP_1) | instskip(NEXT) | instid1(VALU_DEP_1)
	v_sub_nc_u32_e32 v19, 0, v36
	v_max_i32_e32 v19, v36, v19
	s_delay_alu instid0(VALU_DEP_1) | instskip(NEXT) | instid1(VALU_DEP_1)
	v_mul_hi_u32 v20, v19, v33
	v_mul_lo_u32 v21, v20, s13
	s_delay_alu instid0(VALU_DEP_1) | instskip(SKIP_1) | instid1(VALU_DEP_2)
	v_sub_nc_u32_e32 v19, v19, v21
	v_add_nc_u32_e32 v21, 1, v20
	v_subrev_nc_u32_e32 v37, s13, v19
	v_cmp_le_u32_e32 vcc_lo, s13, v19
	s_delay_alu instid0(VALU_DEP_3) | instskip(NEXT) | instid1(VALU_DEP_3)
	v_cndmask_b32_e32 v20, v20, v21, vcc_lo
	v_cndmask_b32_e32 v19, v19, v37, vcc_lo
	v_ashrrev_i32_e32 v21, 31, v36
	s_delay_alu instid0(VALU_DEP_3) | instskip(NEXT) | instid1(VALU_DEP_3)
	v_add_nc_u32_e32 v37, 1, v20
	v_cmp_le_u32_e32 vcc_lo, s13, v19
	s_delay_alu instid0(VALU_DEP_3) | instskip(NEXT) | instid1(VALU_DEP_3)
	v_xor_b32_e32 v21, s16, v21
	v_cndmask_b32_e32 v19, v20, v37, vcc_lo
	s_delay_alu instid0(VALU_DEP_1) | instskip(NEXT) | instid1(VALU_DEP_1)
	v_xor_b32_e32 v19, v19, v21
	v_sub_nc_u32_e32 v19, v19, v21
	s_delay_alu instid0(VALU_DEP_1) | instskip(NEXT) | instid1(VALU_DEP_1)
	v_ashrrev_i32_e32 v20, 31, v19
	v_cmp_eq_u64_e32 vcc_lo, v[11:12], v[19:20]
	v_cmp_ne_u64_e64 s0, v[11:12], v[19:20]
	v_dual_mov_b32 v21, v18 :: v_dual_mov_b32 v20, v17
	s_delay_alu instid0(VALU_DEP_2) | instskip(NEXT) | instid1(SALU_CYCLE_1)
	s_and_saveexec_b32 s19, s0
	s_xor_b32 s0, exec_lo, s19
; %bb.14:                               ;   in Loop: Header=BB153_13 Depth=2
	v_min_i32_e32 v35, v19, v35
                                        ; implicit-def: $vgpr19
                                        ; implicit-def: $vgpr36
                                        ; implicit-def: $vgpr20_vgpr21
; %bb.15:                               ;   in Loop: Header=BB153_13 Depth=2
	s_or_saveexec_b32 s0, s0
	v_dual_mov_b32 v18, v10 :: v_dual_mov_b32 v17, v9
	s_xor_b32 exec_lo, exec_lo, s0
	s_cbranch_execz .LBB153_12
; %bb.16:                               ;   in Loop: Header=BB153_13 Depth=2
	global_load_b128 v[37:40], v[13:14], off
	v_mul_lo_u32 v17, v19, s6
	s_delay_alu instid0(VALU_DEP_1) | instskip(NEXT) | instid1(VALU_DEP_1)
	v_sub_nc_u32_e32 v17, v36, v17
	v_add_lshl_u32 v19, v17, v0, 4
	v_dual_mov_b32 v17, v20 :: v_dual_mov_b32 v18, v21
	ds_store_b8 v22, v34 offset:4096
	s_waitcnt vmcnt(0)
	ds_store_2addr_b64 v19, v[37:38], v[39:40] offset1:1
	s_branch .LBB153_12
.LBB153_17:                             ;   in Loop: Header=BB153_10 Depth=1
	s_or_b32 exec_lo, exec_lo, s18
.LBB153_18:                             ;   in Loop: Header=BB153_10 Depth=1
	s_delay_alu instid0(SALU_CYCLE_1)
	s_or_b32 exec_lo, exec_lo, s17
	ds_bpermute_b32 v9, v25, v17
	ds_bpermute_b32 v10, v25, v18
	s_waitcnt lgkmcnt(0)
	buffer_gl0_inv
	ds_load_u8 v14, v22 offset:4096
	s_mov_b32 s0, exec_lo
	v_cmp_lt_i64_e32 vcc_lo, v[9:10], v[17:18]
	s_waitcnt lgkmcnt(0)
	v_and_b32_e32 v14, 1, v14
	v_dual_cndmask_b32 v10, v18, v10 :: v_dual_cndmask_b32 v9, v17, v9
	ds_bpermute_b32 v13, v26, v10
	ds_bpermute_b32 v12, v26, v9
	s_waitcnt lgkmcnt(0)
	v_cmp_lt_i64_e32 vcc_lo, v[12:13], v[9:10]
	v_dual_cndmask_b32 v10, v10, v13 :: v_dual_cndmask_b32 v9, v9, v12
	v_mov_b32_e32 v12, 0
	v_mov_b32_e32 v13, 0
	ds_bpermute_b32 v10, v27, v10
	ds_bpermute_b32 v9, v27, v9
	v_cmpx_eq_u32_e32 1, v14
	s_cbranch_execz .LBB153_9
; %bb.19:                               ;   in Loop: Header=BB153_10 Depth=1
	v_lshlrev_b64 v[12:13], 2, v[7:8]
	v_add_nc_u32_e32 v14, s12, v11
	s_delay_alu instid0(VALU_DEP_2) | instskip(NEXT) | instid1(VALU_DEP_3)
	v_add_co_u32 v11, vcc_lo, s10, v12
	v_add_co_ci_u32_e32 v12, vcc_lo, s11, v13, vcc_lo
	global_store_b32 v[11:12], v14, off
	s_and_saveexec_b32 s17, s4
	s_cbranch_execz .LBB153_8
; %bb.20:                               ;   in Loop: Header=BB153_10 Depth=1
	v_mul_lo_u32 v17, s14, v7
	v_mul_lo_u32 v18, s15, v8
	v_mad_u64_u32 v[15:16], null, s15, v7, 0
	ds_load_2addr_b64 v[11:14], v24 offset1:1
	v_add3_u32 v16, v16, v18, v17
	s_delay_alu instid0(VALU_DEP_1) | instskip(NEXT) | instid1(VALU_DEP_1)
	v_lshlrev_b64 v[15:16], 4, v[15:16]
	v_add_co_u32 v15, vcc_lo, v32, v15
	s_delay_alu instid0(VALU_DEP_2)
	v_add_co_ci_u32_e32 v16, vcc_lo, v31, v16, vcc_lo
	s_waitcnt lgkmcnt(0)
	global_store_b128 v[15:16], v[11:14], off
	s_branch .LBB153_8
.LBB153_21:
	s_endpgm
	.section	.rodata,"a",@progbits
	.p2align	6, 0x0
	.amdhsa_kernel _ZN9rocsparseL42csr2bsr_wavefront_per_row_multipass_kernelILj256ELj16ELj4E21rocsparse_complex_numIdEliEEv20rocsparse_direction_T4_S4_S4_S4_S4_21rocsparse_index_base_PKT2_PKT3_PKS4_S5_PS6_PS9_PS4_
		.amdhsa_group_segment_fixed_size 4112
		.amdhsa_private_segment_fixed_size 0
		.amdhsa_kernarg_size 88
		.amdhsa_user_sgpr_count 15
		.amdhsa_user_sgpr_dispatch_ptr 0
		.amdhsa_user_sgpr_queue_ptr 0
		.amdhsa_user_sgpr_kernarg_segment_ptr 1
		.amdhsa_user_sgpr_dispatch_id 0
		.amdhsa_user_sgpr_private_segment_size 0
		.amdhsa_wavefront_size32 1
		.amdhsa_uses_dynamic_stack 0
		.amdhsa_enable_private_segment 0
		.amdhsa_system_sgpr_workgroup_id_x 1
		.amdhsa_system_sgpr_workgroup_id_y 0
		.amdhsa_system_sgpr_workgroup_id_z 0
		.amdhsa_system_sgpr_workgroup_info 0
		.amdhsa_system_vgpr_workitem_id 0
		.amdhsa_next_free_vgpr 41
		.amdhsa_next_free_sgpr 20
		.amdhsa_reserve_vcc 1
		.amdhsa_float_round_mode_32 0
		.amdhsa_float_round_mode_16_64 0
		.amdhsa_float_denorm_mode_32 3
		.amdhsa_float_denorm_mode_16_64 3
		.amdhsa_dx10_clamp 1
		.amdhsa_ieee_mode 1
		.amdhsa_fp16_overflow 0
		.amdhsa_workgroup_processor_mode 1
		.amdhsa_memory_ordered 1
		.amdhsa_forward_progress 0
		.amdhsa_shared_vgpr_count 0
		.amdhsa_exception_fp_ieee_invalid_op 0
		.amdhsa_exception_fp_denorm_src 0
		.amdhsa_exception_fp_ieee_div_zero 0
		.amdhsa_exception_fp_ieee_overflow 0
		.amdhsa_exception_fp_ieee_underflow 0
		.amdhsa_exception_fp_ieee_inexact 0
		.amdhsa_exception_int_div_zero 0
	.end_amdhsa_kernel
	.section	.text._ZN9rocsparseL42csr2bsr_wavefront_per_row_multipass_kernelILj256ELj16ELj4E21rocsparse_complex_numIdEliEEv20rocsparse_direction_T4_S4_S4_S4_S4_21rocsparse_index_base_PKT2_PKT3_PKS4_S5_PS6_PS9_PS4_,"axG",@progbits,_ZN9rocsparseL42csr2bsr_wavefront_per_row_multipass_kernelILj256ELj16ELj4E21rocsparse_complex_numIdEliEEv20rocsparse_direction_T4_S4_S4_S4_S4_21rocsparse_index_base_PKT2_PKT3_PKS4_S5_PS6_PS9_PS4_,comdat
.Lfunc_end153:
	.size	_ZN9rocsparseL42csr2bsr_wavefront_per_row_multipass_kernelILj256ELj16ELj4E21rocsparse_complex_numIdEliEEv20rocsparse_direction_T4_S4_S4_S4_S4_21rocsparse_index_base_PKT2_PKT3_PKS4_S5_PS6_PS9_PS4_, .Lfunc_end153-_ZN9rocsparseL42csr2bsr_wavefront_per_row_multipass_kernelILj256ELj16ELj4E21rocsparse_complex_numIdEliEEv20rocsparse_direction_T4_S4_S4_S4_S4_21rocsparse_index_base_PKT2_PKT3_PKS4_S5_PS6_PS9_PS4_
                                        ; -- End function
	.section	.AMDGPU.csdata,"",@progbits
; Kernel info:
; codeLenInByte = 1716
; NumSgprs: 22
; NumVgprs: 41
; ScratchSize: 0
; MemoryBound: 0
; FloatMode: 240
; IeeeMode: 1
; LDSByteSize: 4112 bytes/workgroup (compile time only)
; SGPRBlocks: 2
; VGPRBlocks: 5
; NumSGPRsForWavesPerEU: 22
; NumVGPRsForWavesPerEU: 41
; Occupancy: 16
; WaveLimiterHint : 0
; COMPUTE_PGM_RSRC2:SCRATCH_EN: 0
; COMPUTE_PGM_RSRC2:USER_SGPR: 15
; COMPUTE_PGM_RSRC2:TRAP_HANDLER: 0
; COMPUTE_PGM_RSRC2:TGID_X_EN: 1
; COMPUTE_PGM_RSRC2:TGID_Y_EN: 0
; COMPUTE_PGM_RSRC2:TGID_Z_EN: 0
; COMPUTE_PGM_RSRC2:TIDIG_COMP_CNT: 0
	.section	.text._ZN9rocsparseL42csr2bsr_wavefront_per_row_multipass_kernelILj256ELj64ELj8E21rocsparse_complex_numIdEliEEv20rocsparse_direction_T4_S4_S4_S4_S4_21rocsparse_index_base_PKT2_PKT3_PKS4_S5_PS6_PS9_PS4_,"axG",@progbits,_ZN9rocsparseL42csr2bsr_wavefront_per_row_multipass_kernelILj256ELj64ELj8E21rocsparse_complex_numIdEliEEv20rocsparse_direction_T4_S4_S4_S4_S4_21rocsparse_index_base_PKT2_PKT3_PKS4_S5_PS6_PS9_PS4_,comdat
	.globl	_ZN9rocsparseL42csr2bsr_wavefront_per_row_multipass_kernelILj256ELj64ELj8E21rocsparse_complex_numIdEliEEv20rocsparse_direction_T4_S4_S4_S4_S4_21rocsparse_index_base_PKT2_PKT3_PKS4_S5_PS6_PS9_PS4_ ; -- Begin function _ZN9rocsparseL42csr2bsr_wavefront_per_row_multipass_kernelILj256ELj64ELj8E21rocsparse_complex_numIdEliEEv20rocsparse_direction_T4_S4_S4_S4_S4_21rocsparse_index_base_PKT2_PKT3_PKS4_S5_PS6_PS9_PS4_
	.p2align	8
	.type	_ZN9rocsparseL42csr2bsr_wavefront_per_row_multipass_kernelILj256ELj64ELj8E21rocsparse_complex_numIdEliEEv20rocsparse_direction_T4_S4_S4_S4_S4_21rocsparse_index_base_PKT2_PKT3_PKS4_S5_PS6_PS9_PS4_,@function
_ZN9rocsparseL42csr2bsr_wavefront_per_row_multipass_kernelILj256ELj64ELj8E21rocsparse_complex_numIdEliEEv20rocsparse_direction_T4_S4_S4_S4_S4_21rocsparse_index_base_PKT2_PKT3_PKS4_S5_PS6_PS9_PS4_: ; @_ZN9rocsparseL42csr2bsr_wavefront_per_row_multipass_kernelILj256ELj64ELj8E21rocsparse_complex_numIdEliEEv20rocsparse_direction_T4_S4_S4_S4_S4_21rocsparse_index_base_PKT2_PKT3_PKS4_S5_PS6_PS9_PS4_
; %bb.0:
	s_clause 0x1
	s_load_b128 s[4:7], s[0:1], 0xc
	s_load_b64 s[10:11], s[0:1], 0x0
	v_lshrrev_b32_e32 v22, 6, v0
	v_bfe_u32 v2, v0, 3, 3
	s_load_b64 s[8:9], s[0:1], 0x28
	v_mov_b32_e32 v5, 0
	v_mov_b32_e32 v6, 0
	v_lshl_or_b32 v3, s15, 2, v22
	s_delay_alu instid0(VALU_DEP_2) | instskip(SKIP_1) | instid1(VALU_DEP_2)
	v_dual_mov_b32 v10, v6 :: v_dual_mov_b32 v9, v5
	s_waitcnt lgkmcnt(0)
	v_mad_u64_u32 v[7:8], null, v3, s6, v[2:3]
	v_cmp_gt_i32_e32 vcc_lo, s6, v2
	s_delay_alu instid0(VALU_DEP_2) | instskip(NEXT) | instid1(VALU_DEP_1)
	v_cmp_gt_i32_e64 s2, s11, v7
	s_and_b32 s3, vcc_lo, s2
	s_delay_alu instid0(SALU_CYCLE_1)
	s_and_saveexec_b32 s11, s3
	s_cbranch_execz .LBB154_2
; %bb.1:
	v_ashrrev_i32_e32 v8, 31, v7
	s_delay_alu instid0(VALU_DEP_1) | instskip(NEXT) | instid1(VALU_DEP_1)
	v_lshlrev_b64 v[8:9], 3, v[7:8]
	v_add_co_u32 v8, s2, s8, v8
	s_delay_alu instid0(VALU_DEP_1) | instskip(SKIP_3) | instid1(VALU_DEP_1)
	v_add_co_ci_u32_e64 v9, s2, s9, v9, s2
	global_load_b64 v[9:10], v[8:9], off
	s_waitcnt vmcnt(0)
	v_sub_co_u32 v9, s2, v9, s7
	v_subrev_co_ci_u32_e64 v10, s2, 0, v10, s2
.LBB154_2:
	s_or_b32 exec_lo, exec_lo, s11
	s_and_saveexec_b32 s11, s3
	s_cbranch_execz .LBB154_4
; %bb.3:
	v_ashrrev_i32_e32 v8, 31, v7
	s_delay_alu instid0(VALU_DEP_1) | instskip(NEXT) | instid1(VALU_DEP_1)
	v_lshlrev_b64 v[4:5], 3, v[7:8]
	v_add_co_u32 v4, s2, s8, v4
	s_delay_alu instid0(VALU_DEP_1) | instskip(SKIP_3) | instid1(VALU_DEP_1)
	v_add_co_ci_u32_e64 v5, s2, s9, v5, s2
	global_load_b64 v[5:6], v[4:5], off offset:8
	s_waitcnt vmcnt(0)
	v_sub_co_u32 v5, s2, v5, s7
	v_subrev_co_ci_u32_e64 v6, s2, 0, v6, s2
.LBB154_4:
	s_or_b32 exec_lo, exec_lo, s11
	s_load_b32 s12, s[0:1], 0x38
	v_mov_b32_e32 v7, 0
	v_mov_b32_e32 v8, 0
	s_mov_b32 s3, exec_lo
	v_cmpx_gt_i32_e64 s4, v3
	s_cbranch_execz .LBB154_6
; %bb.5:
	s_load_b64 s[8:9], s[0:1], 0x48
	v_ashrrev_i32_e32 v4, 31, v3
	s_delay_alu instid0(VALU_DEP_1) | instskip(SKIP_1) | instid1(VALU_DEP_1)
	v_lshlrev_b64 v[3:4], 3, v[3:4]
	s_waitcnt lgkmcnt(0)
	v_add_co_u32 v3, s2, s8, v3
	s_delay_alu instid0(VALU_DEP_1) | instskip(SKIP_3) | instid1(VALU_DEP_1)
	v_add_co_ci_u32_e64 v4, s2, s9, v4, s2
	global_load_b64 v[3:4], v[3:4], off
	s_waitcnt vmcnt(0)
	v_sub_co_u32 v7, s2, v3, s12
	v_subrev_co_ci_u32_e64 v8, s2, 0, v4, s2
.LBB154_6:
	s_or_b32 exec_lo, exec_lo, s3
	s_cmp_lt_i32 s5, 1
	s_cbranch_scc1 .LBB154_21
; %bb.7:
	s_load_b64 s[14:15], s[0:1], 0x40
	v_mov_b32_e32 v1, 0
	v_and_b32_e32 v23, 7, v0
	v_and_b32_e32 v0, 0xc0, v0
	v_mul_lo_u32 v11, v2, s6
	s_delay_alu instid0(VALU_DEP_4) | instskip(NEXT) | instid1(VALU_DEP_4)
	v_dual_mov_b32 v4, v1 :: v_dual_lshlrev_b32 v13, 4, v2
	v_mul_lo_u32 v3, v23, s6
	v_mov_b32_e32 v12, v1
	v_cmp_gt_u32_e64 s2, s6, v23
	v_lshl_or_b32 v0, v2, 3, v0
	v_bfrev_b32_e32 v32, 0.5
	v_mov_b32_e32 v36, 1
	v_lshlrev_b64 v[11:12], 4, v[11:12]
	s_and_b32 s4, vcc_lo, s2
	v_lshlrev_b64 v[3:4], 4, v[3:4]
	s_clause 0x1
	s_load_b64 s[2:3], s[0:1], 0x50
	s_load_b64 s[8:9], s[0:1], 0x30
	s_cmp_eq_u32 s10, 0
	s_load_b64 s[10:11], s[0:1], 0x20
	s_mov_b32 s1, 0
	s_waitcnt lgkmcnt(0)
	v_add_co_u32 v3, vcc_lo, s14, v3
	v_add_co_ci_u32_e32 v4, vcc_lo, s15, v4, vcc_lo
	v_add_co_u32 v11, vcc_lo, s14, v11
	v_add_co_ci_u32_e32 v12, vcc_lo, s15, v12, vcc_lo
	s_delay_alu instid0(VALU_DEP_4) | instskip(NEXT) | instid1(VALU_DEP_4)
	v_add_co_u32 v3, vcc_lo, v3, v13
	v_add_co_ci_u32_e32 v4, vcc_lo, 0, v4, vcc_lo
	v_lshlrev_b32_e32 v14, 4, v23
	v_mbcnt_lo_u32_b32 v13, -1, 0
	s_mul_hi_u32 s14, s6, s6
	s_mul_i32 s15, s6, s6
	s_delay_alu instid0(VALU_DEP_2) | instskip(NEXT) | instid1(VALU_DEP_2)
	v_add_co_u32 v11, vcc_lo, v11, v14
	v_xor_b32_e32 v15, 4, v13
	v_add_co_ci_u32_e32 v12, vcc_lo, 0, v12, vcc_lo
	s_cselect_b32 vcc_lo, -1, 0
	s_abs_i32 s13, s6
	v_or_b32_e32 v14, v0, v23
	s_delay_alu instid0(VALU_DEP_2)
	v_cndmask_b32_e32 v33, v4, v12, vcc_lo
	v_cvt_f32_u32_e32 v2, s13
	v_xor_b32_e32 v16, 2, v13
	v_cmp_gt_i32_e64 s0, 32, v15
	v_lshlrev_b32_e32 v24, 4, v14
	v_xor_b32_e32 v14, 1, v13
	v_rcp_iflag_f32_e32 v2, v2
	v_xor_b32_e32 v17, 8, v13
	v_cndmask_b32_e64 v15, v13, v15, s0
	v_cmp_gt_i32_e64 s0, 32, v16
	v_dual_cndmask_b32 v34, v3, v11 :: v_dual_mov_b32 v11, 0
	v_lshl_or_b32 v28, v13, 2, 28
	s_delay_alu instid0(VALU_DEP_4) | instskip(NEXT) | instid1(VALU_DEP_4)
	v_lshlrev_b32_e32 v25, 2, v15
	v_cndmask_b32_e64 v16, v13, v16, s0
	v_cmp_gt_i32_e64 s0, 32, v14
	s_delay_alu instid0(TRANS32_DEP_1) | instskip(SKIP_1) | instid1(VALU_DEP_4)
	v_mul_f32_e32 v2, 0x4f7ffffe, v2
	v_xor_b32_e32 v15, 16, v13
	v_dual_mov_b32 v3, v1 :: v_dual_lshlrev_b32 v26, 2, v16
	s_delay_alu instid0(VALU_DEP_4) | instskip(NEXT) | instid1(VALU_DEP_4)
	v_cndmask_b32_e64 v14, v13, v14, s0
	v_cvt_u32_f32_e32 v2, v2
	s_sub_i32 s0, 0, s13
	s_ashr_i32 s16, s6, 31
	s_delay_alu instid0(VALU_DEP_2) | instskip(SKIP_3) | instid1(VALU_DEP_3)
	v_dual_mov_b32 v12, 0 :: v_dual_lshlrev_b32 v27, 2, v14
	v_or_b32_e32 v14, 32, v13
	v_mul_lo_u32 v16, s0, v2
	v_mov_b32_e32 v4, v1
	v_cmp_gt_i32_e64 s0, 32, v14
	s_delay_alu instid0(VALU_DEP_3) | instskip(NEXT) | instid1(VALU_DEP_2)
	v_mul_hi_u32 v16, v2, v16
	v_cndmask_b32_e64 v14, v13, v14, s0
	v_cmp_gt_i32_e64 s0, 32, v15
	s_delay_alu instid0(VALU_DEP_2) | instskip(NEXT) | instid1(VALU_DEP_2)
	v_lshlrev_b32_e32 v29, 2, v14
	v_cndmask_b32_e64 v15, v13, v15, s0
	v_cmp_gt_i32_e64 s0, 32, v17
	v_dual_mov_b32 v2, v1 :: v_dual_add_nc_u32 v35, v2, v16
	s_delay_alu instid0(VALU_DEP_3) | instskip(NEXT) | instid1(VALU_DEP_3)
	v_lshlrev_b32_e32 v30, 2, v15
	v_cndmask_b32_e64 v17, v13, v17, s0
	s_delay_alu instid0(VALU_DEP_1)
	v_lshlrev_b32_e32 v31, 2, v17
	s_branch .LBB154_10
.LBB154_8:                              ;   in Loop: Header=BB154_10 Depth=1
	s_or_b32 exec_lo, exec_lo, s17
	v_mov_b32_e32 v12, 1
	v_mov_b32_e32 v13, 0
.LBB154_9:                              ;   in Loop: Header=BB154_10 Depth=1
	s_or_b32 exec_lo, exec_lo, s0
	ds_bpermute_b32 v11, v29, v37
	v_add_co_u32 v7, s0, v12, v7
	s_delay_alu instid0(VALU_DEP_1)
	v_add_co_ci_u32_e64 v8, s0, v13, v8, s0
	s_waitcnt lgkmcnt(0)
	s_waitcnt_vscnt null, 0x0
	buffer_gl0_inv
	buffer_gl0_inv
	v_min_i32_e32 v11, v11, v37
	ds_bpermute_b32 v14, v30, v11
	s_waitcnt lgkmcnt(0)
	v_min_i32_e32 v11, v14, v11
	ds_bpermute_b32 v14, v31, v11
	s_waitcnt lgkmcnt(0)
	;; [unrolled: 3-line block ×6, first 2 shown]
	v_cmp_le_i32_e32 vcc_lo, s5, v11
	v_ashrrev_i32_e32 v12, 31, v11
	s_or_b32 s1, vcc_lo, s1
	s_delay_alu instid0(SALU_CYCLE_1)
	s_and_not1_b32 exec_lo, exec_lo, s1
	s_cbranch_execz .LBB154_21
.LBB154_10:                             ; =>This Loop Header: Depth=1
                                        ;     Child Loop BB154_13 Depth 2
	v_add_co_u32 v9, vcc_lo, v9, v23
	v_dual_mov_b32 v37, s5 :: v_dual_mov_b32 v18, v6
	v_add_co_ci_u32_e32 v10, vcc_lo, 0, v10, vcc_lo
	v_mov_b32_e32 v17, v5
	s_mov_b32 s17, exec_lo
	ds_store_b8 v22, v1 offset:4096
	ds_store_b128 v24, v[1:4]
	s_waitcnt lgkmcnt(0)
	buffer_gl0_inv
	v_cmpx_lt_i64_e64 v[9:10], v[5:6]
	s_cbranch_execz .LBB154_18
; %bb.11:                               ;   in Loop: Header=BB154_10 Depth=1
	v_lshlrev_b64 v[13:14], 4, v[9:10]
	v_lshlrev_b64 v[15:16], 2, v[9:10]
	v_dual_mov_b32 v37, s5 :: v_dual_mov_b32 v18, v6
	v_mov_b32_e32 v17, v5
	s_mov_b32 s18, 0
	s_delay_alu instid0(VALU_DEP_4)
	v_add_co_u32 v13, vcc_lo, s10, v13
	v_add_co_ci_u32_e32 v14, vcc_lo, s11, v14, vcc_lo
	v_add_co_u32 v15, vcc_lo, s8, v15
	v_add_co_ci_u32_e32 v16, vcc_lo, s9, v16, vcc_lo
	s_branch .LBB154_13
.LBB154_12:                             ;   in Loop: Header=BB154_13 Depth=2
	s_or_b32 exec_lo, exec_lo, s0
	v_add_co_u32 v9, s0, v9, 8
	s_delay_alu instid0(VALU_DEP_1) | instskip(SKIP_2) | instid1(VALU_DEP_2)
	v_add_co_ci_u32_e64 v10, s0, 0, v10, s0
	s_xor_b32 s19, vcc_lo, -1
	v_add_co_u32 v13, vcc_lo, 0x80, v13
	v_cmp_ge_i64_e64 s0, v[9:10], v[5:6]
	v_add_co_ci_u32_e32 v14, vcc_lo, 0, v14, vcc_lo
	v_add_co_u32 v15, vcc_lo, v15, 32
	v_add_co_ci_u32_e32 v16, vcc_lo, 0, v16, vcc_lo
	s_delay_alu instid0(VALU_DEP_4) | instskip(NEXT) | instid1(SALU_CYCLE_1)
	s_or_b32 s0, s19, s0
	s_and_b32 s0, exec_lo, s0
	s_delay_alu instid0(SALU_CYCLE_1) | instskip(NEXT) | instid1(SALU_CYCLE_1)
	s_or_b32 s18, s0, s18
	s_and_not1_b32 exec_lo, exec_lo, s18
	s_cbranch_execz .LBB154_17
.LBB154_13:                             ;   Parent Loop BB154_10 Depth=1
                                        ; =>  This Inner Loop Header: Depth=2
	global_load_b32 v19, v[15:16], off
	s_waitcnt vmcnt(0)
	v_subrev_nc_u32_e32 v38, s7, v19
	s_delay_alu instid0(VALU_DEP_1) | instskip(NEXT) | instid1(VALU_DEP_1)
	v_sub_nc_u32_e32 v19, 0, v38
	v_max_i32_e32 v19, v38, v19
	s_delay_alu instid0(VALU_DEP_1) | instskip(NEXT) | instid1(VALU_DEP_1)
	v_mul_hi_u32 v20, v19, v35
	v_mul_lo_u32 v21, v20, s13
	s_delay_alu instid0(VALU_DEP_1) | instskip(SKIP_1) | instid1(VALU_DEP_2)
	v_sub_nc_u32_e32 v19, v19, v21
	v_add_nc_u32_e32 v21, 1, v20
	v_subrev_nc_u32_e32 v39, s13, v19
	v_cmp_le_u32_e32 vcc_lo, s13, v19
	s_delay_alu instid0(VALU_DEP_2) | instskip(SKIP_1) | instid1(VALU_DEP_2)
	v_dual_cndmask_b32 v20, v20, v21 :: v_dual_cndmask_b32 v19, v19, v39
	v_ashrrev_i32_e32 v21, 31, v38
	v_add_nc_u32_e32 v39, 1, v20
	s_delay_alu instid0(VALU_DEP_3) | instskip(NEXT) | instid1(VALU_DEP_3)
	v_cmp_le_u32_e32 vcc_lo, s13, v19
	v_xor_b32_e32 v21, s16, v21
	s_delay_alu instid0(VALU_DEP_3) | instskip(NEXT) | instid1(VALU_DEP_1)
	v_cndmask_b32_e32 v19, v20, v39, vcc_lo
	v_xor_b32_e32 v19, v19, v21
	s_delay_alu instid0(VALU_DEP_1) | instskip(NEXT) | instid1(VALU_DEP_1)
	v_sub_nc_u32_e32 v19, v19, v21
	v_ashrrev_i32_e32 v20, 31, v19
	s_delay_alu instid0(VALU_DEP_1) | instskip(SKIP_2) | instid1(VALU_DEP_2)
	v_cmp_eq_u64_e32 vcc_lo, v[11:12], v[19:20]
	v_cmp_ne_u64_e64 s0, v[11:12], v[19:20]
	v_dual_mov_b32 v21, v18 :: v_dual_mov_b32 v20, v17
	s_and_saveexec_b32 s19, s0
	s_delay_alu instid0(SALU_CYCLE_1)
	s_xor_b32 s0, exec_lo, s19
; %bb.14:                               ;   in Loop: Header=BB154_13 Depth=2
	v_min_i32_e32 v37, v19, v37
                                        ; implicit-def: $vgpr19
                                        ; implicit-def: $vgpr38
                                        ; implicit-def: $vgpr20_vgpr21
; %bb.15:                               ;   in Loop: Header=BB154_13 Depth=2
	s_or_saveexec_b32 s0, s0
	v_dual_mov_b32 v18, v10 :: v_dual_mov_b32 v17, v9
	s_xor_b32 exec_lo, exec_lo, s0
	s_cbranch_execz .LBB154_12
; %bb.16:                               ;   in Loop: Header=BB154_13 Depth=2
	global_load_b128 v[39:42], v[13:14], off
	v_mul_lo_u32 v17, v19, s6
	s_delay_alu instid0(VALU_DEP_1) | instskip(NEXT) | instid1(VALU_DEP_1)
	v_sub_nc_u32_e32 v17, v38, v17
	v_add_lshl_u32 v19, v17, v0, 4
	v_dual_mov_b32 v17, v20 :: v_dual_mov_b32 v18, v21
	ds_store_b8 v22, v36 offset:4096
	s_waitcnt vmcnt(0)
	ds_store_2addr_b64 v19, v[39:40], v[41:42] offset1:1
	s_branch .LBB154_12
.LBB154_17:                             ;   in Loop: Header=BB154_10 Depth=1
	s_or_b32 exec_lo, exec_lo, s18
.LBB154_18:                             ;   in Loop: Header=BB154_10 Depth=1
	s_delay_alu instid0(SALU_CYCLE_1)
	s_or_b32 exec_lo, exec_lo, s17
	ds_bpermute_b32 v9, v25, v17
	ds_bpermute_b32 v10, v25, v18
	s_waitcnt lgkmcnt(0)
	buffer_gl0_inv
	ds_load_u8 v14, v22 offset:4096
	s_mov_b32 s0, exec_lo
	v_cmp_lt_i64_e32 vcc_lo, v[9:10], v[17:18]
	s_waitcnt lgkmcnt(0)
	v_and_b32_e32 v14, 1, v14
	v_dual_cndmask_b32 v10, v18, v10 :: v_dual_cndmask_b32 v9, v17, v9
	ds_bpermute_b32 v13, v26, v10
	ds_bpermute_b32 v12, v26, v9
	s_waitcnt lgkmcnt(0)
	v_cmp_lt_i64_e32 vcc_lo, v[12:13], v[9:10]
	v_dual_cndmask_b32 v10, v10, v13 :: v_dual_cndmask_b32 v9, v9, v12
	ds_bpermute_b32 v13, v27, v10
	ds_bpermute_b32 v12, v27, v9
	s_waitcnt lgkmcnt(0)
	v_cmp_lt_i64_e32 vcc_lo, v[12:13], v[9:10]
	v_dual_cndmask_b32 v10, v10, v13 :: v_dual_cndmask_b32 v9, v9, v12
	v_mov_b32_e32 v12, 0
	v_mov_b32_e32 v13, 0
	ds_bpermute_b32 v10, v28, v10
	ds_bpermute_b32 v9, v28, v9
	v_cmpx_eq_u32_e32 1, v14
	s_cbranch_execz .LBB154_9
; %bb.19:                               ;   in Loop: Header=BB154_10 Depth=1
	v_lshlrev_b64 v[12:13], 2, v[7:8]
	v_add_nc_u32_e32 v14, s12, v11
	s_delay_alu instid0(VALU_DEP_2) | instskip(NEXT) | instid1(VALU_DEP_3)
	v_add_co_u32 v11, vcc_lo, s2, v12
	v_add_co_ci_u32_e32 v12, vcc_lo, s3, v13, vcc_lo
	global_store_b32 v[11:12], v14, off
	s_and_saveexec_b32 s17, s4
	s_cbranch_execz .LBB154_8
; %bb.20:                               ;   in Loop: Header=BB154_10 Depth=1
	v_mul_lo_u32 v17, s14, v7
	v_mul_lo_u32 v18, s15, v8
	v_mad_u64_u32 v[15:16], null, s15, v7, 0
	ds_load_2addr_b64 v[11:14], v24 offset1:1
	v_add3_u32 v16, v16, v18, v17
	s_delay_alu instid0(VALU_DEP_1) | instskip(NEXT) | instid1(VALU_DEP_1)
	v_lshlrev_b64 v[15:16], 4, v[15:16]
	v_add_co_u32 v15, vcc_lo, v34, v15
	s_delay_alu instid0(VALU_DEP_2)
	v_add_co_ci_u32_e32 v16, vcc_lo, v33, v16, vcc_lo
	s_waitcnt lgkmcnt(0)
	global_store_b128 v[15:16], v[11:14], off
	s_branch .LBB154_8
.LBB154_21:
	s_endpgm
	.section	.rodata,"a",@progbits
	.p2align	6, 0x0
	.amdhsa_kernel _ZN9rocsparseL42csr2bsr_wavefront_per_row_multipass_kernelILj256ELj64ELj8E21rocsparse_complex_numIdEliEEv20rocsparse_direction_T4_S4_S4_S4_S4_21rocsparse_index_base_PKT2_PKT3_PKS4_S5_PS6_PS9_PS4_
		.amdhsa_group_segment_fixed_size 4104
		.amdhsa_private_segment_fixed_size 0
		.amdhsa_kernarg_size 88
		.amdhsa_user_sgpr_count 15
		.amdhsa_user_sgpr_dispatch_ptr 0
		.amdhsa_user_sgpr_queue_ptr 0
		.amdhsa_user_sgpr_kernarg_segment_ptr 1
		.amdhsa_user_sgpr_dispatch_id 0
		.amdhsa_user_sgpr_private_segment_size 0
		.amdhsa_wavefront_size32 1
		.amdhsa_uses_dynamic_stack 0
		.amdhsa_enable_private_segment 0
		.amdhsa_system_sgpr_workgroup_id_x 1
		.amdhsa_system_sgpr_workgroup_id_y 0
		.amdhsa_system_sgpr_workgroup_id_z 0
		.amdhsa_system_sgpr_workgroup_info 0
		.amdhsa_system_vgpr_workitem_id 0
		.amdhsa_next_free_vgpr 43
		.amdhsa_next_free_sgpr 20
		.amdhsa_reserve_vcc 1
		.amdhsa_float_round_mode_32 0
		.amdhsa_float_round_mode_16_64 0
		.amdhsa_float_denorm_mode_32 3
		.amdhsa_float_denorm_mode_16_64 3
		.amdhsa_dx10_clamp 1
		.amdhsa_ieee_mode 1
		.amdhsa_fp16_overflow 0
		.amdhsa_workgroup_processor_mode 1
		.amdhsa_memory_ordered 1
		.amdhsa_forward_progress 0
		.amdhsa_shared_vgpr_count 0
		.amdhsa_exception_fp_ieee_invalid_op 0
		.amdhsa_exception_fp_denorm_src 0
		.amdhsa_exception_fp_ieee_div_zero 0
		.amdhsa_exception_fp_ieee_overflow 0
		.amdhsa_exception_fp_ieee_underflow 0
		.amdhsa_exception_fp_ieee_inexact 0
		.amdhsa_exception_int_div_zero 0
	.end_amdhsa_kernel
	.section	.text._ZN9rocsparseL42csr2bsr_wavefront_per_row_multipass_kernelILj256ELj64ELj8E21rocsparse_complex_numIdEliEEv20rocsparse_direction_T4_S4_S4_S4_S4_21rocsparse_index_base_PKT2_PKT3_PKS4_S5_PS6_PS9_PS4_,"axG",@progbits,_ZN9rocsparseL42csr2bsr_wavefront_per_row_multipass_kernelILj256ELj64ELj8E21rocsparse_complex_numIdEliEEv20rocsparse_direction_T4_S4_S4_S4_S4_21rocsparse_index_base_PKT2_PKT3_PKS4_S5_PS6_PS9_PS4_,comdat
.Lfunc_end154:
	.size	_ZN9rocsparseL42csr2bsr_wavefront_per_row_multipass_kernelILj256ELj64ELj8E21rocsparse_complex_numIdEliEEv20rocsparse_direction_T4_S4_S4_S4_S4_21rocsparse_index_base_PKT2_PKT3_PKS4_S5_PS6_PS9_PS4_, .Lfunc_end154-_ZN9rocsparseL42csr2bsr_wavefront_per_row_multipass_kernelILj256ELj64ELj8E21rocsparse_complex_numIdEliEEv20rocsparse_direction_T4_S4_S4_S4_S4_21rocsparse_index_base_PKT2_PKT3_PKS4_S5_PS6_PS9_PS4_
                                        ; -- End function
	.section	.AMDGPU.csdata,"",@progbits
; Kernel info:
; codeLenInByte = 1836
; NumSgprs: 22
; NumVgprs: 43
; ScratchSize: 0
; MemoryBound: 0
; FloatMode: 240
; IeeeMode: 1
; LDSByteSize: 4104 bytes/workgroup (compile time only)
; SGPRBlocks: 2
; VGPRBlocks: 5
; NumSGPRsForWavesPerEU: 22
; NumVGPRsForWavesPerEU: 43
; Occupancy: 16
; WaveLimiterHint : 0
; COMPUTE_PGM_RSRC2:SCRATCH_EN: 0
; COMPUTE_PGM_RSRC2:USER_SGPR: 15
; COMPUTE_PGM_RSRC2:TRAP_HANDLER: 0
; COMPUTE_PGM_RSRC2:TGID_X_EN: 1
; COMPUTE_PGM_RSRC2:TGID_Y_EN: 0
; COMPUTE_PGM_RSRC2:TGID_Z_EN: 0
; COMPUTE_PGM_RSRC2:TIDIG_COMP_CNT: 0
	.section	.text._ZN9rocsparseL42csr2bsr_wavefront_per_row_multipass_kernelILj256ELj32ELj8E21rocsparse_complex_numIdEliEEv20rocsparse_direction_T4_S4_S4_S4_S4_21rocsparse_index_base_PKT2_PKT3_PKS4_S5_PS6_PS9_PS4_,"axG",@progbits,_ZN9rocsparseL42csr2bsr_wavefront_per_row_multipass_kernelILj256ELj32ELj8E21rocsparse_complex_numIdEliEEv20rocsparse_direction_T4_S4_S4_S4_S4_21rocsparse_index_base_PKT2_PKT3_PKS4_S5_PS6_PS9_PS4_,comdat
	.globl	_ZN9rocsparseL42csr2bsr_wavefront_per_row_multipass_kernelILj256ELj32ELj8E21rocsparse_complex_numIdEliEEv20rocsparse_direction_T4_S4_S4_S4_S4_21rocsparse_index_base_PKT2_PKT3_PKS4_S5_PS6_PS9_PS4_ ; -- Begin function _ZN9rocsparseL42csr2bsr_wavefront_per_row_multipass_kernelILj256ELj32ELj8E21rocsparse_complex_numIdEliEEv20rocsparse_direction_T4_S4_S4_S4_S4_21rocsparse_index_base_PKT2_PKT3_PKS4_S5_PS6_PS9_PS4_
	.p2align	8
	.type	_ZN9rocsparseL42csr2bsr_wavefront_per_row_multipass_kernelILj256ELj32ELj8E21rocsparse_complex_numIdEliEEv20rocsparse_direction_T4_S4_S4_S4_S4_21rocsparse_index_base_PKT2_PKT3_PKS4_S5_PS6_PS9_PS4_,@function
_ZN9rocsparseL42csr2bsr_wavefront_per_row_multipass_kernelILj256ELj32ELj8E21rocsparse_complex_numIdEliEEv20rocsparse_direction_T4_S4_S4_S4_S4_21rocsparse_index_base_PKT2_PKT3_PKS4_S5_PS6_PS9_PS4_: ; @_ZN9rocsparseL42csr2bsr_wavefront_per_row_multipass_kernelILj256ELj32ELj8E21rocsparse_complex_numIdEliEEv20rocsparse_direction_T4_S4_S4_S4_S4_21rocsparse_index_base_PKT2_PKT3_PKS4_S5_PS6_PS9_PS4_
; %bb.0:
	s_clause 0x1
	s_load_b128 s[4:7], s[0:1], 0xc
	s_load_b64 s[10:11], s[0:1], 0x0
	v_lshrrev_b32_e32 v27, 5, v0
	v_bfe_u32 v1, v0, 2, 3
	s_load_b64 s[8:9], s[0:1], 0x28
	v_mov_b32_e32 v4, 0
	v_mov_b32_e32 v5, 0
	v_lshl_or_b32 v2, s15, 3, v27
	s_delay_alu instid0(VALU_DEP_2) | instskip(SKIP_1) | instid1(VALU_DEP_2)
	v_dual_mov_b32 v11, v5 :: v_dual_mov_b32 v10, v4
	s_waitcnt lgkmcnt(0)
	v_mad_u64_u32 v[6:7], null, v2, s6, v[1:2]
	v_cmp_gt_i32_e32 vcc_lo, s6, v1
	s_delay_alu instid0(VALU_DEP_2) | instskip(NEXT) | instid1(VALU_DEP_1)
	v_cmp_gt_i32_e64 s2, s11, v6
	s_and_b32 s3, vcc_lo, s2
	s_delay_alu instid0(SALU_CYCLE_1)
	s_and_saveexec_b32 s11, s3
	s_cbranch_execz .LBB155_2
; %bb.1:
	v_ashrrev_i32_e32 v7, 31, v6
	s_delay_alu instid0(VALU_DEP_1) | instskip(NEXT) | instid1(VALU_DEP_1)
	v_lshlrev_b64 v[7:8], 3, v[6:7]
	v_add_co_u32 v7, s2, s8, v7
	s_delay_alu instid0(VALU_DEP_1) | instskip(SKIP_3) | instid1(VALU_DEP_1)
	v_add_co_ci_u32_e64 v8, s2, s9, v8, s2
	global_load_b64 v[7:8], v[7:8], off
	s_waitcnt vmcnt(0)
	v_sub_co_u32 v10, s2, v7, s7
	v_subrev_co_ci_u32_e64 v11, s2, 0, v8, s2
.LBB155_2:
	s_or_b32 exec_lo, exec_lo, s11
	s_and_saveexec_b32 s11, s3
	s_cbranch_execz .LBB155_4
; %bb.3:
	v_ashrrev_i32_e32 v7, 31, v6
	s_delay_alu instid0(VALU_DEP_1) | instskip(NEXT) | instid1(VALU_DEP_1)
	v_lshlrev_b64 v[3:4], 3, v[6:7]
	v_add_co_u32 v3, s2, s8, v3
	s_delay_alu instid0(VALU_DEP_1) | instskip(SKIP_3) | instid1(VALU_DEP_1)
	v_add_co_ci_u32_e64 v4, s2, s9, v4, s2
	global_load_b64 v[4:5], v[3:4], off offset:8
	s_waitcnt vmcnt(0)
	v_sub_co_u32 v4, s2, v4, s7
	v_subrev_co_ci_u32_e64 v5, s2, 0, v5, s2
.LBB155_4:
	s_or_b32 exec_lo, exec_lo, s11
	s_load_b32 s16, s[0:1], 0x38
	v_mov_b32_e32 v6, 0
	v_mov_b32_e32 v7, 0
	s_mov_b32 s3, exec_lo
	v_cmpx_gt_i32_e64 s4, v2
	s_cbranch_execz .LBB155_6
; %bb.5:
	s_load_b64 s[8:9], s[0:1], 0x48
	v_ashrrev_i32_e32 v3, 31, v2
	s_delay_alu instid0(VALU_DEP_1) | instskip(SKIP_1) | instid1(VALU_DEP_1)
	v_lshlrev_b64 v[2:3], 3, v[2:3]
	s_waitcnt lgkmcnt(0)
	v_add_co_u32 v2, s2, s8, v2
	s_delay_alu instid0(VALU_DEP_1) | instskip(SKIP_3) | instid1(VALU_DEP_1)
	v_add_co_ci_u32_e64 v3, s2, s9, v3, s2
	global_load_b64 v[2:3], v[2:3], off
	s_waitcnt vmcnt(0)
	v_sub_co_u32 v6, s2, v2, s16
	v_subrev_co_ci_u32_e64 v7, s2, 0, v3, s2
.LBB155_6:
	s_or_b32 exec_lo, exec_lo, s3
	s_cmp_lt_i32 s5, 1
	s_cbranch_scc1 .LBB155_30
; %bb.7:
	v_mbcnt_lo_u32_b32 v3, -1, 0
	v_dual_mov_b32 v9, 0 :: v_dual_lshlrev_b32 v2, 6, v27
	v_dual_mov_b32 v41, 0x7c :: v_dual_and_b32 v28, 3, v0
	s_delay_alu instid0(VALU_DEP_3)
	v_xor_b32_e32 v0, 2, v3
	s_clause 0x3
	s_load_b64 s[2:3], s[0:1], 0x20
	s_load_b64 s[12:13], s[0:1], 0x50
	;; [unrolled: 1-line block ×4, first 2 shown]
	v_lshl_or_b32 v29, v1, 3, v2
	v_xor_b32_e32 v2, 1, v3
	v_cmp_gt_i32_e64 s0, 32, v0
	s_cmp_lg_u32 s10, 0
	v_mul_lo_u32 v8, v1, s6
	s_cselect_b32 s4, -1, 0
	s_abs_i32 s17, s6
	v_cndmask_b32_e64 v0, v3, v0, s0
	v_cmp_gt_i32_e64 s0, 32, v2
	v_cvt_f32_u32_e32 v12, s17
	v_mov_b32_e32 v16, 0
	s_mov_b32 s8, 0
	v_dual_mov_b32 v15, v9 :: v_dual_lshlrev_b32 v30, 2, v0
	v_cndmask_b32_e64 v2, v3, v2, s0
	v_rcp_iflag_f32_e32 v12, v12
	s_mov_b32 s9, s8
	v_mov_b32_e32 v17, 0
	s_mov_b32 s10, s8
	v_lshlrev_b32_e32 v31, 2, v2
	v_lshlrev_b32_e32 v2, 4, v1
	v_lshlrev_b64 v[0:1], 4, v[8:9]
	v_xor_b32_e32 v8, 8, v3
	s_mov_b32 s11, s8
	v_lshl_or_b32 v32, v3, 2, 12
	s_waitcnt lgkmcnt(0)
	v_add_co_u32 v33, s0, s20, v2
	v_xor_b32_e32 v2, 16, v3
	v_add_co_ci_u32_e64 v34, null, s21, 0, s0
	v_add_co_u32 v35, s0, s20, v0
	s_delay_alu instid0(VALU_DEP_1) | instskip(NEXT) | instid1(VALU_DEP_4)
	v_add_co_ci_u32_e64 v36, s0, s21, v1, s0
	v_cmp_gt_i32_e64 s0, 32, v2
	v_mul_f32_e32 v12, 0x4f7ffffe, v12
	s_mul_hi_u32 s18, s6, s6
	s_mul_i32 s19, s6, s6
	s_delay_alu instid0(VALU_DEP_2) | instskip(SKIP_3) | instid1(VALU_DEP_4)
	v_cndmask_b32_e64 v0, v3, v2, s0
	v_cmp_gt_i32_e64 s0, 32, v8
	v_cvt_u32_f32_e32 v1, v12
	v_or_b32_e32 v12, v29, v28
	v_lshlrev_b32_e32 v37, 2, v0
	s_delay_alu instid0(VALU_DEP_4)
	v_cndmask_b32_e64 v2, v3, v8, s0
	v_xor_b32_e32 v8, 4, v3
	s_sub_i32 s0, 0, s17
	v_lshlrev_b32_e32 v39, 4, v12
	v_mul_lo_u32 v13, s0, v1
	v_lshlrev_b32_e32 v38, 2, v2
	v_cmp_gt_i32_e64 s0, 32, v8
	v_or_b32_e32 v2, 4, v28
	s_delay_alu instid0(VALU_DEP_2)
	v_cndmask_b32_e64 v0, v3, v8, s0
	v_mul_lo_u32 v8, v28, s6
	v_mul_hi_u32 v3, v1, v13
	v_cmp_gt_u32_e64 s0, s6, v28
	v_cmp_gt_u32_e64 s1, s6, v2
	v_lshlrev_b32_e32 v40, 2, v0
	v_lshl_add_u32 v14, s6, 2, v8
	v_dual_mov_b32 v0, s8 :: v_dual_add_nc_u32 v43, v1, v3
	v_lshlrev_b64 v[12:13], 4, v[8:9]
	v_mov_b32_e32 v8, 1
	s_delay_alu instid0(VALU_DEP_4)
	v_lshlrev_b64 v[14:15], 4, v[14:15]
	v_dual_mov_b32 v1, s9 :: v_dual_mov_b32 v2, s10
	v_or_b32_e32 v42, 64, v39
	v_mov_b32_e32 v3, s11
	s_and_b32 s9, s0, vcc_lo
	s_and_b32 s10, vcc_lo, s1
	s_ashr_i32 s11, s6, 31
	s_branch .LBB155_11
.LBB155_8:                              ;   in Loop: Header=BB155_11 Depth=1
	v_dual_mov_b32 v18, s1 :: v_dual_mov_b32 v17, s0
.LBB155_9:                              ;   in Loop: Header=BB155_11 Depth=1
	s_or_b32 exec_lo, exec_lo, s21
.LBB155_10:                             ;   in Loop: Header=BB155_11 Depth=1
	s_delay_alu instid0(SALU_CYCLE_1) | instskip(SKIP_2) | instid1(VALU_DEP_1)
	s_or_b32 exec_lo, exec_lo, s20
	ds_bpermute_b32 v16, v37, v44
	v_add_co_u32 v6, s0, v17, v6
	v_add_co_ci_u32_e64 v7, s0, v18, v7, s0
	s_waitcnt lgkmcnt(0)
	s_waitcnt_vscnt null, 0x0
	buffer_gl0_inv
	buffer_gl0_inv
	v_min_i32_e32 v16, v16, v44
	ds_bpermute_b32 v19, v38, v16
	s_waitcnt lgkmcnt(0)
	v_min_i32_e32 v16, v19, v16
	ds_bpermute_b32 v19, v40, v16
	s_waitcnt lgkmcnt(0)
	;; [unrolled: 3-line block ×5, first 2 shown]
	v_cmp_le_i32_e32 vcc_lo, s5, v16
	v_ashrrev_i32_e32 v17, 31, v16
	s_or_b32 s8, vcc_lo, s8
	s_delay_alu instid0(SALU_CYCLE_1)
	s_and_not1_b32 exec_lo, exec_lo, s8
	s_cbranch_execz .LBB155_30
.LBB155_11:                             ; =>This Loop Header: Depth=1
                                        ;     Child Loop BB155_14 Depth 2
	v_add_co_u32 v10, vcc_lo, v10, v28
	v_dual_mov_b32 v44, s5 :: v_dual_mov_b32 v23, v5
	v_add_co_ci_u32_e32 v11, vcc_lo, 0, v11, vcc_lo
	v_mov_b32_e32 v22, v4
	s_mov_b32 s1, exec_lo
	ds_store_b8 v27, v9 offset:8192
	ds_store_b128 v39, v[0:3]
	ds_store_b128 v39, v[0:3] offset:64
	s_waitcnt lgkmcnt(0)
	buffer_gl0_inv
	v_cmpx_lt_i64_e64 v[10:11], v[4:5]
	s_cbranch_execz .LBB155_19
; %bb.12:                               ;   in Loop: Header=BB155_11 Depth=1
	v_lshlrev_b64 v[18:19], 4, v[10:11]
	v_lshlrev_b64 v[20:21], 2, v[10:11]
	v_dual_mov_b32 v44, s5 :: v_dual_mov_b32 v23, v5
	v_mov_b32_e32 v22, v4
	s_mov_b32 s20, 0
	s_delay_alu instid0(VALU_DEP_4)
	v_add_co_u32 v18, vcc_lo, s2, v18
	v_add_co_ci_u32_e32 v19, vcc_lo, s3, v19, vcc_lo
	v_add_co_u32 v20, vcc_lo, s14, v20
	v_add_co_ci_u32_e32 v21, vcc_lo, s15, v21, vcc_lo
	s_branch .LBB155_14
.LBB155_13:                             ;   in Loop: Header=BB155_14 Depth=2
	s_or_b32 exec_lo, exec_lo, s0
	v_add_co_u32 v10, s0, v10, 4
	s_delay_alu instid0(VALU_DEP_1) | instskip(SKIP_2) | instid1(VALU_DEP_2)
	v_add_co_ci_u32_e64 v11, s0, 0, v11, s0
	s_xor_b32 s21, vcc_lo, -1
	v_add_co_u32 v18, vcc_lo, v18, 64
	v_cmp_ge_i64_e64 s0, v[10:11], v[4:5]
	v_add_co_ci_u32_e32 v19, vcc_lo, 0, v19, vcc_lo
	v_add_co_u32 v20, vcc_lo, v20, 16
	v_add_co_ci_u32_e32 v21, vcc_lo, 0, v21, vcc_lo
	s_delay_alu instid0(VALU_DEP_4) | instskip(NEXT) | instid1(SALU_CYCLE_1)
	s_or_b32 s0, s21, s0
	s_and_b32 s0, exec_lo, s0
	s_delay_alu instid0(SALU_CYCLE_1) | instskip(NEXT) | instid1(SALU_CYCLE_1)
	s_or_b32 s20, s0, s20
	s_and_not1_b32 exec_lo, exec_lo, s20
	s_cbranch_execz .LBB155_18
.LBB155_14:                             ;   Parent Loop BB155_11 Depth=1
                                        ; =>  This Inner Loop Header: Depth=2
	global_load_b32 v24, v[20:21], off
	s_waitcnt vmcnt(0)
	v_subrev_nc_u32_e32 v45, s7, v24
	s_delay_alu instid0(VALU_DEP_1) | instskip(NEXT) | instid1(VALU_DEP_1)
	v_sub_nc_u32_e32 v24, 0, v45
	v_max_i32_e32 v24, v45, v24
	s_delay_alu instid0(VALU_DEP_1) | instskip(NEXT) | instid1(VALU_DEP_1)
	v_mul_hi_u32 v25, v24, v43
	v_mul_lo_u32 v26, v25, s17
	s_delay_alu instid0(VALU_DEP_1) | instskip(SKIP_1) | instid1(VALU_DEP_2)
	v_sub_nc_u32_e32 v24, v24, v26
	v_add_nc_u32_e32 v26, 1, v25
	v_subrev_nc_u32_e32 v46, s17, v24
	v_cmp_le_u32_e32 vcc_lo, s17, v24
	s_delay_alu instid0(VALU_DEP_3) | instskip(NEXT) | instid1(VALU_DEP_3)
	v_cndmask_b32_e32 v25, v25, v26, vcc_lo
	v_cndmask_b32_e32 v24, v24, v46, vcc_lo
	v_ashrrev_i32_e32 v26, 31, v45
	s_delay_alu instid0(VALU_DEP_3) | instskip(NEXT) | instid1(VALU_DEP_3)
	v_add_nc_u32_e32 v46, 1, v25
	v_cmp_le_u32_e32 vcc_lo, s17, v24
	s_delay_alu instid0(VALU_DEP_3) | instskip(NEXT) | instid1(VALU_DEP_3)
	v_xor_b32_e32 v26, s11, v26
	v_cndmask_b32_e32 v24, v25, v46, vcc_lo
	s_delay_alu instid0(VALU_DEP_1) | instskip(NEXT) | instid1(VALU_DEP_1)
	v_xor_b32_e32 v24, v24, v26
	v_sub_nc_u32_e32 v24, v24, v26
	s_delay_alu instid0(VALU_DEP_1) | instskip(NEXT) | instid1(VALU_DEP_1)
	v_ashrrev_i32_e32 v25, 31, v24
	v_cmp_eq_u64_e32 vcc_lo, v[16:17], v[24:25]
	v_cmp_ne_u64_e64 s0, v[16:17], v[24:25]
	v_dual_mov_b32 v26, v23 :: v_dual_mov_b32 v25, v22
	s_delay_alu instid0(VALU_DEP_2) | instskip(NEXT) | instid1(SALU_CYCLE_1)
	s_and_saveexec_b32 s21, s0
	s_xor_b32 s0, exec_lo, s21
; %bb.15:                               ;   in Loop: Header=BB155_14 Depth=2
	v_min_i32_e32 v44, v24, v44
                                        ; implicit-def: $vgpr24
                                        ; implicit-def: $vgpr45
                                        ; implicit-def: $vgpr25_vgpr26
; %bb.16:                               ;   in Loop: Header=BB155_14 Depth=2
	s_or_saveexec_b32 s0, s0
	v_dual_mov_b32 v23, v11 :: v_dual_mov_b32 v22, v10
	s_xor_b32 exec_lo, exec_lo, s0
	s_cbranch_execz .LBB155_13
; %bb.17:                               ;   in Loop: Header=BB155_14 Depth=2
	global_load_b128 v[46:49], v[18:19], off
	v_mul_lo_u32 v22, v24, s6
	s_delay_alu instid0(VALU_DEP_1) | instskip(NEXT) | instid1(VALU_DEP_1)
	v_sub_nc_u32_e32 v22, v45, v22
	v_add_lshl_u32 v24, v29, v22, 4
	v_dual_mov_b32 v22, v25 :: v_dual_mov_b32 v23, v26
	ds_store_b8 v27, v8 offset:8192
	s_waitcnt vmcnt(0)
	ds_store_2addr_b64 v24, v[46:47], v[48:49] offset1:1
	s_branch .LBB155_13
.LBB155_18:                             ;   in Loop: Header=BB155_11 Depth=1
	s_or_b32 exec_lo, exec_lo, s20
.LBB155_19:                             ;   in Loop: Header=BB155_11 Depth=1
	s_delay_alu instid0(SALU_CYCLE_1)
	s_or_b32 exec_lo, exec_lo, s1
	ds_bpermute_b32 v10, v30, v22
	ds_bpermute_b32 v11, v30, v23
	s_waitcnt lgkmcnt(0)
	buffer_gl0_inv
	ds_load_u8 v19, v27 offset:8192
	s_mov_b32 s20, exec_lo
	v_cmp_lt_i64_e32 vcc_lo, v[10:11], v[22:23]
	s_waitcnt lgkmcnt(0)
	v_and_b32_e32 v19, 1, v19
	v_dual_cndmask_b32 v11, v23, v11 :: v_dual_cndmask_b32 v10, v22, v10
	ds_bpermute_b32 v18, v31, v11
	ds_bpermute_b32 v17, v31, v10
	s_waitcnt lgkmcnt(0)
	v_cmp_lt_i64_e32 vcc_lo, v[17:18], v[10:11]
	v_dual_cndmask_b32 v11, v11, v18 :: v_dual_cndmask_b32 v10, v10, v17
	v_mov_b32_e32 v17, 0
	v_mov_b32_e32 v18, 0
	ds_bpermute_b32 v11, v32, v11
	ds_bpermute_b32 v10, v32, v10
	v_cmpx_eq_u32_e32 1, v19
	s_cbranch_execz .LBB155_10
; %bb.20:                               ;   in Loop: Header=BB155_11 Depth=1
	v_mul_lo_u32 v19, s18, v6
	v_mul_lo_u32 v20, s19, v7
	v_mad_u64_u32 v[17:18], null, s19, v6, 0
	v_add_nc_u32_e32 v24, s16, v16
	s_delay_alu instid0(VALU_DEP_2) | instskip(SKIP_1) | instid1(VALU_DEP_2)
	v_add3_u32 v18, v18, v20, v19
	v_lshlrev_b64 v[19:20], 2, v[6:7]
	v_lshlrev_b64 v[16:17], 4, v[17:18]
	s_delay_alu instid0(VALU_DEP_2) | instskip(NEXT) | instid1(VALU_DEP_3)
	v_add_co_u32 v22, vcc_lo, s12, v19
	v_add_co_ci_u32_e32 v23, vcc_lo, s13, v20, vcc_lo
	s_delay_alu instid0(VALU_DEP_3) | instskip(NEXT) | instid1(VALU_DEP_4)
	v_add_co_u32 v20, vcc_lo, v33, v16
	v_add_co_ci_u32_e32 v21, vcc_lo, v34, v17, vcc_lo
	v_add_co_u32 v16, vcc_lo, v35, v16
	v_add_co_ci_u32_e32 v19, vcc_lo, v36, v17, vcc_lo
	global_store_b32 v[22:23], v24, off
	s_and_saveexec_b32 s0, s9
	s_cbranch_execz .LBB155_24
; %bb.21:                               ;   in Loop: Header=BB155_11 Depth=1
	s_and_b32 vcc_lo, exec_lo, s4
	s_cbranch_vccz .LBB155_27
; %bb.22:                               ;   in Loop: Header=BB155_11 Depth=1
	ds_load_2addr_b64 v[22:25], v39 offset1:1
	v_add_co_u32 v17, vcc_lo, v20, v12
	v_add_co_ci_u32_e32 v18, vcc_lo, v21, v13, vcc_lo
	s_waitcnt lgkmcnt(0)
	global_store_b128 v[17:18], v[22:25], off
	s_cbranch_execnz .LBB155_24
.LBB155_23:                             ;   in Loop: Header=BB155_11 Depth=1
	ds_load_2addr_b64 v[22:25], v39 offset1:1
	v_lshlrev_b32_e32 v17, 4, v28
	s_delay_alu instid0(VALU_DEP_1)
	v_add_co_u32 v17, vcc_lo, v16, v17
	v_add_co_ci_u32_e32 v18, vcc_lo, 0, v19, vcc_lo
	s_waitcnt lgkmcnt(0)
	global_store_b128 v[17:18], v[22:25], off
.LBB155_24:                             ;   in Loop: Header=BB155_11 Depth=1
	s_or_b32 exec_lo, exec_lo, s0
	v_mov_b32_e32 v17, 1
	v_mov_b32_e32 v18, 0
	s_and_saveexec_b32 s21, s10
	s_cbranch_execz .LBB155_9
; %bb.25:                               ;   in Loop: Header=BB155_11 Depth=1
	s_and_not1_b32 vcc_lo, exec_lo, s4
	s_cbranch_vccnz .LBB155_28
; %bb.26:                               ;   in Loop: Header=BB155_11 Depth=1
	ds_load_2addr_b64 v[22:25], v42 offset1:1
	v_add_co_u32 v17, vcc_lo, v20, v14
	v_add_co_ci_u32_e32 v18, vcc_lo, v21, v15, vcc_lo
	s_mov_b64 s[0:1], 1
	s_waitcnt lgkmcnt(0)
	global_store_b128 v[17:18], v[22:25], off
	s_cbranch_execnz .LBB155_8
	s_branch .LBB155_29
.LBB155_27:                             ;   in Loop: Header=BB155_11 Depth=1
	s_branch .LBB155_23
.LBB155_28:                             ;   in Loop: Header=BB155_11 Depth=1
                                        ; implicit-def: $sgpr0_sgpr1
.LBB155_29:                             ;   in Loop: Header=BB155_11 Depth=1
	ds_load_2addr_b64 v[20:23], v42 offset1:1
	v_lshlrev_b32_e32 v17, 4, v28
	s_mov_b64 s[0:1], 1
	s_delay_alu instid0(VALU_DEP_1)
	v_add_co_u32 v16, vcc_lo, v16, v17
	v_add_co_ci_u32_e32 v17, vcc_lo, 0, v19, vcc_lo
	s_waitcnt lgkmcnt(0)
	global_store_b128 v[16:17], v[20:23], off offset:64
	s_branch .LBB155_8
.LBB155_30:
	s_endpgm
	.section	.rodata,"a",@progbits
	.p2align	6, 0x0
	.amdhsa_kernel _ZN9rocsparseL42csr2bsr_wavefront_per_row_multipass_kernelILj256ELj32ELj8E21rocsparse_complex_numIdEliEEv20rocsparse_direction_T4_S4_S4_S4_S4_21rocsparse_index_base_PKT2_PKT3_PKS4_S5_PS6_PS9_PS4_
		.amdhsa_group_segment_fixed_size 8200
		.amdhsa_private_segment_fixed_size 0
		.amdhsa_kernarg_size 88
		.amdhsa_user_sgpr_count 15
		.amdhsa_user_sgpr_dispatch_ptr 0
		.amdhsa_user_sgpr_queue_ptr 0
		.amdhsa_user_sgpr_kernarg_segment_ptr 1
		.amdhsa_user_sgpr_dispatch_id 0
		.amdhsa_user_sgpr_private_segment_size 0
		.amdhsa_wavefront_size32 1
		.amdhsa_uses_dynamic_stack 0
		.amdhsa_enable_private_segment 0
		.amdhsa_system_sgpr_workgroup_id_x 1
		.amdhsa_system_sgpr_workgroup_id_y 0
		.amdhsa_system_sgpr_workgroup_id_z 0
		.amdhsa_system_sgpr_workgroup_info 0
		.amdhsa_system_vgpr_workitem_id 0
		.amdhsa_next_free_vgpr 50
		.amdhsa_next_free_sgpr 22
		.amdhsa_reserve_vcc 1
		.amdhsa_float_round_mode_32 0
		.amdhsa_float_round_mode_16_64 0
		.amdhsa_float_denorm_mode_32 3
		.amdhsa_float_denorm_mode_16_64 3
		.amdhsa_dx10_clamp 1
		.amdhsa_ieee_mode 1
		.amdhsa_fp16_overflow 0
		.amdhsa_workgroup_processor_mode 1
		.amdhsa_memory_ordered 1
		.amdhsa_forward_progress 0
		.amdhsa_shared_vgpr_count 0
		.amdhsa_exception_fp_ieee_invalid_op 0
		.amdhsa_exception_fp_denorm_src 0
		.amdhsa_exception_fp_ieee_div_zero 0
		.amdhsa_exception_fp_ieee_overflow 0
		.amdhsa_exception_fp_ieee_underflow 0
		.amdhsa_exception_fp_ieee_inexact 0
		.amdhsa_exception_int_div_zero 0
	.end_amdhsa_kernel
	.section	.text._ZN9rocsparseL42csr2bsr_wavefront_per_row_multipass_kernelILj256ELj32ELj8E21rocsparse_complex_numIdEliEEv20rocsparse_direction_T4_S4_S4_S4_S4_21rocsparse_index_base_PKT2_PKT3_PKS4_S5_PS6_PS9_PS4_,"axG",@progbits,_ZN9rocsparseL42csr2bsr_wavefront_per_row_multipass_kernelILj256ELj32ELj8E21rocsparse_complex_numIdEliEEv20rocsparse_direction_T4_S4_S4_S4_S4_21rocsparse_index_base_PKT2_PKT3_PKS4_S5_PS6_PS9_PS4_,comdat
.Lfunc_end155:
	.size	_ZN9rocsparseL42csr2bsr_wavefront_per_row_multipass_kernelILj256ELj32ELj8E21rocsparse_complex_numIdEliEEv20rocsparse_direction_T4_S4_S4_S4_S4_21rocsparse_index_base_PKT2_PKT3_PKS4_S5_PS6_PS9_PS4_, .Lfunc_end155-_ZN9rocsparseL42csr2bsr_wavefront_per_row_multipass_kernelILj256ELj32ELj8E21rocsparse_complex_numIdEliEEv20rocsparse_direction_T4_S4_S4_S4_S4_21rocsparse_index_base_PKT2_PKT3_PKS4_S5_PS6_PS9_PS4_
                                        ; -- End function
	.section	.AMDGPU.csdata,"",@progbits
; Kernel info:
; codeLenInByte = 1960
; NumSgprs: 24
; NumVgprs: 50
; ScratchSize: 0
; MemoryBound: 0
; FloatMode: 240
; IeeeMode: 1
; LDSByteSize: 8200 bytes/workgroup (compile time only)
; SGPRBlocks: 2
; VGPRBlocks: 6
; NumSGPRsForWavesPerEU: 24
; NumVGPRsForWavesPerEU: 50
; Occupancy: 16
; WaveLimiterHint : 0
; COMPUTE_PGM_RSRC2:SCRATCH_EN: 0
; COMPUTE_PGM_RSRC2:USER_SGPR: 15
; COMPUTE_PGM_RSRC2:TRAP_HANDLER: 0
; COMPUTE_PGM_RSRC2:TGID_X_EN: 1
; COMPUTE_PGM_RSRC2:TGID_Y_EN: 0
; COMPUTE_PGM_RSRC2:TGID_Z_EN: 0
; COMPUTE_PGM_RSRC2:TIDIG_COMP_CNT: 0
	.section	.text._ZN9rocsparseL42csr2bsr_wavefront_per_row_multipass_kernelILj256ELj64ELj16E21rocsparse_complex_numIdEliEEv20rocsparse_direction_T4_S4_S4_S4_S4_21rocsparse_index_base_PKT2_PKT3_PKS4_S5_PS6_PS9_PS4_,"axG",@progbits,_ZN9rocsparseL42csr2bsr_wavefront_per_row_multipass_kernelILj256ELj64ELj16E21rocsparse_complex_numIdEliEEv20rocsparse_direction_T4_S4_S4_S4_S4_21rocsparse_index_base_PKT2_PKT3_PKS4_S5_PS6_PS9_PS4_,comdat
	.globl	_ZN9rocsparseL42csr2bsr_wavefront_per_row_multipass_kernelILj256ELj64ELj16E21rocsparse_complex_numIdEliEEv20rocsparse_direction_T4_S4_S4_S4_S4_21rocsparse_index_base_PKT2_PKT3_PKS4_S5_PS6_PS9_PS4_ ; -- Begin function _ZN9rocsparseL42csr2bsr_wavefront_per_row_multipass_kernelILj256ELj64ELj16E21rocsparse_complex_numIdEliEEv20rocsparse_direction_T4_S4_S4_S4_S4_21rocsparse_index_base_PKT2_PKT3_PKS4_S5_PS6_PS9_PS4_
	.p2align	8
	.type	_ZN9rocsparseL42csr2bsr_wavefront_per_row_multipass_kernelILj256ELj64ELj16E21rocsparse_complex_numIdEliEEv20rocsparse_direction_T4_S4_S4_S4_S4_21rocsparse_index_base_PKT2_PKT3_PKS4_S5_PS6_PS9_PS4_,@function
_ZN9rocsparseL42csr2bsr_wavefront_per_row_multipass_kernelILj256ELj64ELj16E21rocsparse_complex_numIdEliEEv20rocsparse_direction_T4_S4_S4_S4_S4_21rocsparse_index_base_PKT2_PKT3_PKS4_S5_PS6_PS9_PS4_: ; @_ZN9rocsparseL42csr2bsr_wavefront_per_row_multipass_kernelILj256ELj64ELj16E21rocsparse_complex_numIdEliEEv20rocsparse_direction_T4_S4_S4_S4_S4_21rocsparse_index_base_PKT2_PKT3_PKS4_S5_PS6_PS9_PS4_
; %bb.0:
	s_clause 0x1
	s_load_b128 s[4:7], s[0:1], 0xc
	s_load_b64 s[10:11], s[0:1], 0x0
	v_lshrrev_b32_e32 v31, 6, v0
	v_bfe_u32 v1, v0, 2, 4
	s_load_b64 s[8:9], s[0:1], 0x28
	v_mov_b32_e32 v4, 0
	v_mov_b32_e32 v5, 0
	v_lshl_or_b32 v2, s15, 2, v31
	s_delay_alu instid0(VALU_DEP_2) | instskip(SKIP_1) | instid1(VALU_DEP_2)
	v_dual_mov_b32 v11, v5 :: v_dual_mov_b32 v10, v4
	s_waitcnt lgkmcnt(0)
	v_mad_u64_u32 v[6:7], null, v2, s6, v[1:2]
	v_cmp_gt_i32_e32 vcc_lo, s6, v1
	s_delay_alu instid0(VALU_DEP_2) | instskip(NEXT) | instid1(VALU_DEP_1)
	v_cmp_gt_i32_e64 s2, s11, v6
	s_and_b32 s3, vcc_lo, s2
	s_delay_alu instid0(SALU_CYCLE_1)
	s_and_saveexec_b32 s11, s3
	s_cbranch_execz .LBB156_2
; %bb.1:
	v_ashrrev_i32_e32 v7, 31, v6
	s_delay_alu instid0(VALU_DEP_1) | instskip(NEXT) | instid1(VALU_DEP_1)
	v_lshlrev_b64 v[7:8], 3, v[6:7]
	v_add_co_u32 v7, s2, s8, v7
	s_delay_alu instid0(VALU_DEP_1) | instskip(SKIP_3) | instid1(VALU_DEP_1)
	v_add_co_ci_u32_e64 v8, s2, s9, v8, s2
	global_load_b64 v[7:8], v[7:8], off
	s_waitcnt vmcnt(0)
	v_sub_co_u32 v10, s2, v7, s7
	v_subrev_co_ci_u32_e64 v11, s2, 0, v8, s2
.LBB156_2:
	s_or_b32 exec_lo, exec_lo, s11
	s_and_saveexec_b32 s11, s3
	s_cbranch_execz .LBB156_4
; %bb.3:
	v_ashrrev_i32_e32 v7, 31, v6
	s_delay_alu instid0(VALU_DEP_1) | instskip(NEXT) | instid1(VALU_DEP_1)
	v_lshlrev_b64 v[3:4], 3, v[6:7]
	v_add_co_u32 v3, s2, s8, v3
	s_delay_alu instid0(VALU_DEP_1) | instskip(SKIP_3) | instid1(VALU_DEP_1)
	v_add_co_ci_u32_e64 v4, s2, s9, v4, s2
	global_load_b64 v[4:5], v[3:4], off offset:8
	s_waitcnt vmcnt(0)
	v_sub_co_u32 v4, s2, v4, s7
	v_subrev_co_ci_u32_e64 v5, s2, 0, v5, s2
.LBB156_4:
	s_or_b32 exec_lo, exec_lo, s11
	s_load_b32 s18, s[0:1], 0x38
	v_mov_b32_e32 v6, 0
	v_mov_b32_e32 v7, 0
	s_mov_b32 s3, exec_lo
	v_cmpx_gt_i32_e64 s4, v2
	s_cbranch_execz .LBB156_6
; %bb.5:
	s_load_b64 s[8:9], s[0:1], 0x48
	v_ashrrev_i32_e32 v3, 31, v2
	s_delay_alu instid0(VALU_DEP_1) | instskip(SKIP_1) | instid1(VALU_DEP_1)
	v_lshlrev_b64 v[2:3], 3, v[2:3]
	s_waitcnt lgkmcnt(0)
	v_add_co_u32 v2, s2, s8, v2
	s_delay_alu instid0(VALU_DEP_1) | instskip(SKIP_3) | instid1(VALU_DEP_1)
	v_add_co_ci_u32_e64 v3, s2, s9, v3, s2
	global_load_b64 v[2:3], v[2:3], off
	s_waitcnt vmcnt(0)
	v_sub_co_u32 v6, s2, v2, s18
	v_subrev_co_ci_u32_e64 v7, s2, 0, v3, s2
.LBB156_6:
	s_or_b32 exec_lo, exec_lo, s3
	s_cmp_lt_i32 s5, 1
	s_cbranch_scc1 .LBB156_40
; %bb.7:
	v_mbcnt_lo_u32_b32 v2, -1, 0
	s_clause 0x3
	s_load_b64 s[12:13], s[0:1], 0x20
	s_load_b64 s[14:15], s[0:1], 0x50
	;; [unrolled: 1-line block ×4, first 2 shown]
	v_and_b32_e32 v32, 3, v0
	v_dual_mov_b32 v20, 0 :: v_dual_lshlrev_b32 v3, 4, v1
	v_xor_b32_e32 v8, 2, v2
	v_xor_b32_e32 v9, 1, v2
	s_cmp_lg_u32 s10, 0
	s_delay_alu instid0(VALU_DEP_3)
	v_lshl_or_b32 v33, v31, 8, v3
	s_cselect_b32 s4, -1, 0
	v_cmp_gt_i32_e64 s0, 32, v8
	s_abs_i32 s21, s6
	s_lshl_b32 s9, s6, 2
	v_lshl_or_b32 v36, v2, 2, 12
	s_mov_b32 s8, 0
	v_cndmask_b32_e64 v0, v2, v8, s0
	v_cmp_gt_i32_e64 s0, 32, v9
	v_mul_lo_u32 v8, v1, s6
	s_mov_b32 s10, s8
	s_mov_b32 s11, s8
	v_bfrev_b32_e32 v46, 0.5
	v_cndmask_b32_e64 v12, v2, v9, s0
	v_dual_mov_b32 v9, 0 :: v_dual_lshlrev_b32 v34, 2, v0
	s_waitcnt lgkmcnt(0)
	v_add_co_u32 v37, s0, s2, v3
	v_or_b32_e32 v3, 32, v2
	s_delay_alu instid0(VALU_DEP_3)
	v_mov_b32_e32 v15, v9
	v_lshlrev_b64 v[0:1], 4, v[8:9]
	v_add_co_ci_u32_e64 v38, null, s3, 0, s0
	v_xor_b32_e32 v8, 8, v2
	v_or_b32_e32 v13, v33, v32
	s_mul_hi_u32 s19, s6, s6
	s_delay_alu instid0(VALU_DEP_4) | instskip(NEXT) | instid1(VALU_DEP_1)
	v_add_co_u32 v39, s0, s2, v0
	v_add_co_ci_u32_e64 v40, s0, s3, v1, s0
	v_xor_b32_e32 v0, 16, v2
	v_cmp_gt_i32_e64 s0, 32, v3
	s_mul_i32 s20, s6, s6
	v_mov_b32_e32 v17, v9
	v_mov_b32_e32 v19, v9
	;; [unrolled: 1-line block ×3, first 2 shown]
	v_cndmask_b32_e64 v1, v2, v3, s0
	v_cmp_gt_i32_e64 s0, 32, v0
	v_cvt_f32_u32_e32 v3, s21
	s_delay_alu instid0(VALU_DEP_2) | instskip(SKIP_1) | instid1(VALU_DEP_3)
	v_cndmask_b32_e64 v0, v2, v0, s0
	v_cmp_gt_i32_e64 s0, 32, v8
	v_rcp_iflag_f32_e32 v3, v3
	v_lshlrev_b32_e32 v35, 2, v12
	v_xor_b32_e32 v12, 4, v2
	v_lshlrev_b32_e32 v42, 2, v0
	v_cndmask_b32_e64 v8, v2, v8, s0
	s_delay_alu instid0(VALU_DEP_3) | instskip(NEXT) | instid1(VALU_DEP_2)
	v_cmp_gt_i32_e64 s0, 32, v12
	v_lshlrev_b32_e32 v44, 2, v8
	v_mul_lo_u32 v8, v32, s6
	s_delay_alu instid0(TRANS32_DEP_1) | instskip(NEXT) | instid1(VALU_DEP_4)
	v_mul_f32_e32 v0, 0x4f7ffffe, v3
	v_cndmask_b32_e64 v2, v2, v12, s0
	s_sub_i32 s0, 0, s21
	v_or_b32_e32 v3, 12, v32
	s_delay_alu instid0(VALU_DEP_3) | instskip(NEXT) | instid1(VALU_DEP_3)
	v_cvt_u32_f32_e32 v0, v0
	v_lshlrev_b32_e32 v45, 2, v2
	v_add_nc_u32_e32 v14, s9, v8
	s_delay_alu instid0(VALU_DEP_4) | instskip(NEXT) | instid1(VALU_DEP_4)
	v_cmp_gt_u32_e64 s3, s6, v3
	v_mul_lo_u32 v2, s0, v0
	v_cmp_gt_u32_e64 s0, s6, v32
	s_delay_alu instid0(VALU_DEP_4) | instskip(SKIP_2) | instid1(VALU_DEP_3)
	v_add_nc_u32_e32 v16, s9, v14
	v_lshlrev_b64 v[14:15], 4, v[14:15]
	s_and_b32 s3, vcc_lo, s3
	s_and_b32 s22, s0, vcc_lo
	s_delay_alu instid0(VALU_DEP_2)
	v_add_nc_u32_e32 v18, s9, v16
	s_mov_b32 s9, s8
	v_lshlrev_b32_e32 v41, 2, v1
	v_or_b32_e32 v1, 4, v32
	v_mul_hi_u32 v2, v0, v2
	v_lshlrev_b32_e32 v43, 4, v13
	v_lshlrev_b64 v[12:13], 4, v[8:9]
	v_mov_b32_e32 v8, 1
	v_cmp_gt_u32_e64 s1, s6, v1
	v_or_b32_e32 v1, 8, v32
	v_add_nc_u32_e32 v50, v0, v2
	s_delay_alu instid0(VALU_DEP_3) | instskip(NEXT) | instid1(VALU_DEP_2)
	s_and_b32 s23, vcc_lo, s1
	v_cmp_gt_u32_e64 s2, s6, v1
	v_mov_b32_e32 v0, s8
	v_dual_mov_b32 v2, s10 :: v_dual_mov_b32 v1, s9
	v_mov_b32_e32 v3, s11
	v_lshlrev_b64 v[16:17], 4, v[16:17]
	v_lshlrev_b64 v[18:19], 4, v[18:19]
	v_or_b32_e32 v47, 64, v43
	v_or_b32_e32 v48, 0x80, v43
	;; [unrolled: 1-line block ×3, first 2 shown]
	s_and_b32 s2, vcc_lo, s2
	s_ashr_i32 s9, s6, 31
	s_branch .LBB156_11
.LBB156_8:                              ;   in Loop: Header=BB156_11 Depth=1
	v_dual_mov_b32 v22, s1 :: v_dual_mov_b32 v21, s0
.LBB156_9:                              ;   in Loop: Header=BB156_11 Depth=1
	s_or_b32 exec_lo, exec_lo, s11
.LBB156_10:                             ;   in Loop: Header=BB156_11 Depth=1
	s_delay_alu instid0(SALU_CYCLE_1) | instskip(SKIP_2) | instid1(VALU_DEP_1)
	s_or_b32 exec_lo, exec_lo, s10
	ds_bpermute_b32 v20, v41, v51
	v_add_co_u32 v6, s0, v21, v6
	v_add_co_ci_u32_e64 v7, s0, v22, v7, s0
	s_waitcnt lgkmcnt(0)
	s_waitcnt_vscnt null, 0x0
	buffer_gl0_inv
	buffer_gl0_inv
	v_min_i32_e32 v20, v20, v51
	ds_bpermute_b32 v23, v42, v20
	s_waitcnt lgkmcnt(0)
	v_min_i32_e32 v20, v23, v20
	ds_bpermute_b32 v23, v44, v20
	s_waitcnt lgkmcnt(0)
	;; [unrolled: 3-line block ×6, first 2 shown]
	v_cmp_le_i32_e32 vcc_lo, s5, v20
	v_ashrrev_i32_e32 v21, 31, v20
	s_or_b32 s8, vcc_lo, s8
	s_delay_alu instid0(SALU_CYCLE_1)
	s_and_not1_b32 exec_lo, exec_lo, s8
	s_cbranch_execz .LBB156_40
.LBB156_11:                             ; =>This Loop Header: Depth=1
                                        ;     Child Loop BB156_14 Depth 2
	v_add_co_u32 v10, vcc_lo, v10, v32
	v_mov_b32_e32 v27, v5
	v_add_co_ci_u32_e32 v11, vcc_lo, 0, v11, vcc_lo
	v_dual_mov_b32 v51, s5 :: v_dual_mov_b32 v26, v4
	s_mov_b32 s1, exec_lo
	ds_store_b8 v31, v9 offset:16384
	ds_store_b128 v43, v[0:3]
	ds_store_b128 v43, v[0:3] offset:64
	ds_store_b128 v43, v[0:3] offset:128
	;; [unrolled: 1-line block ×3, first 2 shown]
	s_waitcnt lgkmcnt(0)
	buffer_gl0_inv
	v_cmpx_lt_i64_e64 v[10:11], v[4:5]
	s_cbranch_execz .LBB156_19
; %bb.12:                               ;   in Loop: Header=BB156_11 Depth=1
	v_lshlrev_b64 v[22:23], 4, v[10:11]
	v_lshlrev_b64 v[24:25], 2, v[10:11]
	v_mov_b32_e32 v27, v5
	v_dual_mov_b32 v51, s5 :: v_dual_mov_b32 v26, v4
	s_mov_b32 s10, 0
	s_delay_alu instid0(VALU_DEP_4)
	v_add_co_u32 v22, vcc_lo, s12, v22
	v_add_co_ci_u32_e32 v23, vcc_lo, s13, v23, vcc_lo
	v_add_co_u32 v24, vcc_lo, s16, v24
	v_add_co_ci_u32_e32 v25, vcc_lo, s17, v25, vcc_lo
	s_branch .LBB156_14
.LBB156_13:                             ;   in Loop: Header=BB156_14 Depth=2
	s_or_b32 exec_lo, exec_lo, s0
	v_add_co_u32 v10, s0, v10, 4
	s_delay_alu instid0(VALU_DEP_1) | instskip(SKIP_2) | instid1(VALU_DEP_2)
	v_add_co_ci_u32_e64 v11, s0, 0, v11, s0
	s_xor_b32 s11, vcc_lo, -1
	v_add_co_u32 v22, vcc_lo, v22, 64
	v_cmp_ge_i64_e64 s0, v[10:11], v[4:5]
	v_add_co_ci_u32_e32 v23, vcc_lo, 0, v23, vcc_lo
	v_add_co_u32 v24, vcc_lo, v24, 16
	v_add_co_ci_u32_e32 v25, vcc_lo, 0, v25, vcc_lo
	s_delay_alu instid0(VALU_DEP_4) | instskip(NEXT) | instid1(SALU_CYCLE_1)
	s_or_b32 s0, s11, s0
	s_and_b32 s0, exec_lo, s0
	s_delay_alu instid0(SALU_CYCLE_1) | instskip(NEXT) | instid1(SALU_CYCLE_1)
	s_or_b32 s10, s0, s10
	s_and_not1_b32 exec_lo, exec_lo, s10
	s_cbranch_execz .LBB156_18
.LBB156_14:                             ;   Parent Loop BB156_11 Depth=1
                                        ; =>  This Inner Loop Header: Depth=2
	global_load_b32 v28, v[24:25], off
	s_waitcnt vmcnt(0)
	v_subrev_nc_u32_e32 v52, s7, v28
	s_delay_alu instid0(VALU_DEP_1) | instskip(NEXT) | instid1(VALU_DEP_1)
	v_sub_nc_u32_e32 v28, 0, v52
	v_max_i32_e32 v28, v52, v28
	s_delay_alu instid0(VALU_DEP_1) | instskip(NEXT) | instid1(VALU_DEP_1)
	v_mul_hi_u32 v29, v28, v50
	v_mul_lo_u32 v30, v29, s21
	s_delay_alu instid0(VALU_DEP_1) | instskip(SKIP_1) | instid1(VALU_DEP_2)
	v_sub_nc_u32_e32 v28, v28, v30
	v_add_nc_u32_e32 v30, 1, v29
	v_subrev_nc_u32_e32 v53, s21, v28
	v_cmp_le_u32_e32 vcc_lo, s21, v28
	s_delay_alu instid0(VALU_DEP_2) | instskip(SKIP_1) | instid1(VALU_DEP_2)
	v_dual_cndmask_b32 v29, v29, v30 :: v_dual_cndmask_b32 v28, v28, v53
	v_ashrrev_i32_e32 v30, 31, v52
	v_add_nc_u32_e32 v53, 1, v29
	s_delay_alu instid0(VALU_DEP_3) | instskip(NEXT) | instid1(VALU_DEP_3)
	v_cmp_le_u32_e32 vcc_lo, s21, v28
	v_xor_b32_e32 v30, s9, v30
	s_delay_alu instid0(VALU_DEP_3) | instskip(NEXT) | instid1(VALU_DEP_1)
	v_cndmask_b32_e32 v28, v29, v53, vcc_lo
	v_xor_b32_e32 v28, v28, v30
	s_delay_alu instid0(VALU_DEP_1) | instskip(NEXT) | instid1(VALU_DEP_1)
	v_sub_nc_u32_e32 v28, v28, v30
	v_ashrrev_i32_e32 v29, 31, v28
	s_delay_alu instid0(VALU_DEP_1) | instskip(SKIP_2) | instid1(VALU_DEP_2)
	v_cmp_eq_u64_e32 vcc_lo, v[20:21], v[28:29]
	v_cmp_ne_u64_e64 s0, v[20:21], v[28:29]
	v_dual_mov_b32 v30, v27 :: v_dual_mov_b32 v29, v26
	s_and_saveexec_b32 s11, s0
	s_delay_alu instid0(SALU_CYCLE_1)
	s_xor_b32 s0, exec_lo, s11
; %bb.15:                               ;   in Loop: Header=BB156_14 Depth=2
	v_min_i32_e32 v51, v28, v51
                                        ; implicit-def: $vgpr28
                                        ; implicit-def: $vgpr52
                                        ; implicit-def: $vgpr29_vgpr30
; %bb.16:                               ;   in Loop: Header=BB156_14 Depth=2
	s_or_saveexec_b32 s0, s0
	v_dual_mov_b32 v27, v11 :: v_dual_mov_b32 v26, v10
	s_xor_b32 exec_lo, exec_lo, s0
	s_cbranch_execz .LBB156_13
; %bb.17:                               ;   in Loop: Header=BB156_14 Depth=2
	global_load_b128 v[53:56], v[22:23], off
	v_mul_lo_u32 v26, v28, s6
	s_delay_alu instid0(VALU_DEP_1) | instskip(NEXT) | instid1(VALU_DEP_1)
	v_sub_nc_u32_e32 v26, v52, v26
	v_add_lshl_u32 v28, v33, v26, 4
	v_dual_mov_b32 v26, v29 :: v_dual_mov_b32 v27, v30
	ds_store_b8 v31, v8 offset:16384
	s_waitcnt vmcnt(0)
	ds_store_2addr_b64 v28, v[53:54], v[55:56] offset1:1
	s_branch .LBB156_13
.LBB156_18:                             ;   in Loop: Header=BB156_11 Depth=1
	s_or_b32 exec_lo, exec_lo, s10
.LBB156_19:                             ;   in Loop: Header=BB156_11 Depth=1
	s_delay_alu instid0(SALU_CYCLE_1)
	s_or_b32 exec_lo, exec_lo, s1
	ds_bpermute_b32 v10, v34, v26
	ds_bpermute_b32 v11, v34, v27
	s_waitcnt lgkmcnt(0)
	buffer_gl0_inv
	ds_load_u8 v23, v31 offset:16384
	s_mov_b32 s10, exec_lo
	v_cmp_lt_i64_e32 vcc_lo, v[10:11], v[26:27]
	s_waitcnt lgkmcnt(0)
	v_and_b32_e32 v23, 1, v23
	v_dual_cndmask_b32 v11, v27, v11 :: v_dual_cndmask_b32 v10, v26, v10
	ds_bpermute_b32 v22, v35, v11
	ds_bpermute_b32 v21, v35, v10
	s_waitcnt lgkmcnt(0)
	v_cmp_lt_i64_e32 vcc_lo, v[21:22], v[10:11]
	v_dual_cndmask_b32 v11, v11, v22 :: v_dual_cndmask_b32 v10, v10, v21
	v_mov_b32_e32 v21, 0
	v_mov_b32_e32 v22, 0
	ds_bpermute_b32 v11, v36, v11
	ds_bpermute_b32 v10, v36, v10
	v_cmpx_eq_u32_e32 1, v23
	s_cbranch_execz .LBB156_10
; %bb.20:                               ;   in Loop: Header=BB156_11 Depth=1
	v_mul_lo_u32 v23, s19, v6
	v_mul_lo_u32 v24, s20, v7
	v_mad_u64_u32 v[21:22], null, s20, v6, 0
	v_add_nc_u32_e32 v28, s18, v20
	s_delay_alu instid0(VALU_DEP_2) | instskip(SKIP_1) | instid1(VALU_DEP_2)
	v_add3_u32 v22, v22, v24, v23
	v_lshlrev_b64 v[23:24], 2, v[6:7]
	v_lshlrev_b64 v[20:21], 4, v[21:22]
	s_delay_alu instid0(VALU_DEP_2) | instskip(NEXT) | instid1(VALU_DEP_3)
	v_add_co_u32 v26, vcc_lo, s14, v23
	v_add_co_ci_u32_e32 v27, vcc_lo, s15, v24, vcc_lo
	s_delay_alu instid0(VALU_DEP_3) | instskip(NEXT) | instid1(VALU_DEP_4)
	v_add_co_u32 v24, vcc_lo, v37, v20
	v_add_co_ci_u32_e32 v25, vcc_lo, v38, v21, vcc_lo
	v_add_co_u32 v20, vcc_lo, v39, v20
	v_add_co_ci_u32_e32 v23, vcc_lo, v40, v21, vcc_lo
	global_store_b32 v[26:27], v28, off
	s_and_saveexec_b32 s0, s22
	s_cbranch_execz .LBB156_24
; %bb.21:                               ;   in Loop: Header=BB156_11 Depth=1
	s_and_b32 vcc_lo, exec_lo, s4
	s_cbranch_vccz .LBB156_35
; %bb.22:                               ;   in Loop: Header=BB156_11 Depth=1
	ds_load_2addr_b64 v[26:29], v43 offset1:1
	v_add_co_u32 v21, vcc_lo, v24, v12
	v_add_co_ci_u32_e32 v22, vcc_lo, v25, v13, vcc_lo
	s_waitcnt lgkmcnt(0)
	global_store_b128 v[21:22], v[26:29], off
	s_cbranch_execnz .LBB156_24
.LBB156_23:                             ;   in Loop: Header=BB156_11 Depth=1
	ds_load_2addr_b64 v[26:29], v43 offset1:1
	v_lshlrev_b32_e32 v21, 4, v32
	s_delay_alu instid0(VALU_DEP_1)
	v_add_co_u32 v21, vcc_lo, v20, v21
	v_add_co_ci_u32_e32 v22, vcc_lo, 0, v23, vcc_lo
	s_waitcnt lgkmcnt(0)
	global_store_b128 v[21:22], v[26:29], off
.LBB156_24:                             ;   in Loop: Header=BB156_11 Depth=1
	s_or_b32 exec_lo, exec_lo, s0
	s_and_saveexec_b32 s0, s23
	s_cbranch_execz .LBB156_28
; %bb.25:                               ;   in Loop: Header=BB156_11 Depth=1
	s_and_not1_b32 vcc_lo, exec_lo, s4
	s_cbranch_vccnz .LBB156_36
; %bb.26:                               ;   in Loop: Header=BB156_11 Depth=1
	ds_load_2addr_b64 v[26:29], v47 offset1:1
	v_add_co_u32 v21, vcc_lo, v24, v14
	v_add_co_ci_u32_e32 v22, vcc_lo, v25, v15, vcc_lo
	s_waitcnt lgkmcnt(0)
	global_store_b128 v[21:22], v[26:29], off
	s_cbranch_execnz .LBB156_28
.LBB156_27:                             ;   in Loop: Header=BB156_11 Depth=1
	ds_load_2addr_b64 v[26:29], v47 offset1:1
	v_lshlrev_b32_e32 v21, 4, v32
	s_delay_alu instid0(VALU_DEP_1)
	v_add_co_u32 v21, vcc_lo, v20, v21
	v_add_co_ci_u32_e32 v22, vcc_lo, 0, v23, vcc_lo
	s_waitcnt lgkmcnt(0)
	global_store_b128 v[21:22], v[26:29], off offset:64
.LBB156_28:                             ;   in Loop: Header=BB156_11 Depth=1
	s_or_b32 exec_lo, exec_lo, s0
	s_and_saveexec_b32 s0, s2
	s_cbranch_execz .LBB156_32
; %bb.29:                               ;   in Loop: Header=BB156_11 Depth=1
	s_and_not1_b32 vcc_lo, exec_lo, s4
	s_cbranch_vccnz .LBB156_37
; %bb.30:                               ;   in Loop: Header=BB156_11 Depth=1
	ds_load_2addr_b64 v[26:29], v48 offset1:1
	v_add_co_u32 v21, vcc_lo, v24, v16
	v_add_co_ci_u32_e32 v22, vcc_lo, v25, v17, vcc_lo
	s_waitcnt lgkmcnt(0)
	global_store_b128 v[21:22], v[26:29], off
	s_cbranch_execnz .LBB156_32
.LBB156_31:                             ;   in Loop: Header=BB156_11 Depth=1
	ds_load_2addr_b64 v[26:29], v48 offset1:1
	v_lshlrev_b32_e32 v21, 4, v32
	s_delay_alu instid0(VALU_DEP_1)
	v_add_co_u32 v21, vcc_lo, v20, v21
	v_add_co_ci_u32_e32 v22, vcc_lo, 0, v23, vcc_lo
	s_waitcnt lgkmcnt(0)
	global_store_b128 v[21:22], v[26:29], off offset:128
.LBB156_32:                             ;   in Loop: Header=BB156_11 Depth=1
	s_or_b32 exec_lo, exec_lo, s0
	v_mov_b32_e32 v21, 1
	v_mov_b32_e32 v22, 0
	s_and_saveexec_b32 s11, s3
	s_cbranch_execz .LBB156_9
; %bb.33:                               ;   in Loop: Header=BB156_11 Depth=1
	s_and_not1_b32 vcc_lo, exec_lo, s4
	s_cbranch_vccnz .LBB156_38
; %bb.34:                               ;   in Loop: Header=BB156_11 Depth=1
	ds_load_2addr_b64 v[26:29], v49 offset1:1
	v_add_co_u32 v21, vcc_lo, v24, v18
	v_add_co_ci_u32_e32 v22, vcc_lo, v25, v19, vcc_lo
	s_mov_b64 s[0:1], 1
	s_waitcnt lgkmcnt(0)
	global_store_b128 v[21:22], v[26:29], off
	s_cbranch_execnz .LBB156_8
	s_branch .LBB156_39
.LBB156_35:                             ;   in Loop: Header=BB156_11 Depth=1
	s_branch .LBB156_23
.LBB156_36:                             ;   in Loop: Header=BB156_11 Depth=1
	s_branch .LBB156_27
.LBB156_37:                             ;   in Loop: Header=BB156_11 Depth=1
	s_branch .LBB156_31
.LBB156_38:                             ;   in Loop: Header=BB156_11 Depth=1
                                        ; implicit-def: $sgpr0_sgpr1
.LBB156_39:                             ;   in Loop: Header=BB156_11 Depth=1
	ds_load_2addr_b64 v[24:27], v49 offset1:1
	v_lshlrev_b32_e32 v21, 4, v32
	s_mov_b64 s[0:1], 1
	s_delay_alu instid0(VALU_DEP_1)
	v_add_co_u32 v20, vcc_lo, v20, v21
	v_add_co_ci_u32_e32 v21, vcc_lo, 0, v23, vcc_lo
	s_waitcnt lgkmcnt(0)
	global_store_b128 v[20:21], v[24:27], off offset:192
	s_branch .LBB156_8
.LBB156_40:
	s_endpgm
	.section	.rodata,"a",@progbits
	.p2align	6, 0x0
	.amdhsa_kernel _ZN9rocsparseL42csr2bsr_wavefront_per_row_multipass_kernelILj256ELj64ELj16E21rocsparse_complex_numIdEliEEv20rocsparse_direction_T4_S4_S4_S4_S4_21rocsparse_index_base_PKT2_PKT3_PKS4_S5_PS6_PS9_PS4_
		.amdhsa_group_segment_fixed_size 16392
		.amdhsa_private_segment_fixed_size 0
		.amdhsa_kernarg_size 88
		.amdhsa_user_sgpr_count 15
		.amdhsa_user_sgpr_dispatch_ptr 0
		.amdhsa_user_sgpr_queue_ptr 0
		.amdhsa_user_sgpr_kernarg_segment_ptr 1
		.amdhsa_user_sgpr_dispatch_id 0
		.amdhsa_user_sgpr_private_segment_size 0
		.amdhsa_wavefront_size32 1
		.amdhsa_uses_dynamic_stack 0
		.amdhsa_enable_private_segment 0
		.amdhsa_system_sgpr_workgroup_id_x 1
		.amdhsa_system_sgpr_workgroup_id_y 0
		.amdhsa_system_sgpr_workgroup_id_z 0
		.amdhsa_system_sgpr_workgroup_info 0
		.amdhsa_system_vgpr_workitem_id 0
		.amdhsa_next_free_vgpr 57
		.amdhsa_next_free_sgpr 24
		.amdhsa_reserve_vcc 1
		.amdhsa_float_round_mode_32 0
		.amdhsa_float_round_mode_16_64 0
		.amdhsa_float_denorm_mode_32 3
		.amdhsa_float_denorm_mode_16_64 3
		.amdhsa_dx10_clamp 1
		.amdhsa_ieee_mode 1
		.amdhsa_fp16_overflow 0
		.amdhsa_workgroup_processor_mode 1
		.amdhsa_memory_ordered 1
		.amdhsa_forward_progress 0
		.amdhsa_shared_vgpr_count 0
		.amdhsa_exception_fp_ieee_invalid_op 0
		.amdhsa_exception_fp_denorm_src 0
		.amdhsa_exception_fp_ieee_div_zero 0
		.amdhsa_exception_fp_ieee_overflow 0
		.amdhsa_exception_fp_ieee_underflow 0
		.amdhsa_exception_fp_ieee_inexact 0
		.amdhsa_exception_int_div_zero 0
	.end_amdhsa_kernel
	.section	.text._ZN9rocsparseL42csr2bsr_wavefront_per_row_multipass_kernelILj256ELj64ELj16E21rocsparse_complex_numIdEliEEv20rocsparse_direction_T4_S4_S4_S4_S4_21rocsparse_index_base_PKT2_PKT3_PKS4_S5_PS6_PS9_PS4_,"axG",@progbits,_ZN9rocsparseL42csr2bsr_wavefront_per_row_multipass_kernelILj256ELj64ELj16E21rocsparse_complex_numIdEliEEv20rocsparse_direction_T4_S4_S4_S4_S4_21rocsparse_index_base_PKT2_PKT3_PKS4_S5_PS6_PS9_PS4_,comdat
.Lfunc_end156:
	.size	_ZN9rocsparseL42csr2bsr_wavefront_per_row_multipass_kernelILj256ELj64ELj16E21rocsparse_complex_numIdEliEEv20rocsparse_direction_T4_S4_S4_S4_S4_21rocsparse_index_base_PKT2_PKT3_PKS4_S5_PS6_PS9_PS4_, .Lfunc_end156-_ZN9rocsparseL42csr2bsr_wavefront_per_row_multipass_kernelILj256ELj64ELj16E21rocsparse_complex_numIdEliEEv20rocsparse_direction_T4_S4_S4_S4_S4_21rocsparse_index_base_PKT2_PKT3_PKS4_S5_PS6_PS9_PS4_
                                        ; -- End function
	.section	.AMDGPU.csdata,"",@progbits
; Kernel info:
; codeLenInByte = 2308
; NumSgprs: 26
; NumVgprs: 57
; ScratchSize: 0
; MemoryBound: 0
; FloatMode: 240
; IeeeMode: 1
; LDSByteSize: 16392 bytes/workgroup (compile time only)
; SGPRBlocks: 3
; VGPRBlocks: 7
; NumSGPRsForWavesPerEU: 26
; NumVGPRsForWavesPerEU: 57
; Occupancy: 14
; WaveLimiterHint : 0
; COMPUTE_PGM_RSRC2:SCRATCH_EN: 0
; COMPUTE_PGM_RSRC2:USER_SGPR: 15
; COMPUTE_PGM_RSRC2:TRAP_HANDLER: 0
; COMPUTE_PGM_RSRC2:TGID_X_EN: 1
; COMPUTE_PGM_RSRC2:TGID_Y_EN: 0
; COMPUTE_PGM_RSRC2:TGID_Z_EN: 0
; COMPUTE_PGM_RSRC2:TIDIG_COMP_CNT: 0
	.section	.text._ZN9rocsparseL42csr2bsr_wavefront_per_row_multipass_kernelILj256ELj32ELj16E21rocsparse_complex_numIdEliEEv20rocsparse_direction_T4_S4_S4_S4_S4_21rocsparse_index_base_PKT2_PKT3_PKS4_S5_PS6_PS9_PS4_,"axG",@progbits,_ZN9rocsparseL42csr2bsr_wavefront_per_row_multipass_kernelILj256ELj32ELj16E21rocsparse_complex_numIdEliEEv20rocsparse_direction_T4_S4_S4_S4_S4_21rocsparse_index_base_PKT2_PKT3_PKS4_S5_PS6_PS9_PS4_,comdat
	.globl	_ZN9rocsparseL42csr2bsr_wavefront_per_row_multipass_kernelILj256ELj32ELj16E21rocsparse_complex_numIdEliEEv20rocsparse_direction_T4_S4_S4_S4_S4_21rocsparse_index_base_PKT2_PKT3_PKS4_S5_PS6_PS9_PS4_ ; -- Begin function _ZN9rocsparseL42csr2bsr_wavefront_per_row_multipass_kernelILj256ELj32ELj16E21rocsparse_complex_numIdEliEEv20rocsparse_direction_T4_S4_S4_S4_S4_21rocsparse_index_base_PKT2_PKT3_PKS4_S5_PS6_PS9_PS4_
	.p2align	8
	.type	_ZN9rocsparseL42csr2bsr_wavefront_per_row_multipass_kernelILj256ELj32ELj16E21rocsparse_complex_numIdEliEEv20rocsparse_direction_T4_S4_S4_S4_S4_21rocsparse_index_base_PKT2_PKT3_PKS4_S5_PS6_PS9_PS4_,@function
_ZN9rocsparseL42csr2bsr_wavefront_per_row_multipass_kernelILj256ELj32ELj16E21rocsparse_complex_numIdEliEEv20rocsparse_direction_T4_S4_S4_S4_S4_21rocsparse_index_base_PKT2_PKT3_PKS4_S5_PS6_PS9_PS4_: ; @_ZN9rocsparseL42csr2bsr_wavefront_per_row_multipass_kernelILj256ELj32ELj16E21rocsparse_complex_numIdEliEEv20rocsparse_direction_T4_S4_S4_S4_S4_21rocsparse_index_base_PKT2_PKT3_PKS4_S5_PS6_PS9_PS4_
; %bb.0:
	s_clause 0x1
	s_load_b128 s[8:11], s[0:1], 0xc
	s_load_b64 s[4:5], s[0:1], 0x0
	v_lshrrev_b32_e32 v39, 5, v0
	v_bfe_u32 v1, v0, 1, 4
	s_load_b64 s[6:7], s[0:1], 0x28
	v_mov_b32_e32 v4, 0
	v_mov_b32_e32 v5, 0
	v_lshl_or_b32 v2, s15, 3, v39
	s_delay_alu instid0(VALU_DEP_2) | instskip(SKIP_1) | instid1(VALU_DEP_2)
	v_dual_mov_b32 v11, v5 :: v_dual_mov_b32 v10, v4
	s_waitcnt lgkmcnt(0)
	v_mad_u64_u32 v[6:7], null, v2, s10, v[1:2]
	v_cmp_gt_i32_e32 vcc_lo, s10, v1
	s_delay_alu instid0(VALU_DEP_2) | instskip(NEXT) | instid1(VALU_DEP_1)
	v_cmp_gt_i32_e64 s2, s5, v6
	s_and_b32 s3, vcc_lo, s2
	s_delay_alu instid0(SALU_CYCLE_1)
	s_and_saveexec_b32 s5, s3
	s_cbranch_execz .LBB157_2
; %bb.1:
	v_ashrrev_i32_e32 v7, 31, v6
	s_delay_alu instid0(VALU_DEP_1) | instskip(NEXT) | instid1(VALU_DEP_1)
	v_lshlrev_b64 v[7:8], 3, v[6:7]
	v_add_co_u32 v7, s2, s6, v7
	s_delay_alu instid0(VALU_DEP_1) | instskip(SKIP_3) | instid1(VALU_DEP_1)
	v_add_co_ci_u32_e64 v8, s2, s7, v8, s2
	global_load_b64 v[7:8], v[7:8], off
	s_waitcnt vmcnt(0)
	v_sub_co_u32 v10, s2, v7, s11
	v_subrev_co_ci_u32_e64 v11, s2, 0, v8, s2
.LBB157_2:
	s_or_b32 exec_lo, exec_lo, s5
	s_and_saveexec_b32 s5, s3
	s_cbranch_execz .LBB157_4
; %bb.3:
	v_ashrrev_i32_e32 v7, 31, v6
	s_delay_alu instid0(VALU_DEP_1) | instskip(NEXT) | instid1(VALU_DEP_1)
	v_lshlrev_b64 v[3:4], 3, v[6:7]
	v_add_co_u32 v3, s2, s6, v3
	s_delay_alu instid0(VALU_DEP_1) | instskip(SKIP_3) | instid1(VALU_DEP_1)
	v_add_co_ci_u32_e64 v4, s2, s7, v4, s2
	global_load_b64 v[4:5], v[3:4], off offset:8
	s_waitcnt vmcnt(0)
	v_sub_co_u32 v4, s2, v4, s11
	v_subrev_co_ci_u32_e64 v5, s2, 0, v5, s2
.LBB157_4:
	s_or_b32 exec_lo, exec_lo, s5
	s_load_b32 s22, s[0:1], 0x38
	v_mov_b32_e32 v6, 0
	v_mov_b32_e32 v7, 0
	s_mov_b32 s3, exec_lo
	v_cmpx_gt_i32_e64 s8, v2
	s_cbranch_execz .LBB157_6
; %bb.5:
	s_load_b64 s[6:7], s[0:1], 0x48
	v_ashrrev_i32_e32 v3, 31, v2
	s_delay_alu instid0(VALU_DEP_1) | instskip(SKIP_1) | instid1(VALU_DEP_1)
	v_lshlrev_b64 v[2:3], 3, v[2:3]
	s_waitcnt lgkmcnt(0)
	v_add_co_u32 v2, s2, s6, v2
	s_delay_alu instid0(VALU_DEP_1) | instskip(SKIP_3) | instid1(VALU_DEP_1)
	v_add_co_ci_u32_e64 v3, s2, s7, v3, s2
	global_load_b64 v[2:3], v[2:3], off
	s_waitcnt vmcnt(0)
	v_sub_co_u32 v6, s2, v2, s22
	v_subrev_co_ci_u32_e64 v7, s2, 0, v3, s2
.LBB157_6:
	s_or_b32 exec_lo, exec_lo, s3
	s_cmp_lt_i32 s9, 1
	s_cbranch_scc1 .LBB157_60
; %bb.7:
	v_mbcnt_lo_u32_b32 v2, -1, 0
	s_clause 0x3
	s_load_b64 s[2:3], s[0:1], 0x40
	s_load_b64 s[16:17], s[0:1], 0x50
	s_load_b64 s[18:19], s[0:1], 0x20
	s_load_b64 s[20:21], s[0:1], 0x30
	v_mul_lo_u32 v8, v1, s10
	v_dual_mov_b32 v9, 0 :: v_dual_and_b32 v40, 1, v0
	v_xor_b32_e32 v3, 1, v2
	v_dual_mov_b32 v53, 0x7c :: v_dual_lshlrev_b32 v12, 4, v1
	s_cmp_lg_u32 s4, 0
	v_lshl_or_b32 v42, v2, 2, 4
	s_delay_alu instid0(VALU_DEP_3)
	v_cmp_gt_i32_e64 s0, 32, v3
	s_cselect_b32 s24, -1, 0
	s_abs_i32 s25, s10
	s_lshl_b32 s13, s10, 1
	s_sub_i32 s6, 0, s25
	v_cndmask_b32_e64 v0, v2, v3, s0
	v_xor_b32_e32 v3, 16, v2
	v_lshl_or_b32 v41, v39, 8, v12
	s_waitcnt lgkmcnt(0)
	v_add_co_u32 v44, s0, s2, v12
	v_dual_mov_b32 v28, 0 :: v_dual_lshlrev_b32 v43, 2, v0
	v_lshlrev_b64 v[0:1], 4, v[8:9]
	v_add_co_ci_u32_e64 v45, null, s3, 0, s0
	v_xor_b32_e32 v8, 2, v2
	v_or_b32_e32 v12, v41, v40
	s_mov_b32 s12, 0
	s_delay_alu instid0(VALU_DEP_4) | instskip(NEXT) | instid1(VALU_DEP_1)
	v_add_co_u32 v46, s0, s2, v0
	v_add_co_ci_u32_e64 v47, s0, s3, v1, s0
	v_xor_b32_e32 v0, 8, v2
	v_cmp_gt_i32_e64 s0, 32, v3
	s_mov_b32 s14, s12
	s_mov_b32 s15, s12
	s_mul_hi_u32 s8, s10, s10
	s_mul_i32 s23, s10, s10
	v_cndmask_b32_e64 v1, v2, v3, s0
	v_xor_b32_e32 v3, 4, v2
	v_cmp_gt_i32_e64 s0, 32, v0
	v_mov_b32_e32 v15, v9
	s_delay_alu instid0(VALU_DEP_4) | instskip(SKIP_1) | instid1(VALU_DEP_4)
	v_dual_mov_b32 v17, v9 :: v_dual_lshlrev_b32 v48, 2, v1
	v_cvt_f32_u32_e32 v1, s25
	v_cndmask_b32_e64 v0, v2, v0, s0
	v_cmp_gt_i32_e64 s0, 32, v3
	v_mov_b32_e32 v19, v9
	v_mov_b32_e32 v21, v9
	v_rcp_iflag_f32_e32 v1, v1
	v_lshlrev_b32_e32 v50, 2, v0
	v_cndmask_b32_e64 v3, v2, v3, s0
	v_cmp_gt_i32_e64 s0, 32, v8
	v_or_b32_e32 v0, 2, v40
	v_mov_b32_e32 v23, v9
	v_mov_b32_e32 v25, v9
	;; [unrolled: 1-line block ×3, first 2 shown]
	v_cndmask_b32_e64 v2, v2, v8, s0
	v_mul_lo_u32 v8, v40, s10
	v_cmp_gt_u32_e64 s1, s10, v0
	v_or_b32_e32 v0, 4, v40
	s_delay_alu instid0(VALU_DEP_4) | instskip(SKIP_2) | instid1(VALU_DEP_4)
	v_dual_mul_f32 v1, 0x4f7ffffe, v1 :: v_dual_lshlrev_b32 v52, 2, v2
	v_or_b32_e32 v2, 6, v40
	v_cmp_gt_u32_e64 s0, s10, v40
	v_cmp_gt_u32_e64 s2, s10, v0
	v_add_nc_u32_e32 v14, s13, v8
	v_or_b32_e32 v0, 8, v40
	v_cmp_gt_u32_e64 s3, s10, v2
	v_or_b32_e32 v2, 10, v40
	s_and_b32 s26, s0, vcc_lo
	v_add_nc_u32_e32 v16, s13, v14
	v_cmp_gt_u32_e64 s4, s10, v0
	v_cvt_u32_f32_e32 v0, v1
	v_cmp_gt_u32_e64 s5, s10, v2
	v_or_b32_e32 v1, 12, v40
	v_add_nc_u32_e32 v18, s13, v16
	v_lshlrev_b64 v[14:15], 4, v[14:15]
	v_mul_lo_u32 v2, s6, v0
	v_lshlrev_b64 v[16:17], 4, v[16:17]
	v_cmp_gt_u32_e64 s6, s10, v1
	v_dual_mov_b32 v29, 0 :: v_dual_add_nc_u32 v20, s13, v18
	v_lshlrev_b64 v[18:19], 4, v[18:19]
	v_mov_b32_e32 v62, 1
	s_and_b32 s27, vcc_lo, s1
	s_delay_alu instid0(VALU_DEP_3)
	v_add_nc_u32_e32 v22, s13, v20
	v_mul_hi_u32 v1, v0, v2
	v_lshlrev_b64 v[20:21], 4, v[20:21]
	s_and_b32 s2, vcc_lo, s2
	s_and_b32 s3, vcc_lo, s3
	v_add_nc_u32_e32 v24, s13, v22
	v_lshlrev_b64 v[22:23], 4, v[22:23]
	s_and_b32 s4, vcc_lo, s4
	s_and_b32 s5, vcc_lo, s5
	v_add_nc_u32_e32 v61, v0, v1
	v_add_nc_u32_e32 v26, s13, v24
	s_mov_b32 s13, s12
	v_lshlrev_b32_e32 v51, 2, v3
	v_or_b32_e32 v3, 14, v40
	v_lshlrev_b32_e32 v49, 4, v12
	v_lshlrev_b64 v[12:13], 4, v[8:9]
	v_lshlrev_b64 v[24:25], 4, v[24:25]
	v_lshlrev_b32_e32 v8, 4, v40
	v_cmp_gt_u32_e64 s7, s10, v3
	v_dual_mov_b32 v0, s12 :: v_dual_mov_b32 v1, s13
	v_lshlrev_b64 v[26:27], 4, v[26:27]
	v_or_b32_e32 v54, 32, v49
	v_or_b32_e32 v55, 64, v49
	;; [unrolled: 1-line block ×7, first 2 shown]
	v_dual_mov_b32 v2, s14 :: v_dual_mov_b32 v3, s15
	s_and_b32 s6, vcc_lo, s6
	s_and_b32 s7, vcc_lo, s7
	s_ashr_i32 s13, s10, 31
	s_branch .LBB157_11
.LBB157_8:                              ;   in Loop: Header=BB157_11 Depth=1
	v_dual_mov_b32 v30, s1 :: v_dual_mov_b32 v29, s0
.LBB157_9:                              ;   in Loop: Header=BB157_11 Depth=1
	s_or_b32 exec_lo, exec_lo, s15
.LBB157_10:                             ;   in Loop: Header=BB157_11 Depth=1
	s_delay_alu instid0(SALU_CYCLE_1) | instskip(SKIP_2) | instid1(VALU_DEP_1)
	s_or_b32 exec_lo, exec_lo, s14
	ds_bpermute_b32 v28, v48, v63
	v_add_co_u32 v6, s0, v29, v6
	v_add_co_ci_u32_e64 v7, s0, v30, v7, s0
	s_waitcnt lgkmcnt(0)
	s_waitcnt_vscnt null, 0x0
	buffer_gl0_inv
	buffer_gl0_inv
	v_min_i32_e32 v28, v28, v63
	ds_bpermute_b32 v31, v50, v28
	s_waitcnt lgkmcnt(0)
	v_min_i32_e32 v28, v31, v28
	ds_bpermute_b32 v31, v51, v28
	s_waitcnt lgkmcnt(0)
	;; [unrolled: 3-line block ×5, first 2 shown]
	v_cmp_le_i32_e32 vcc_lo, s9, v28
	v_ashrrev_i32_e32 v29, 31, v28
	s_or_b32 s12, vcc_lo, s12
	s_delay_alu instid0(SALU_CYCLE_1)
	s_and_not1_b32 exec_lo, exec_lo, s12
	s_cbranch_execz .LBB157_60
.LBB157_11:                             ; =>This Loop Header: Depth=1
                                        ;     Child Loop BB157_14 Depth 2
	v_add_co_u32 v10, vcc_lo, v10, v40
	v_mov_b32_e32 v35, v5
	v_add_co_ci_u32_e32 v11, vcc_lo, 0, v11, vcc_lo
	v_dual_mov_b32 v63, s9 :: v_dual_mov_b32 v34, v4
	s_mov_b32 s1, exec_lo
	ds_store_b8 v39, v9 offset:32768
	ds_store_b128 v49, v[0:3]
	ds_store_b128 v49, v[0:3] offset:32
	ds_store_b128 v49, v[0:3] offset:64
	;; [unrolled: 1-line block ×7, first 2 shown]
	s_waitcnt lgkmcnt(0)
	buffer_gl0_inv
	v_cmpx_lt_i64_e64 v[10:11], v[4:5]
	s_cbranch_execz .LBB157_19
; %bb.12:                               ;   in Loop: Header=BB157_11 Depth=1
	v_lshlrev_b64 v[30:31], 4, v[10:11]
	v_lshlrev_b64 v[32:33], 2, v[10:11]
	v_mov_b32_e32 v35, v5
	v_dual_mov_b32 v63, s9 :: v_dual_mov_b32 v34, v4
	s_mov_b32 s14, 0
	s_delay_alu instid0(VALU_DEP_4)
	v_add_co_u32 v30, vcc_lo, s18, v30
	v_add_co_ci_u32_e32 v31, vcc_lo, s19, v31, vcc_lo
	v_add_co_u32 v32, vcc_lo, s20, v32
	v_add_co_ci_u32_e32 v33, vcc_lo, s21, v33, vcc_lo
	s_branch .LBB157_14
.LBB157_13:                             ;   in Loop: Header=BB157_14 Depth=2
	s_or_b32 exec_lo, exec_lo, s0
	v_add_co_u32 v10, s0, v10, 2
	s_delay_alu instid0(VALU_DEP_1) | instskip(SKIP_2) | instid1(VALU_DEP_2)
	v_add_co_ci_u32_e64 v11, s0, 0, v11, s0
	s_xor_b32 s15, vcc_lo, -1
	v_add_co_u32 v30, vcc_lo, v30, 32
	v_cmp_ge_i64_e64 s0, v[10:11], v[4:5]
	v_add_co_ci_u32_e32 v31, vcc_lo, 0, v31, vcc_lo
	v_add_co_u32 v32, vcc_lo, v32, 8
	v_add_co_ci_u32_e32 v33, vcc_lo, 0, v33, vcc_lo
	s_delay_alu instid0(VALU_DEP_4) | instskip(NEXT) | instid1(SALU_CYCLE_1)
	s_or_b32 s0, s15, s0
	s_and_b32 s0, exec_lo, s0
	s_delay_alu instid0(SALU_CYCLE_1) | instskip(NEXT) | instid1(SALU_CYCLE_1)
	s_or_b32 s14, s0, s14
	s_and_not1_b32 exec_lo, exec_lo, s14
	s_cbranch_execz .LBB157_18
.LBB157_14:                             ;   Parent Loop BB157_11 Depth=1
                                        ; =>  This Inner Loop Header: Depth=2
	global_load_b32 v36, v[32:33], off
	s_waitcnt vmcnt(0)
	v_subrev_nc_u32_e32 v64, s11, v36
	s_delay_alu instid0(VALU_DEP_1) | instskip(NEXT) | instid1(VALU_DEP_1)
	v_sub_nc_u32_e32 v36, 0, v64
	v_max_i32_e32 v36, v64, v36
	s_delay_alu instid0(VALU_DEP_1) | instskip(NEXT) | instid1(VALU_DEP_1)
	v_mul_hi_u32 v37, v36, v61
	v_mul_lo_u32 v38, v37, s25
	s_delay_alu instid0(VALU_DEP_1) | instskip(SKIP_1) | instid1(VALU_DEP_2)
	v_sub_nc_u32_e32 v36, v36, v38
	v_add_nc_u32_e32 v38, 1, v37
	v_subrev_nc_u32_e32 v65, s25, v36
	v_cmp_le_u32_e32 vcc_lo, s25, v36
	s_delay_alu instid0(VALU_DEP_2) | instskip(SKIP_1) | instid1(VALU_DEP_2)
	v_dual_cndmask_b32 v37, v37, v38 :: v_dual_cndmask_b32 v36, v36, v65
	v_ashrrev_i32_e32 v38, 31, v64
	v_add_nc_u32_e32 v65, 1, v37
	s_delay_alu instid0(VALU_DEP_3) | instskip(NEXT) | instid1(VALU_DEP_3)
	v_cmp_le_u32_e32 vcc_lo, s25, v36
	v_xor_b32_e32 v38, s13, v38
	s_delay_alu instid0(VALU_DEP_3) | instskip(NEXT) | instid1(VALU_DEP_1)
	v_cndmask_b32_e32 v36, v37, v65, vcc_lo
	v_xor_b32_e32 v36, v36, v38
	s_delay_alu instid0(VALU_DEP_1) | instskip(NEXT) | instid1(VALU_DEP_1)
	v_sub_nc_u32_e32 v36, v36, v38
	v_ashrrev_i32_e32 v37, 31, v36
	s_delay_alu instid0(VALU_DEP_1) | instskip(SKIP_2) | instid1(VALU_DEP_2)
	v_cmp_eq_u64_e32 vcc_lo, v[28:29], v[36:37]
	v_cmp_ne_u64_e64 s0, v[28:29], v[36:37]
	v_dual_mov_b32 v38, v35 :: v_dual_mov_b32 v37, v34
	s_and_saveexec_b32 s15, s0
	s_delay_alu instid0(SALU_CYCLE_1)
	s_xor_b32 s0, exec_lo, s15
; %bb.15:                               ;   in Loop: Header=BB157_14 Depth=2
	v_min_i32_e32 v63, v36, v63
                                        ; implicit-def: $vgpr36
                                        ; implicit-def: $vgpr64
                                        ; implicit-def: $vgpr37_vgpr38
; %bb.16:                               ;   in Loop: Header=BB157_14 Depth=2
	s_or_saveexec_b32 s0, s0
	v_dual_mov_b32 v35, v11 :: v_dual_mov_b32 v34, v10
	s_xor_b32 exec_lo, exec_lo, s0
	s_cbranch_execz .LBB157_13
; %bb.17:                               ;   in Loop: Header=BB157_14 Depth=2
	global_load_b128 v[65:68], v[30:31], off
	v_mul_lo_u32 v34, v36, s10
	s_delay_alu instid0(VALU_DEP_1) | instskip(NEXT) | instid1(VALU_DEP_1)
	v_sub_nc_u32_e32 v34, v64, v34
	v_add_lshl_u32 v36, v41, v34, 4
	v_dual_mov_b32 v34, v37 :: v_dual_mov_b32 v35, v38
	ds_store_b8 v39, v62 offset:32768
	s_waitcnt vmcnt(0)
	ds_store_2addr_b64 v36, v[65:66], v[67:68] offset1:1
	s_branch .LBB157_13
.LBB157_18:                             ;   in Loop: Header=BB157_11 Depth=1
	s_or_b32 exec_lo, exec_lo, s14
.LBB157_19:                             ;   in Loop: Header=BB157_11 Depth=1
	s_delay_alu instid0(SALU_CYCLE_1)
	s_or_b32 exec_lo, exec_lo, s1
	ds_bpermute_b32 v10, v43, v34
	ds_bpermute_b32 v11, v43, v35
	s_waitcnt lgkmcnt(0)
	buffer_gl0_inv
	ds_load_u8 v29, v39 offset:32768
	s_mov_b32 s14, exec_lo
	v_cmp_lt_i64_e32 vcc_lo, v[10:11], v[34:35]
	s_waitcnt lgkmcnt(0)
	v_and_b32_e32 v31, 1, v29
	v_mov_b32_e32 v29, 0
	v_dual_mov_b32 v30, 0 :: v_dual_cndmask_b32 v11, v35, v11
	v_cndmask_b32_e32 v10, v34, v10, vcc_lo
	ds_bpermute_b32 v11, v42, v11
	ds_bpermute_b32 v10, v42, v10
	v_cmpx_eq_u32_e32 1, v31
	s_cbranch_execz .LBB157_10
; %bb.20:                               ;   in Loop: Header=BB157_11 Depth=1
	v_mul_lo_u32 v31, s8, v6
	v_mul_lo_u32 v32, s23, v7
	v_mad_u64_u32 v[29:30], null, s23, v6, 0
	v_add_nc_u32_e32 v36, s22, v28
	s_delay_alu instid0(VALU_DEP_2) | instskip(SKIP_1) | instid1(VALU_DEP_2)
	v_add3_u32 v30, v30, v32, v31
	v_lshlrev_b64 v[31:32], 2, v[6:7]
	v_lshlrev_b64 v[28:29], 4, v[29:30]
	s_delay_alu instid0(VALU_DEP_2) | instskip(NEXT) | instid1(VALU_DEP_3)
	v_add_co_u32 v34, vcc_lo, s16, v31
	v_add_co_ci_u32_e32 v35, vcc_lo, s17, v32, vcc_lo
	s_delay_alu instid0(VALU_DEP_3) | instskip(NEXT) | instid1(VALU_DEP_4)
	v_add_co_u32 v32, vcc_lo, v44, v28
	v_add_co_ci_u32_e32 v33, vcc_lo, v45, v29, vcc_lo
	v_add_co_u32 v28, vcc_lo, v46, v28
	v_add_co_ci_u32_e32 v31, vcc_lo, v47, v29, vcc_lo
	global_store_b32 v[34:35], v36, off
	s_and_saveexec_b32 s0, s26
	s_cbranch_execz .LBB157_24
; %bb.21:                               ;   in Loop: Header=BB157_11 Depth=1
	s_and_b32 vcc_lo, exec_lo, s24
	s_cbranch_vccz .LBB157_51
; %bb.22:                               ;   in Loop: Header=BB157_11 Depth=1
	ds_load_2addr_b64 v[34:37], v49 offset1:1
	v_add_co_u32 v29, vcc_lo, v32, v12
	v_add_co_ci_u32_e32 v30, vcc_lo, v33, v13, vcc_lo
	s_waitcnt lgkmcnt(0)
	global_store_b128 v[29:30], v[34:37], off
	s_cbranch_execnz .LBB157_24
.LBB157_23:                             ;   in Loop: Header=BB157_11 Depth=1
	ds_load_2addr_b64 v[34:37], v49 offset1:1
	v_add_co_u32 v29, vcc_lo, v28, v8
	v_add_co_ci_u32_e32 v30, vcc_lo, 0, v31, vcc_lo
	s_waitcnt lgkmcnt(0)
	global_store_b128 v[29:30], v[34:37], off
.LBB157_24:                             ;   in Loop: Header=BB157_11 Depth=1
	s_or_b32 exec_lo, exec_lo, s0
	s_and_saveexec_b32 s0, s27
	s_cbranch_execz .LBB157_28
; %bb.25:                               ;   in Loop: Header=BB157_11 Depth=1
	s_and_not1_b32 vcc_lo, exec_lo, s24
	s_cbranch_vccnz .LBB157_52
; %bb.26:                               ;   in Loop: Header=BB157_11 Depth=1
	ds_load_2addr_b64 v[34:37], v54 offset1:1
	v_add_co_u32 v29, vcc_lo, v32, v14
	v_add_co_ci_u32_e32 v30, vcc_lo, v33, v15, vcc_lo
	s_waitcnt lgkmcnt(0)
	global_store_b128 v[29:30], v[34:37], off
	s_cbranch_execnz .LBB157_28
.LBB157_27:                             ;   in Loop: Header=BB157_11 Depth=1
	ds_load_2addr_b64 v[34:37], v54 offset1:1
	v_add_co_u32 v29, vcc_lo, v28, v8
	v_add_co_ci_u32_e32 v30, vcc_lo, 0, v31, vcc_lo
	s_waitcnt lgkmcnt(0)
	global_store_b128 v[29:30], v[34:37], off offset:32
.LBB157_28:                             ;   in Loop: Header=BB157_11 Depth=1
	s_or_b32 exec_lo, exec_lo, s0
	s_and_saveexec_b32 s0, s2
	s_cbranch_execz .LBB157_32
; %bb.29:                               ;   in Loop: Header=BB157_11 Depth=1
	s_and_not1_b32 vcc_lo, exec_lo, s24
	s_cbranch_vccnz .LBB157_53
; %bb.30:                               ;   in Loop: Header=BB157_11 Depth=1
	ds_load_2addr_b64 v[34:37], v55 offset1:1
	v_add_co_u32 v29, vcc_lo, v32, v16
	v_add_co_ci_u32_e32 v30, vcc_lo, v33, v17, vcc_lo
	s_waitcnt lgkmcnt(0)
	global_store_b128 v[29:30], v[34:37], off
	s_cbranch_execnz .LBB157_32
.LBB157_31:                             ;   in Loop: Header=BB157_11 Depth=1
	ds_load_2addr_b64 v[34:37], v55 offset1:1
	v_add_co_u32 v29, vcc_lo, v28, v8
	v_add_co_ci_u32_e32 v30, vcc_lo, 0, v31, vcc_lo
	s_waitcnt lgkmcnt(0)
	global_store_b128 v[29:30], v[34:37], off offset:64
.LBB157_32:                             ;   in Loop: Header=BB157_11 Depth=1
	s_or_b32 exec_lo, exec_lo, s0
	s_and_saveexec_b32 s0, s3
	s_cbranch_execz .LBB157_36
; %bb.33:                               ;   in Loop: Header=BB157_11 Depth=1
	s_and_not1_b32 vcc_lo, exec_lo, s24
	s_cbranch_vccnz .LBB157_54
; %bb.34:                               ;   in Loop: Header=BB157_11 Depth=1
	ds_load_2addr_b64 v[34:37], v56 offset1:1
	v_add_co_u32 v29, vcc_lo, v32, v18
	v_add_co_ci_u32_e32 v30, vcc_lo, v33, v19, vcc_lo
	s_waitcnt lgkmcnt(0)
	global_store_b128 v[29:30], v[34:37], off
	s_cbranch_execnz .LBB157_36
.LBB157_35:                             ;   in Loop: Header=BB157_11 Depth=1
	ds_load_2addr_b64 v[34:37], v56 offset1:1
	v_add_co_u32 v29, vcc_lo, v28, v8
	v_add_co_ci_u32_e32 v30, vcc_lo, 0, v31, vcc_lo
	s_waitcnt lgkmcnt(0)
	global_store_b128 v[29:30], v[34:37], off offset:96
.LBB157_36:                             ;   in Loop: Header=BB157_11 Depth=1
	s_or_b32 exec_lo, exec_lo, s0
	s_and_saveexec_b32 s0, s4
	s_cbranch_execz .LBB157_40
; %bb.37:                               ;   in Loop: Header=BB157_11 Depth=1
	s_and_not1_b32 vcc_lo, exec_lo, s24
	s_cbranch_vccnz .LBB157_55
; %bb.38:                               ;   in Loop: Header=BB157_11 Depth=1
	ds_load_2addr_b64 v[34:37], v57 offset1:1
	v_add_co_u32 v29, vcc_lo, v32, v20
	v_add_co_ci_u32_e32 v30, vcc_lo, v33, v21, vcc_lo
	s_waitcnt lgkmcnt(0)
	global_store_b128 v[29:30], v[34:37], off
	s_cbranch_execnz .LBB157_40
.LBB157_39:                             ;   in Loop: Header=BB157_11 Depth=1
	ds_load_2addr_b64 v[34:37], v57 offset1:1
	v_add_co_u32 v29, vcc_lo, v28, v8
	v_add_co_ci_u32_e32 v30, vcc_lo, 0, v31, vcc_lo
	s_waitcnt lgkmcnt(0)
	global_store_b128 v[29:30], v[34:37], off offset:128
.LBB157_40:                             ;   in Loop: Header=BB157_11 Depth=1
	s_or_b32 exec_lo, exec_lo, s0
	s_and_saveexec_b32 s0, s5
	s_cbranch_execz .LBB157_44
; %bb.41:                               ;   in Loop: Header=BB157_11 Depth=1
	s_and_not1_b32 vcc_lo, exec_lo, s24
	s_cbranch_vccnz .LBB157_56
; %bb.42:                               ;   in Loop: Header=BB157_11 Depth=1
	ds_load_2addr_b64 v[34:37], v58 offset1:1
	v_add_co_u32 v29, vcc_lo, v32, v22
	v_add_co_ci_u32_e32 v30, vcc_lo, v33, v23, vcc_lo
	s_waitcnt lgkmcnt(0)
	global_store_b128 v[29:30], v[34:37], off
	s_cbranch_execnz .LBB157_44
.LBB157_43:                             ;   in Loop: Header=BB157_11 Depth=1
	ds_load_2addr_b64 v[34:37], v58 offset1:1
	v_add_co_u32 v29, vcc_lo, v28, v8
	v_add_co_ci_u32_e32 v30, vcc_lo, 0, v31, vcc_lo
	s_waitcnt lgkmcnt(0)
	global_store_b128 v[29:30], v[34:37], off offset:160
.LBB157_44:                             ;   in Loop: Header=BB157_11 Depth=1
	s_or_b32 exec_lo, exec_lo, s0
	s_and_saveexec_b32 s0, s6
	s_cbranch_execz .LBB157_48
; %bb.45:                               ;   in Loop: Header=BB157_11 Depth=1
	s_and_not1_b32 vcc_lo, exec_lo, s24
	s_cbranch_vccnz .LBB157_57
; %bb.46:                               ;   in Loop: Header=BB157_11 Depth=1
	ds_load_2addr_b64 v[34:37], v59 offset1:1
	v_add_co_u32 v29, vcc_lo, v32, v24
	v_add_co_ci_u32_e32 v30, vcc_lo, v33, v25, vcc_lo
	s_waitcnt lgkmcnt(0)
	global_store_b128 v[29:30], v[34:37], off
	s_cbranch_execnz .LBB157_48
.LBB157_47:                             ;   in Loop: Header=BB157_11 Depth=1
	ds_load_2addr_b64 v[34:37], v59 offset1:1
	v_add_co_u32 v29, vcc_lo, v28, v8
	v_add_co_ci_u32_e32 v30, vcc_lo, 0, v31, vcc_lo
	s_waitcnt lgkmcnt(0)
	global_store_b128 v[29:30], v[34:37], off offset:192
.LBB157_48:                             ;   in Loop: Header=BB157_11 Depth=1
	s_or_b32 exec_lo, exec_lo, s0
	v_mov_b32_e32 v29, 1
	v_mov_b32_e32 v30, 0
	s_and_saveexec_b32 s15, s7
	s_cbranch_execz .LBB157_9
; %bb.49:                               ;   in Loop: Header=BB157_11 Depth=1
	s_and_not1_b32 vcc_lo, exec_lo, s24
	s_cbranch_vccnz .LBB157_58
; %bb.50:                               ;   in Loop: Header=BB157_11 Depth=1
	ds_load_2addr_b64 v[34:37], v60 offset1:1
	v_add_co_u32 v29, vcc_lo, v32, v26
	v_add_co_ci_u32_e32 v30, vcc_lo, v33, v27, vcc_lo
	s_mov_b64 s[0:1], 1
	s_waitcnt lgkmcnt(0)
	global_store_b128 v[29:30], v[34:37], off
	s_cbranch_execnz .LBB157_8
	s_branch .LBB157_59
.LBB157_51:                             ;   in Loop: Header=BB157_11 Depth=1
	s_branch .LBB157_23
.LBB157_52:                             ;   in Loop: Header=BB157_11 Depth=1
	s_branch .LBB157_27
.LBB157_53:                             ;   in Loop: Header=BB157_11 Depth=1
	s_branch .LBB157_31
.LBB157_54:                             ;   in Loop: Header=BB157_11 Depth=1
	s_branch .LBB157_35
.LBB157_55:                             ;   in Loop: Header=BB157_11 Depth=1
	s_branch .LBB157_39
.LBB157_56:                             ;   in Loop: Header=BB157_11 Depth=1
	s_branch .LBB157_43
.LBB157_57:                             ;   in Loop: Header=BB157_11 Depth=1
	s_branch .LBB157_47
.LBB157_58:                             ;   in Loop: Header=BB157_11 Depth=1
                                        ; implicit-def: $sgpr0_sgpr1
.LBB157_59:                             ;   in Loop: Header=BB157_11 Depth=1
	ds_load_2addr_b64 v[32:35], v60 offset1:1
	v_add_co_u32 v28, vcc_lo, v28, v8
	v_add_co_ci_u32_e32 v29, vcc_lo, 0, v31, vcc_lo
	s_mov_b64 s[0:1], 1
	s_waitcnt lgkmcnt(0)
	global_store_b128 v[28:29], v[32:35], off offset:224
	s_branch .LBB157_8
.LBB157_60:
	s_endpgm
	.section	.rodata,"a",@progbits
	.p2align	6, 0x0
	.amdhsa_kernel _ZN9rocsparseL42csr2bsr_wavefront_per_row_multipass_kernelILj256ELj32ELj16E21rocsparse_complex_numIdEliEEv20rocsparse_direction_T4_S4_S4_S4_S4_21rocsparse_index_base_PKT2_PKT3_PKS4_S5_PS6_PS9_PS4_
		.amdhsa_group_segment_fixed_size 32776
		.amdhsa_private_segment_fixed_size 0
		.amdhsa_kernarg_size 88
		.amdhsa_user_sgpr_count 15
		.amdhsa_user_sgpr_dispatch_ptr 0
		.amdhsa_user_sgpr_queue_ptr 0
		.amdhsa_user_sgpr_kernarg_segment_ptr 1
		.amdhsa_user_sgpr_dispatch_id 0
		.amdhsa_user_sgpr_private_segment_size 0
		.amdhsa_wavefront_size32 1
		.amdhsa_uses_dynamic_stack 0
		.amdhsa_enable_private_segment 0
		.amdhsa_system_sgpr_workgroup_id_x 1
		.amdhsa_system_sgpr_workgroup_id_y 0
		.amdhsa_system_sgpr_workgroup_id_z 0
		.amdhsa_system_sgpr_workgroup_info 0
		.amdhsa_system_vgpr_workitem_id 0
		.amdhsa_next_free_vgpr 69
		.amdhsa_next_free_sgpr 28
		.amdhsa_reserve_vcc 1
		.amdhsa_float_round_mode_32 0
		.amdhsa_float_round_mode_16_64 0
		.amdhsa_float_denorm_mode_32 3
		.amdhsa_float_denorm_mode_16_64 3
		.amdhsa_dx10_clamp 1
		.amdhsa_ieee_mode 1
		.amdhsa_fp16_overflow 0
		.amdhsa_workgroup_processor_mode 1
		.amdhsa_memory_ordered 1
		.amdhsa_forward_progress 0
		.amdhsa_shared_vgpr_count 0
		.amdhsa_exception_fp_ieee_invalid_op 0
		.amdhsa_exception_fp_denorm_src 0
		.amdhsa_exception_fp_ieee_div_zero 0
		.amdhsa_exception_fp_ieee_overflow 0
		.amdhsa_exception_fp_ieee_underflow 0
		.amdhsa_exception_fp_ieee_inexact 0
		.amdhsa_exception_int_div_zero 0
	.end_amdhsa_kernel
	.section	.text._ZN9rocsparseL42csr2bsr_wavefront_per_row_multipass_kernelILj256ELj32ELj16E21rocsparse_complex_numIdEliEEv20rocsparse_direction_T4_S4_S4_S4_S4_21rocsparse_index_base_PKT2_PKT3_PKS4_S5_PS6_PS9_PS4_,"axG",@progbits,_ZN9rocsparseL42csr2bsr_wavefront_per_row_multipass_kernelILj256ELj32ELj16E21rocsparse_complex_numIdEliEEv20rocsparse_direction_T4_S4_S4_S4_S4_21rocsparse_index_base_PKT2_PKT3_PKS4_S5_PS6_PS9_PS4_,comdat
.Lfunc_end157:
	.size	_ZN9rocsparseL42csr2bsr_wavefront_per_row_multipass_kernelILj256ELj32ELj16E21rocsparse_complex_numIdEliEEv20rocsparse_direction_T4_S4_S4_S4_S4_21rocsparse_index_base_PKT2_PKT3_PKS4_S5_PS6_PS9_PS4_, .Lfunc_end157-_ZN9rocsparseL42csr2bsr_wavefront_per_row_multipass_kernelILj256ELj32ELj16E21rocsparse_complex_numIdEliEEv20rocsparse_direction_T4_S4_S4_S4_S4_21rocsparse_index_base_PKT2_PKT3_PKS4_S5_PS6_PS9_PS4_
                                        ; -- End function
	.section	.AMDGPU.csdata,"",@progbits
; Kernel info:
; codeLenInByte = 2744
; NumSgprs: 30
; NumVgprs: 69
; ScratchSize: 0
; MemoryBound: 0
; FloatMode: 240
; IeeeMode: 1
; LDSByteSize: 32776 bytes/workgroup (compile time only)
; SGPRBlocks: 3
; VGPRBlocks: 8
; NumSGPRsForWavesPerEU: 30
; NumVGPRsForWavesPerEU: 69
; Occupancy: 6
; WaveLimiterHint : 0
; COMPUTE_PGM_RSRC2:SCRATCH_EN: 0
; COMPUTE_PGM_RSRC2:USER_SGPR: 15
; COMPUTE_PGM_RSRC2:TRAP_HANDLER: 0
; COMPUTE_PGM_RSRC2:TGID_X_EN: 1
; COMPUTE_PGM_RSRC2:TGID_Y_EN: 0
; COMPUTE_PGM_RSRC2:TGID_Z_EN: 0
; COMPUTE_PGM_RSRC2:TIDIG_COMP_CNT: 0
	.section	.text._ZN9rocsparseL38csr2bsr_block_per_row_multipass_kernelILj256ELj32E21rocsparse_complex_numIdEliEEv20rocsparse_direction_T3_S4_S4_S4_S4_21rocsparse_index_base_PKT1_PKT2_PKS4_S5_PS6_PS9_PS4_,"axG",@progbits,_ZN9rocsparseL38csr2bsr_block_per_row_multipass_kernelILj256ELj32E21rocsparse_complex_numIdEliEEv20rocsparse_direction_T3_S4_S4_S4_S4_21rocsparse_index_base_PKT1_PKT2_PKS4_S5_PS6_PS9_PS4_,comdat
	.globl	_ZN9rocsparseL38csr2bsr_block_per_row_multipass_kernelILj256ELj32E21rocsparse_complex_numIdEliEEv20rocsparse_direction_T3_S4_S4_S4_S4_21rocsparse_index_base_PKT1_PKT2_PKS4_S5_PS6_PS9_PS4_ ; -- Begin function _ZN9rocsparseL38csr2bsr_block_per_row_multipass_kernelILj256ELj32E21rocsparse_complex_numIdEliEEv20rocsparse_direction_T3_S4_S4_S4_S4_21rocsparse_index_base_PKT1_PKT2_PKS4_S5_PS6_PS9_PS4_
	.p2align	8
	.type	_ZN9rocsparseL38csr2bsr_block_per_row_multipass_kernelILj256ELj32E21rocsparse_complex_numIdEliEEv20rocsparse_direction_T3_S4_S4_S4_S4_21rocsparse_index_base_PKT1_PKT2_PKS4_S5_PS6_PS9_PS4_,@function
_ZN9rocsparseL38csr2bsr_block_per_row_multipass_kernelILj256ELj32E21rocsparse_complex_numIdEliEEv20rocsparse_direction_T3_S4_S4_S4_S4_21rocsparse_index_base_PKT1_PKT2_PKS4_S5_PS6_PS9_PS4_: ; @_ZN9rocsparseL38csr2bsr_block_per_row_multipass_kernelILj256ELj32E21rocsparse_complex_numIdEliEEv20rocsparse_direction_T3_S4_S4_S4_S4_21rocsparse_index_base_PKT1_PKT2_PKS4_S5_PS6_PS9_PS4_
; %bb.0:
	s_clause 0x1
	s_load_b128 s[16:19], s[0:1], 0x10
	s_load_b64 s[8:9], s[0:1], 0x0
	v_lshrrev_b32_e32 v1, 3, v0
	s_load_b64 s[6:7], s[0:1], 0x28
	s_mov_b32 s4, s15
	v_mov_b32_e32 v4, 0
	v_mov_b32_e32 v5, 0
	s_delay_alu instid0(VALU_DEP_1) | instskip(SKIP_3) | instid1(VALU_DEP_2)
	v_dual_mov_b32 v9, v5 :: v_dual_mov_b32 v8, v4
	s_waitcnt lgkmcnt(0)
	v_mad_u64_u32 v[2:3], null, s4, s17, v[1:2]
	v_cmp_gt_i32_e32 vcc_lo, s17, v1
	v_cmp_gt_i32_e64 s2, s9, v2
	s_delay_alu instid0(VALU_DEP_1) | instskip(NEXT) | instid1(SALU_CYCLE_1)
	s_and_b32 s3, vcc_lo, s2
	s_and_saveexec_b32 s5, s3
	s_cbranch_execnz .LBB158_3
; %bb.1:
	s_or_b32 exec_lo, exec_lo, s5
	s_and_saveexec_b32 s5, s3
	s_cbranch_execnz .LBB158_4
.LBB158_2:
	s_or_b32 exec_lo, exec_lo, s5
	s_cmp_lt_i32 s16, 1
	s_cbranch_scc0 .LBB158_5
	s_branch .LBB158_41
.LBB158_3:
	v_ashrrev_i32_e32 v3, 31, v2
	s_delay_alu instid0(VALU_DEP_1) | instskip(NEXT) | instid1(VALU_DEP_1)
	v_lshlrev_b64 v[6:7], 3, v[2:3]
	v_add_co_u32 v6, s2, s6, v6
	s_delay_alu instid0(VALU_DEP_1) | instskip(SKIP_3) | instid1(VALU_DEP_1)
	v_add_co_ci_u32_e64 v7, s2, s7, v7, s2
	global_load_b64 v[6:7], v[6:7], off
	s_waitcnt vmcnt(0)
	v_sub_co_u32 v8, s2, v6, s18
	v_subrev_co_ci_u32_e64 v9, s2, 0, v7, s2
	s_or_b32 exec_lo, exec_lo, s5
	s_and_saveexec_b32 s5, s3
	s_cbranch_execz .LBB158_2
.LBB158_4:
	v_ashrrev_i32_e32 v3, 31, v2
	s_delay_alu instid0(VALU_DEP_1) | instskip(NEXT) | instid1(VALU_DEP_1)
	v_lshlrev_b64 v[2:3], 3, v[2:3]
	v_add_co_u32 v2, s2, s6, v2
	s_delay_alu instid0(VALU_DEP_1) | instskip(SKIP_3) | instid1(VALU_DEP_1)
	v_add_co_ci_u32_e64 v3, s2, s7, v3, s2
	global_load_b64 v[2:3], v[2:3], off offset:8
	s_waitcnt vmcnt(0)
	v_sub_co_u32 v4, s2, v2, s18
	v_subrev_co_ci_u32_e64 v5, s2, 0, v3, s2
	s_or_b32 exec_lo, exec_lo, s5
	s_cmp_lt_i32 s16, 1
	s_cbranch_scc1 .LBB158_41
.LBB158_5:
	s_clause 0x4
	s_load_b128 s[24:27], s[0:1], 0x40
	s_load_b64 s[14:15], s[0:1], 0x50
	s_load_b64 s[28:29], s[0:1], 0x20
	;; [unrolled: 1-line block ×3, first 2 shown]
	s_load_b32 s19, s[0:1], 0x38
	s_ashr_i32 s5, s4, 31
	v_mbcnt_lo_u32_b32 v2, -1, 0
	s_lshl_b64 s[0:1], s[4:5], 3
	v_and_b32_e32 v29, 7, v0
	v_mul_lo_u32 v6, v1, s17
	v_dual_mov_b32 v7, 0 :: v_dual_lshlrev_b32 v30, 5, v1
	v_xor_b32_e32 v10, 4, v2
	v_xor_b32_e32 v11, 2, v2
	;; [unrolled: 1-line block ×3, first 2 shown]
	v_or_b32_e32 v18, 8, v29
	v_or_b32_e32 v19, 16, v29
	v_lshl_or_b32 v32, v2, 2, 28
	s_mov_b32 s20, 0
	v_cmp_gt_u32_e64 s2, 32, v0
	s_waitcnt lgkmcnt(0)
	s_add_u32 s0, s26, s0
	s_addc_u32 s1, s27, s1
	v_cmp_gt_u32_e64 s3, 16, v0
	s_load_b64 s[10:11], s[0:1], 0x0
	v_cmp_gt_u32_e64 s0, 0x80, v0
	v_cmp_gt_u32_e64 s1, 64, v0
	;; [unrolled: 1-line block ×5, first 2 shown]
	v_cmp_eq_u32_e64 s7, 0, v0
	s_mov_b32 s21, s20
	s_mov_b32 s23, s20
	v_lshlrev_b32_e32 v31, 2, v0
	s_mul_hi_u32 s33, s17, s17
	s_mul_i32 s34, s17, s17
	v_mov_b32_e32 v13, v7
	s_waitcnt lgkmcnt(0)
	s_sub_u32 s26, s10, s19
	s_subb_u32 s27, s11, 0
	s_cmp_eq_u32 s8, 0
	v_cmp_gt_i32_e64 s10, 32, v10
	s_cselect_b32 s8, -1, 0
	s_abs_i32 s35, s17
	v_cmp_gt_u32_e64 s11, s17, v19
	v_cvt_f32_u32_e32 v20, s35
	v_cndmask_b32_e64 v10, v2, v10, s10
	v_cmp_gt_i32_e64 s10, 32, v11
	s_sub_i32 s13, 0, s35
	v_mov_b32_e32 v15, v7
	v_rcp_iflag_f32_e32 v20, v20
	v_lshlrev_b32_e32 v34, 2, v10
	v_cndmask_b32_e64 v11, v2, v11, s10
	v_cmp_gt_i32_e64 s10, 32, v12
	v_lshlrev_b32_e32 v3, 4, v1
	v_lshlrev_b64 v[0:1], 4, v[6:7]
	s_lshl_b32 s22, s17, 3
	v_lshlrev_b32_e32 v35, 2, v11
	v_cndmask_b32_e64 v2, v2, v12, s10
	v_cmp_gt_u32_e64 s10, s17, v18
	v_mul_f32_e32 v12, 0x4f7ffffe, v20
	v_mov_b32_e32 v18, 0
	v_mul_lo_u32 v6, v29, s17
	v_dual_mov_b32 v17, v7 :: v_dual_lshlrev_b32 v36, 2, v2
	s_delay_alu instid0(VALU_DEP_4) | instskip(SKIP_3) | instid1(VALU_DEP_4)
	v_cvt_u32_f32_e32 v2, v12
	v_or_b32_e32 v14, v30, v29
	v_dual_mov_b32 v19, 0 :: v_dual_lshlrev_b32 v16, 4, v29
	v_or_b32_e32 v21, 24, v29
	v_mul_lo_u32 v10, s13, v2
	v_add_nc_u32_e32 v12, s22, v6
	v_add_co_u32 v40, s13, s24, v3
	v_lshlrev_b32_e32 v33, 4, v14
	v_add_co_ci_u32_e64 v41, null, s25, 0, s13
	v_add_co_u32 v0, s13, s24, v0
	v_add_nc_u32_e32 v14, s22, v12
	v_mul_hi_u32 v3, v2, v10
	v_add_co_ci_u32_e64 v1, s13, s25, v1, s13
	s_delay_alu instid0(VALU_DEP_4) | instskip(NEXT) | instid1(VALU_DEP_4)
	v_add_co_u32 v42, s13, v0, v16
	v_add_nc_u32_e32 v16, s22, v14
	v_cmp_gt_u32_e64 s9, s17, v29
	v_cmp_gt_u32_e64 s12, s17, v21
	v_add_co_ci_u32_e64 v43, s13, 0, v1, s13
	v_add_nc_u32_e32 v44, v2, v3
	s_mov_b32 s22, s20
	v_dual_mov_b32 v0, s20 :: v_dual_mov_b32 v3, s23
	v_mov_b32_e32 v1, s21
	v_lshlrev_b64 v[10:11], 4, v[6:7]
	v_lshlrev_b64 v[12:13], 4, v[12:13]
	;; [unrolled: 1-line block ×4, first 2 shown]
	v_mov_b32_e32 v2, s22
	v_or_b32_e32 v37, 0x80, v33
	v_or_b32_e32 v38, 0x100, v33
	;; [unrolled: 1-line block ×3, first 2 shown]
	v_mov_b32_e32 v6, 1
	s_and_b32 s13, vcc_lo, s9
	s_and_b32 s24, vcc_lo, s10
	;; [unrolled: 1-line block ×4, first 2 shown]
	s_ashr_i32 s21, s17, 31
	s_branch .LBB158_7
.LBB158_6:                              ;   in Loop: Header=BB158_7 Depth=1
	s_or_b32 exec_lo, exec_lo, s9
	s_waitcnt lgkmcnt(0)
	s_barrier
	buffer_gl0_inv
	ds_load_b32 v18, v7
	s_add_u32 s26, s10, s26
	s_addc_u32 s27, s11, s27
	s_waitcnt lgkmcnt(0)
	s_barrier
	buffer_gl0_inv
	v_cmp_gt_i32_e32 vcc_lo, s16, v18
	v_ashrrev_i32_e32 v19, 31, v18
	s_cbranch_vccz .LBB158_41
.LBB158_7:                              ; =>This Loop Header: Depth=1
                                        ;     Child Loop BB158_10 Depth 2
	v_add_co_u32 v8, vcc_lo, v8, v29
	v_mov_b32_e32 v25, v5
	v_add_co_ci_u32_e32 v9, vcc_lo, 0, v9, vcc_lo
	v_dual_mov_b32 v45, s16 :: v_dual_mov_b32 v24, v4
	s_mov_b32 s10, exec_lo
	ds_store_b8 v7, v7 offset:16384
	ds_store_b128 v33, v[0:3]
	ds_store_b128 v33, v[0:3] offset:128
	ds_store_b128 v33, v[0:3] offset:256
	;; [unrolled: 1-line block ×3, first 2 shown]
	s_waitcnt lgkmcnt(0)
	s_barrier
	buffer_gl0_inv
	v_cmpx_lt_i64_e64 v[8:9], v[4:5]
	s_cbranch_execz .LBB158_15
; %bb.8:                                ;   in Loop: Header=BB158_7 Depth=1
	v_lshlrev_b64 v[20:21], 4, v[8:9]
	v_lshlrev_b64 v[22:23], 2, v[8:9]
	v_mov_b32_e32 v25, v5
	v_dual_mov_b32 v45, s16 :: v_dual_mov_b32 v24, v4
	s_mov_b32 s11, 0
	s_delay_alu instid0(VALU_DEP_4)
	v_add_co_u32 v20, vcc_lo, s28, v20
	v_add_co_ci_u32_e32 v21, vcc_lo, s29, v21, vcc_lo
	v_add_co_u32 v22, vcc_lo, s30, v22
	v_add_co_ci_u32_e32 v23, vcc_lo, s31, v23, vcc_lo
	s_branch .LBB158_10
.LBB158_9:                              ;   in Loop: Header=BB158_10 Depth=2
	s_or_b32 exec_lo, exec_lo, s9
	v_add_co_u32 v8, s9, v8, 8
	s_delay_alu instid0(VALU_DEP_1) | instskip(SKIP_2) | instid1(VALU_DEP_2)
	v_add_co_ci_u32_e64 v9, s9, 0, v9, s9
	s_xor_b32 s22, vcc_lo, -1
	v_add_co_u32 v20, vcc_lo, 0x80, v20
	v_cmp_ge_i64_e64 s9, v[8:9], v[4:5]
	v_add_co_ci_u32_e32 v21, vcc_lo, 0, v21, vcc_lo
	v_add_co_u32 v22, vcc_lo, v22, 32
	v_add_co_ci_u32_e32 v23, vcc_lo, 0, v23, vcc_lo
	s_delay_alu instid0(VALU_DEP_4) | instskip(NEXT) | instid1(SALU_CYCLE_1)
	s_or_b32 s9, s22, s9
	s_and_b32 s9, exec_lo, s9
	s_delay_alu instid0(SALU_CYCLE_1) | instskip(NEXT) | instid1(SALU_CYCLE_1)
	s_or_b32 s11, s9, s11
	s_and_not1_b32 exec_lo, exec_lo, s11
	s_cbranch_execz .LBB158_14
.LBB158_10:                             ;   Parent Loop BB158_7 Depth=1
                                        ; =>  This Inner Loop Header: Depth=2
	global_load_b32 v26, v[22:23], off
	s_waitcnt vmcnt(0)
	v_subrev_nc_u32_e32 v46, s18, v26
	s_delay_alu instid0(VALU_DEP_1) | instskip(NEXT) | instid1(VALU_DEP_1)
	v_sub_nc_u32_e32 v26, 0, v46
	v_max_i32_e32 v26, v46, v26
	s_delay_alu instid0(VALU_DEP_1) | instskip(NEXT) | instid1(VALU_DEP_1)
	v_mul_hi_u32 v27, v26, v44
	v_mul_lo_u32 v28, v27, s35
	s_delay_alu instid0(VALU_DEP_1) | instskip(SKIP_1) | instid1(VALU_DEP_2)
	v_sub_nc_u32_e32 v26, v26, v28
	v_add_nc_u32_e32 v28, 1, v27
	v_subrev_nc_u32_e32 v47, s35, v26
	v_cmp_le_u32_e32 vcc_lo, s35, v26
	s_delay_alu instid0(VALU_DEP_2) | instskip(SKIP_1) | instid1(VALU_DEP_2)
	v_dual_cndmask_b32 v27, v27, v28 :: v_dual_cndmask_b32 v26, v26, v47
	v_ashrrev_i32_e32 v28, 31, v46
	v_add_nc_u32_e32 v47, 1, v27
	s_delay_alu instid0(VALU_DEP_3) | instskip(NEXT) | instid1(VALU_DEP_3)
	v_cmp_le_u32_e32 vcc_lo, s35, v26
	v_xor_b32_e32 v28, s21, v28
	s_delay_alu instid0(VALU_DEP_3) | instskip(NEXT) | instid1(VALU_DEP_1)
	v_cndmask_b32_e32 v26, v27, v47, vcc_lo
	v_xor_b32_e32 v26, v26, v28
	s_delay_alu instid0(VALU_DEP_1) | instskip(NEXT) | instid1(VALU_DEP_1)
	v_sub_nc_u32_e32 v26, v26, v28
	v_ashrrev_i32_e32 v27, 31, v26
	s_delay_alu instid0(VALU_DEP_1) | instskip(SKIP_2) | instid1(VALU_DEP_2)
	v_cmp_eq_u64_e32 vcc_lo, v[18:19], v[26:27]
	v_cmp_ne_u64_e64 s9, v[18:19], v[26:27]
	v_dual_mov_b32 v28, v25 :: v_dual_mov_b32 v27, v24
	s_and_saveexec_b32 s22, s9
	s_delay_alu instid0(SALU_CYCLE_1)
	s_xor_b32 s9, exec_lo, s22
; %bb.11:                               ;   in Loop: Header=BB158_10 Depth=2
	v_min_i32_e32 v45, v26, v45
                                        ; implicit-def: $vgpr26
                                        ; implicit-def: $vgpr46
                                        ; implicit-def: $vgpr27_vgpr28
; %bb.12:                               ;   in Loop: Header=BB158_10 Depth=2
	s_or_saveexec_b32 s9, s9
	v_dual_mov_b32 v25, v9 :: v_dual_mov_b32 v24, v8
	s_xor_b32 exec_lo, exec_lo, s9
	s_cbranch_execz .LBB158_9
; %bb.13:                               ;   in Loop: Header=BB158_10 Depth=2
	global_load_b128 v[47:50], v[20:21], off
	v_mul_lo_u32 v24, v26, s17
	s_delay_alu instid0(VALU_DEP_1) | instskip(NEXT) | instid1(VALU_DEP_1)
	v_sub_nc_u32_e32 v24, v46, v24
	v_add_lshl_u32 v26, v24, v30, 4
	v_dual_mov_b32 v24, v27 :: v_dual_mov_b32 v25, v28
	ds_store_b8 v7, v6 offset:16384
	s_waitcnt vmcnt(0)
	ds_store_2addr_b64 v26, v[47:48], v[49:50] offset1:1
	s_branch .LBB158_9
.LBB158_14:                             ;   in Loop: Header=BB158_7 Depth=1
	s_or_b32 exec_lo, exec_lo, s11
.LBB158_15:                             ;   in Loop: Header=BB158_7 Depth=1
	s_delay_alu instid0(SALU_CYCLE_1)
	s_or_b32 exec_lo, exec_lo, s10
	ds_bpermute_b32 v8, v34, v24
	ds_bpermute_b32 v9, v34, v25
	s_waitcnt lgkmcnt(0)
	s_barrier
	buffer_gl0_inv
	ds_load_u8 v21, v7 offset:16384
	s_mov_b64 s[10:11], 0
	v_cmp_lt_i64_e32 vcc_lo, v[8:9], v[24:25]
	v_dual_cndmask_b32 v9, v25, v9 :: v_dual_cndmask_b32 v8, v24, v8
	ds_bpermute_b32 v20, v35, v9
	ds_bpermute_b32 v19, v35, v8
	s_waitcnt lgkmcnt(0)
	v_cmp_lt_i64_e32 vcc_lo, v[19:20], v[8:9]
	v_dual_cndmask_b32 v9, v9, v20 :: v_dual_cndmask_b32 v8, v8, v19
	ds_bpermute_b32 v20, v36, v9
	ds_bpermute_b32 v19, v36, v8
	s_waitcnt lgkmcnt(0)
	v_cmp_lt_i64_e32 vcc_lo, v[19:20], v[8:9]
	v_dual_cndmask_b32 v9, v9, v20 :: v_dual_cndmask_b32 v8, v8, v19
	v_cmp_eq_u32_e32 vcc_lo, 0, v21
	ds_bpermute_b32 v9, v32, v9
	ds_bpermute_b32 v8, v32, v8
	s_cbranch_vccnz .LBB158_22
; %bb.16:                               ;   in Loop: Header=BB158_7 Depth=1
	s_lshl_b64 s[10:11], s[26:27], 2
	s_mul_i32 s9, s34, s27
	s_mul_hi_u32 s22, s34, s26
	s_add_u32 s10, s14, s10
	s_addc_u32 s11, s15, s11
	s_add_i32 s9, s22, s9
	s_mul_i32 s22, s33, s26
	v_add_nc_u32_e32 v22, s19, v18
	s_add_i32 s23, s9, s22
	s_mul_i32 s22, s34, s26
	s_delay_alu instid0(SALU_CYCLE_1)
	s_lshl_b64 s[22:23], s[22:23], 4
	global_store_b32 v7, v22, s[10:11]
	v_add_co_u32 v18, vcc_lo, v40, s22
	v_add_co_ci_u32_e32 v19, vcc_lo, s23, v41, vcc_lo
	v_add_co_u32 v20, vcc_lo, v42, s22
	v_add_co_ci_u32_e32 v21, vcc_lo, s23, v43, vcc_lo
	s_and_saveexec_b32 s9, s13
	s_cbranch_execnz .LBB158_38
; %bb.17:                               ;   in Loop: Header=BB158_7 Depth=1
	s_or_b32 exec_lo, exec_lo, s9
	s_and_saveexec_b32 s9, s24
	s_cbranch_execnz .LBB158_39
.LBB158_18:                             ;   in Loop: Header=BB158_7 Depth=1
	s_or_b32 exec_lo, exec_lo, s9
	s_and_saveexec_b32 s9, s20
	s_cbranch_execnz .LBB158_40
.LBB158_19:                             ;   in Loop: Header=BB158_7 Depth=1
	s_or_b32 exec_lo, exec_lo, s9
	s_and_saveexec_b32 s9, s12
	s_cbranch_execz .LBB158_21
.LBB158_20:                             ;   in Loop: Header=BB158_7 Depth=1
	ds_load_2addr_b64 v[22:25], v39 offset1:1
	v_add_co_u32 v20, vcc_lo, 0x180, v20
	v_add_co_ci_u32_e32 v21, vcc_lo, 0, v21, vcc_lo
	v_add_co_u32 v18, vcc_lo, v18, v16
	v_add_co_ci_u32_e32 v19, vcc_lo, v19, v17, vcc_lo
	s_delay_alu instid0(VALU_DEP_2) | instskip(NEXT) | instid1(VALU_DEP_2)
	v_cndmask_b32_e64 v18, v18, v20, s8
	v_cndmask_b32_e64 v19, v19, v21, s8
	s_waitcnt lgkmcnt(0)
	global_store_b128 v[18:19], v[22:25], off
.LBB158_21:                             ;   in Loop: Header=BB158_7 Depth=1
	s_or_b32 exec_lo, exec_lo, s9
	s_mov_b64 s[10:11], 1
.LBB158_22:                             ;   in Loop: Header=BB158_7 Depth=1
	s_waitcnt lgkmcnt(0)
	s_waitcnt_vscnt null, 0x0
	s_barrier
	buffer_gl0_inv
	ds_store_b32 v31, v45
	s_waitcnt lgkmcnt(0)
	s_barrier
	buffer_gl0_inv
	s_and_saveexec_b32 s9, s0
	s_cbranch_execz .LBB158_24
; %bb.23:                               ;   in Loop: Header=BB158_7 Depth=1
	ds_load_2addr_stride64_b32 v[18:19], v31 offset1:2
	s_waitcnt lgkmcnt(0)
	v_min_i32_e32 v18, v19, v18
	ds_store_b32 v31, v18
.LBB158_24:                             ;   in Loop: Header=BB158_7 Depth=1
	s_or_b32 exec_lo, exec_lo, s9
	s_waitcnt lgkmcnt(0)
	s_barrier
	buffer_gl0_inv
	s_and_saveexec_b32 s9, s1
	s_cbranch_execz .LBB158_26
; %bb.25:                               ;   in Loop: Header=BB158_7 Depth=1
	ds_load_2addr_stride64_b32 v[18:19], v31 offset1:1
	s_waitcnt lgkmcnt(0)
	v_min_i32_e32 v18, v19, v18
	ds_store_b32 v31, v18
.LBB158_26:                             ;   in Loop: Header=BB158_7 Depth=1
	s_or_b32 exec_lo, exec_lo, s9
	s_waitcnt lgkmcnt(0)
	s_barrier
	buffer_gl0_inv
	s_and_saveexec_b32 s9, s2
	s_cbranch_execz .LBB158_28
; %bb.27:                               ;   in Loop: Header=BB158_7 Depth=1
	ds_load_2addr_b32 v[18:19], v31 offset1:32
	s_waitcnt lgkmcnt(0)
	v_min_i32_e32 v18, v19, v18
	ds_store_b32 v31, v18
.LBB158_28:                             ;   in Loop: Header=BB158_7 Depth=1
	s_or_b32 exec_lo, exec_lo, s9
	s_waitcnt lgkmcnt(0)
	s_barrier
	buffer_gl0_inv
	s_and_saveexec_b32 s9, s3
	s_cbranch_execz .LBB158_30
; %bb.29:                               ;   in Loop: Header=BB158_7 Depth=1
	ds_load_2addr_b32 v[18:19], v31 offset1:16
	s_waitcnt lgkmcnt(0)
	v_min_i32_e32 v18, v19, v18
	ds_store_b32 v31, v18
.LBB158_30:                             ;   in Loop: Header=BB158_7 Depth=1
	;; [unrolled: 12-line block ×5, first 2 shown]
	s_or_b32 exec_lo, exec_lo, s9
	s_waitcnt lgkmcnt(0)
	s_barrier
	buffer_gl0_inv
	s_and_saveexec_b32 s9, s7
	s_cbranch_execz .LBB158_6
; %bb.37:                               ;   in Loop: Header=BB158_7 Depth=1
	ds_load_b64 v[18:19], v7
	s_waitcnt lgkmcnt(0)
	v_min_i32_e32 v18, v19, v18
	ds_store_b32 v7, v18
	s_branch .LBB158_6
.LBB158_38:                             ;   in Loop: Header=BB158_7 Depth=1
	ds_load_2addr_b64 v[22:25], v33 offset1:1
	v_add_co_u32 v26, vcc_lo, v18, v10
	v_add_co_ci_u32_e32 v27, vcc_lo, v19, v11, vcc_lo
	s_delay_alu instid0(VALU_DEP_2) | instskip(NEXT) | instid1(VALU_DEP_2)
	v_cndmask_b32_e64 v26, v26, v20, s8
	v_cndmask_b32_e64 v27, v27, v21, s8
	s_waitcnt lgkmcnt(0)
	global_store_b128 v[26:27], v[22:25], off
	s_or_b32 exec_lo, exec_lo, s9
	s_and_saveexec_b32 s9, s24
	s_cbranch_execz .LBB158_18
.LBB158_39:                             ;   in Loop: Header=BB158_7 Depth=1
	ds_load_2addr_b64 v[22:25], v37 offset1:1
	v_add_co_u32 v26, vcc_lo, 0x80, v20
	v_add_co_ci_u32_e32 v27, vcc_lo, 0, v21, vcc_lo
	v_add_co_u32 v28, vcc_lo, v18, v12
	v_add_co_ci_u32_e32 v46, vcc_lo, v19, v13, vcc_lo
	s_delay_alu instid0(VALU_DEP_2) | instskip(NEXT) | instid1(VALU_DEP_2)
	v_cndmask_b32_e64 v26, v28, v26, s8
	v_cndmask_b32_e64 v27, v46, v27, s8
	s_waitcnt lgkmcnt(0)
	global_store_b128 v[26:27], v[22:25], off
	s_or_b32 exec_lo, exec_lo, s9
	s_and_saveexec_b32 s9, s20
	s_cbranch_execz .LBB158_19
.LBB158_40:                             ;   in Loop: Header=BB158_7 Depth=1
	ds_load_2addr_b64 v[22:25], v38 offset1:1
	v_add_co_u32 v26, vcc_lo, 0x100, v20
	v_add_co_ci_u32_e32 v27, vcc_lo, 0, v21, vcc_lo
	v_add_co_u32 v28, vcc_lo, v18, v14
	v_add_co_ci_u32_e32 v46, vcc_lo, v19, v15, vcc_lo
	s_delay_alu instid0(VALU_DEP_2) | instskip(NEXT) | instid1(VALU_DEP_2)
	v_cndmask_b32_e64 v26, v28, v26, s8
	v_cndmask_b32_e64 v27, v46, v27, s8
	s_waitcnt lgkmcnt(0)
	global_store_b128 v[26:27], v[22:25], off
	s_or_b32 exec_lo, exec_lo, s9
	s_and_saveexec_b32 s9, s12
	s_cbranch_execnz .LBB158_20
	s_branch .LBB158_21
.LBB158_41:
	s_endpgm
	.section	.rodata,"a",@progbits
	.p2align	6, 0x0
	.amdhsa_kernel _ZN9rocsparseL38csr2bsr_block_per_row_multipass_kernelILj256ELj32E21rocsparse_complex_numIdEliEEv20rocsparse_direction_T3_S4_S4_S4_S4_21rocsparse_index_base_PKT1_PKT2_PKS4_S5_PS6_PS9_PS4_
		.amdhsa_group_segment_fixed_size 16392
		.amdhsa_private_segment_fixed_size 0
		.amdhsa_kernarg_size 88
		.amdhsa_user_sgpr_count 15
		.amdhsa_user_sgpr_dispatch_ptr 0
		.amdhsa_user_sgpr_queue_ptr 0
		.amdhsa_user_sgpr_kernarg_segment_ptr 1
		.amdhsa_user_sgpr_dispatch_id 0
		.amdhsa_user_sgpr_private_segment_size 0
		.amdhsa_wavefront_size32 1
		.amdhsa_uses_dynamic_stack 0
		.amdhsa_enable_private_segment 0
		.amdhsa_system_sgpr_workgroup_id_x 1
		.amdhsa_system_sgpr_workgroup_id_y 0
		.amdhsa_system_sgpr_workgroup_id_z 0
		.amdhsa_system_sgpr_workgroup_info 0
		.amdhsa_system_vgpr_workitem_id 0
		.amdhsa_next_free_vgpr 51
		.amdhsa_next_free_sgpr 36
		.amdhsa_reserve_vcc 1
		.amdhsa_float_round_mode_32 0
		.amdhsa_float_round_mode_16_64 0
		.amdhsa_float_denorm_mode_32 3
		.amdhsa_float_denorm_mode_16_64 3
		.amdhsa_dx10_clamp 1
		.amdhsa_ieee_mode 1
		.amdhsa_fp16_overflow 0
		.amdhsa_workgroup_processor_mode 1
		.amdhsa_memory_ordered 1
		.amdhsa_forward_progress 0
		.amdhsa_shared_vgpr_count 0
		.amdhsa_exception_fp_ieee_invalid_op 0
		.amdhsa_exception_fp_denorm_src 0
		.amdhsa_exception_fp_ieee_div_zero 0
		.amdhsa_exception_fp_ieee_overflow 0
		.amdhsa_exception_fp_ieee_underflow 0
		.amdhsa_exception_fp_ieee_inexact 0
		.amdhsa_exception_int_div_zero 0
	.end_amdhsa_kernel
	.section	.text._ZN9rocsparseL38csr2bsr_block_per_row_multipass_kernelILj256ELj32E21rocsparse_complex_numIdEliEEv20rocsparse_direction_T3_S4_S4_S4_S4_21rocsparse_index_base_PKT1_PKT2_PKS4_S5_PS6_PS9_PS4_,"axG",@progbits,_ZN9rocsparseL38csr2bsr_block_per_row_multipass_kernelILj256ELj32E21rocsparse_complex_numIdEliEEv20rocsparse_direction_T3_S4_S4_S4_S4_21rocsparse_index_base_PKT1_PKT2_PKS4_S5_PS6_PS9_PS4_,comdat
.Lfunc_end158:
	.size	_ZN9rocsparseL38csr2bsr_block_per_row_multipass_kernelILj256ELj32E21rocsparse_complex_numIdEliEEv20rocsparse_direction_T3_S4_S4_S4_S4_21rocsparse_index_base_PKT1_PKT2_PKS4_S5_PS6_PS9_PS4_, .Lfunc_end158-_ZN9rocsparseL38csr2bsr_block_per_row_multipass_kernelILj256ELj32E21rocsparse_complex_numIdEliEEv20rocsparse_direction_T3_S4_S4_S4_S4_21rocsparse_index_base_PKT1_PKT2_PKS4_S5_PS6_PS9_PS4_
                                        ; -- End function
	.section	.AMDGPU.csdata,"",@progbits
; Kernel info:
; codeLenInByte = 2484
; NumSgprs: 38
; NumVgprs: 51
; ScratchSize: 0
; MemoryBound: 0
; FloatMode: 240
; IeeeMode: 1
; LDSByteSize: 16392 bytes/workgroup (compile time only)
; SGPRBlocks: 4
; VGPRBlocks: 6
; NumSGPRsForWavesPerEU: 38
; NumVGPRsForWavesPerEU: 51
; Occupancy: 14
; WaveLimiterHint : 0
; COMPUTE_PGM_RSRC2:SCRATCH_EN: 0
; COMPUTE_PGM_RSRC2:USER_SGPR: 15
; COMPUTE_PGM_RSRC2:TRAP_HANDLER: 0
; COMPUTE_PGM_RSRC2:TGID_X_EN: 1
; COMPUTE_PGM_RSRC2:TGID_Y_EN: 0
; COMPUTE_PGM_RSRC2:TGID_Z_EN: 0
; COMPUTE_PGM_RSRC2:TIDIG_COMP_CNT: 0
	.section	.text._ZN9rocsparseL21csr2bsr_65_inf_kernelILj32E21rocsparse_complex_numIdEliEEv20rocsparse_direction_T2_S4_S4_S4_S4_S4_21rocsparse_index_base_PKT0_PKT1_PKS4_S5_PS6_PS9_PS4_SF_SG_SE_,"axG",@progbits,_ZN9rocsparseL21csr2bsr_65_inf_kernelILj32E21rocsparse_complex_numIdEliEEv20rocsparse_direction_T2_S4_S4_S4_S4_S4_21rocsparse_index_base_PKT0_PKT1_PKS4_S5_PS6_PS9_PS4_SF_SG_SE_,comdat
	.globl	_ZN9rocsparseL21csr2bsr_65_inf_kernelILj32E21rocsparse_complex_numIdEliEEv20rocsparse_direction_T2_S4_S4_S4_S4_S4_21rocsparse_index_base_PKT0_PKT1_PKS4_S5_PS6_PS9_PS4_SF_SG_SE_ ; -- Begin function _ZN9rocsparseL21csr2bsr_65_inf_kernelILj32E21rocsparse_complex_numIdEliEEv20rocsparse_direction_T2_S4_S4_S4_S4_S4_21rocsparse_index_base_PKT0_PKT1_PKS4_S5_PS6_PS9_PS4_SF_SG_SE_
	.p2align	8
	.type	_ZN9rocsparseL21csr2bsr_65_inf_kernelILj32E21rocsparse_complex_numIdEliEEv20rocsparse_direction_T2_S4_S4_S4_S4_S4_21rocsparse_index_base_PKT0_PKT1_PKS4_S5_PS6_PS9_PS4_SF_SG_SE_,@function
_ZN9rocsparseL21csr2bsr_65_inf_kernelILj32E21rocsparse_complex_numIdEliEEv20rocsparse_direction_T2_S4_S4_S4_S4_S4_21rocsparse_index_base_PKT0_PKT1_PKS4_S5_PS6_PS9_PS4_SF_SG_SE_: ; @_ZN9rocsparseL21csr2bsr_65_inf_kernelILj32E21rocsparse_complex_numIdEliEEv20rocsparse_direction_T2_S4_S4_S4_S4_S4_21rocsparse_index_base_PKT0_PKT1_PKS4_S5_PS6_PS9_PS4_SF_SG_SE_
; %bb.0:
	s_clause 0x2
	s_load_b128 s[4:7], s[0:1], 0x0
	s_load_b64 s[2:3], s[0:1], 0x58
	s_load_b32 s26, s[0:1], 0x38
	s_mov_b32 s22, s15
	s_mov_b32 s25, 0
	s_waitcnt lgkmcnt(0)
	s_cmp_ge_i32 s15, s7
	s_mov_b32 s7, 0
	s_cbranch_scc1 .LBB159_2
; %bb.1:
	s_load_b64 s[8:9], s[0:1], 0x48
	s_ashr_i32 s23, s22, 31
	s_delay_alu instid0(SALU_CYCLE_1)
	s_lshl_b64 s[10:11], s[22:23], 3
	s_waitcnt lgkmcnt(0)
	s_add_u32 s8, s8, s10
	s_addc_u32 s9, s9, s11
	s_load_b32 s7, s[8:9], 0x0
	s_waitcnt lgkmcnt(0)
	s_sub_i32 s7, s7, s26
.LBB159_2:
	s_load_b128 s[8:11], s[0:1], 0x14
	s_waitcnt lgkmcnt(0)
	v_mul_lo_u32 v7, v0, s9
	s_mul_i32 s11, s22, s9
	s_delay_alu instid0(SALU_CYCLE_1) | instskip(NEXT) | instid1(SALU_CYCLE_1)
	s_lshl_b32 s24, s11, 6
	s_lshl_b64 s[12:13], s[24:25], 3
	s_delay_alu instid0(SALU_CYCLE_1) | instskip(NEXT) | instid1(VALU_DEP_1)
	s_add_u32 s27, s2, s12
	v_ashrrev_i32_e32 v8, 31, v7
	s_addc_u32 s28, s3, s13
	s_lshl_b32 s24, s9, 5
	s_cmp_gt_i32 s9, 0
	s_cselect_b32 s11, -1, 0
	v_lshlrev_b64 v[2:3], 3, v[7:8]
	s_cmp_lt_i32 s9, 1
	s_delay_alu instid0(VALU_DEP_1) | instskip(NEXT) | instid1(VALU_DEP_2)
	v_add_co_u32 v5, vcc_lo, s27, v2
	v_add_co_ci_u32_e32 v6, vcc_lo, s28, v3, vcc_lo
	s_cbranch_scc1 .LBB159_7
; %bb.3:
	s_load_b64 s[12:13], s[0:1], 0x28
	s_mov_b32 s2, 0
	s_delay_alu instid0(VALU_DEP_1) | instskip(SKIP_1) | instid1(SALU_CYCLE_1)
	v_dual_mov_b32 v1, v0 :: v_dual_mov_b32 v12, v6
	s_mov_b32 s3, s2
	v_dual_mov_b32 v11, v5 :: v_dual_mov_b32 v10, s3
	v_mov_b32_e32 v9, s2
	s_mul_i32 s16, s22, s8
	s_lshl_b64 s[14:15], s[24:25], 3
	s_mov_b32 s17, s9
	s_set_inst_prefetch_distance 0x1
	s_branch .LBB159_5
	.p2align	6
.LBB159_4:                              ;   in Loop: Header=BB159_5 Depth=1
	s_or_b32 exec_lo, exec_lo, s2
	v_add_co_u32 v11, vcc_lo, v11, 8
	v_add_co_ci_u32_e32 v12, vcc_lo, 0, v12, vcc_lo
	v_add_nc_u32_e32 v1, 32, v1
	s_add_i32 s17, s17, -1
	s_delay_alu instid0(SALU_CYCLE_1)
	s_cmp_eq_u32 s17, 0
	s_cbranch_scc1 .LBB159_7
.LBB159_5:                              ; =>This Inner Loop Header: Depth=1
	s_delay_alu instid0(VALU_DEP_1) | instskip(SKIP_2) | instid1(VALU_DEP_1)
	v_add_nc_u32_e32 v15, s16, v1
	v_cmp_gt_u32_e32 vcc_lo, s8, v1
	v_add_co_u32 v13, s3, v11, s14
	v_add_co_ci_u32_e64 v14, s3, s15, v12, s3
	s_delay_alu instid0(VALU_DEP_4) | instskip(SKIP_4) | instid1(SALU_CYCLE_1)
	v_cmp_gt_i32_e64 s2, s5, v15
	s_clause 0x1
	global_store_b64 v[11:12], v[9:10], off
	global_store_b64 v[13:14], v[9:10], off
	s_and_b32 s3, vcc_lo, s2
	s_and_saveexec_b32 s2, s3
	s_cbranch_execz .LBB159_4
; %bb.6:                                ;   in Loop: Header=BB159_5 Depth=1
	v_ashrrev_i32_e32 v16, 31, v15
	s_delay_alu instid0(VALU_DEP_1) | instskip(SKIP_1) | instid1(VALU_DEP_1)
	v_lshlrev_b64 v[15:16], 3, v[15:16]
	s_waitcnt lgkmcnt(0)
	v_add_co_u32 v15, vcc_lo, s12, v15
	s_delay_alu instid0(VALU_DEP_2)
	v_add_co_ci_u32_e32 v16, vcc_lo, s13, v16, vcc_lo
	global_load_b128 v[15:18], v[15:16], off
	s_waitcnt vmcnt(0)
	v_sub_co_u32 v15, vcc_lo, v15, s10
	v_subrev_co_ci_u32_e32 v16, vcc_lo, 0, v16, vcc_lo
	v_sub_co_u32 v17, vcc_lo, v17, s10
	v_subrev_co_ci_u32_e32 v18, vcc_lo, 0, v18, vcc_lo
	s_clause 0x1
	global_store_b64 v[11:12], v[15:16], off
	global_store_b64 v[13:14], v[17:18], off
	s_branch .LBB159_4
.LBB159_7:
	s_set_inst_prefetch_distance 0x2
	s_cmp_lt_i32 s6, 1
	s_cbranch_scc1 .LBB159_37
; %bb.8:
	s_waitcnt lgkmcnt(0)
	s_clause 0x4
	s_load_b128 s[12:15], s[0:1], 0x60
	s_load_b64 s[2:3], s[0:1], 0x20
	s_load_b64 s[16:17], s[0:1], 0x50
	;; [unrolled: 1-line block ×4, first 2 shown]
	s_lshl_b64 s[0:1], s[24:25], 3
	s_mul_i32 s22, s24, s22
	s_mov_b32 s23, 0
	s_add_u32 s27, s27, s0
	s_addc_u32 s1, s28, s1
	s_lshl_b64 s[24:25], s[22:23], 2
	v_mbcnt_lo_u32_b32 v4, -1, 0
	v_add_co_u32 v29, vcc_lo, s27, v2
	v_add_co_ci_u32_e32 v30, vcc_lo, s1, v3, vcc_lo
	s_delay_alu instid0(VALU_DEP_3)
	v_xor_b32_e32 v2, 16, v4
	v_lshlrev_b64 v[9:10], 2, v[7:8]
	v_lshlrev_b64 v[11:12], 4, v[7:8]
	v_xor_b32_e32 v3, 8, v4
	s_waitcnt lgkmcnt(0)
	s_add_u32 s24, s12, s24
	s_addc_u32 s25, s13, s25
	s_lshl_b64 s[12:13], s[22:23], 4
	v_cmp_gt_i32_e32 vcc_lo, 32, v2
	s_add_u32 s14, s14, s12
	s_addc_u32 s15, s15, s13
	s_cmp_lg_u32 s4, 0
	v_dual_mov_b32 v1, 0 :: v_dual_cndmask_b32 v2, v4, v2
	s_cselect_b32 s5, -1, 0
	s_abs_i32 s12, s8
	v_xor_b32_e32 v13, 4, v4
	v_cvt_f32_u32_e32 v7, s12
	v_cmp_gt_i32_e32 vcc_lo, 32, v3
	v_xor_b32_e32 v14, 2, v4
	v_xor_b32_e32 v15, 1, v4
	s_sub_i32 s1, 0, s12
	v_rcp_iflag_f32_e32 v7, v7
	v_cndmask_b32_e32 v3, v4, v3, vcc_lo
	v_cmp_gt_i32_e32 vcc_lo, 32, v13
	v_mul_lo_u32 v28, v0, s8
	v_cmp_eq_u32_e64 s0, 31, v0
	v_dual_mov_b32 v27, 0x7c :: v_dual_mov_b32 v8, 0
	v_cndmask_b32_e32 v13, v4, v13, vcc_lo
	v_cmp_gt_i32_e32 vcc_lo, 32, v14
	v_mov_b32_e32 v37, 0
	s_delay_alu instid0(TRANS32_DEP_1)
	v_mul_f32_e32 v7, 0x4f7ffffe, v7
	s_mul_hi_i32 s4, s8, s8
	v_lshlrev_b32_e32 v31, 2, v2
	v_cndmask_b32_e32 v14, v4, v14, vcc_lo
	v_cmp_gt_i32_e32 vcc_lo, 32, v15
	v_cvt_u32_f32_e32 v7, v7
	v_mov_b32_e32 v38, 0
	s_mul_i32 s13, s8, s8
	v_lshlrev_b32_e32 v34, 2, v14
	v_cndmask_b32_e32 v4, v4, v15, vcc_lo
	v_mul_lo_u32 v16, s1, v7
	v_add_co_u32 v9, vcc_lo, s24, v9
	v_add_co_ci_u32_e32 v10, vcc_lo, s25, v10, vcc_lo
	v_add_co_u32 v11, vcc_lo, s14, v11
	v_lshlrev_b32_e32 v32, 2, v3
	v_mul_hi_u32 v2, v7, v16
	v_lshlrev_b32_e32 v33, 2, v13
	v_lshlrev_b32_e32 v35, 2, v4
	v_add_co_ci_u32_e32 v12, vcc_lo, s15, v12, vcc_lo
	s_add_i32 s14, s7, -1
	s_ashr_i32 s15, s8, 31
	s_lshl_b32 s24, s8, 5
	s_delay_alu instid0(VALU_DEP_4)
	v_dual_mov_b32 v7, 0 :: v_dual_add_nc_u32 v36, v7, v2
	s_mov_b32 s25, 0
	s_branch .LBB159_10
.LBB159_9:                              ;   in Loop: Header=BB159_10 Depth=1
	s_waitcnt lgkmcnt(1)
	v_add_nc_u32_e32 v7, 1, v4
	s_delay_alu instid0(VALU_DEP_1) | instskip(SKIP_1) | instid1(SALU_CYCLE_1)
	v_cmp_le_i32_e32 vcc_lo, s6, v7
	s_or_b32 s25, vcc_lo, s25
	s_and_not1_b32 exec_lo, exec_lo, s25
	s_cbranch_execz .LBB159_37
.LBB159_10:                             ; =>This Loop Header: Depth=1
                                        ;     Child Loop BB159_14 Depth 2
                                        ;       Child Loop BB159_17 Depth 3
                                        ;     Child Loop BB159_31 Depth 2
	v_mov_b32_e32 v39, s6
	s_and_not1_b32 vcc_lo, exec_lo, s11
	s_cbranch_vccnz .LBB159_23
; %bb.11:                               ;   in Loop: Header=BB159_10 Depth=1
	v_mov_b32_e32 v39, s6
	s_mov_b32 s22, 0
	s_branch .LBB159_14
.LBB159_12:                             ;   in Loop: Header=BB159_14 Depth=2
	s_or_b32 exec_lo, exec_lo, s1
.LBB159_13:                             ;   in Loop: Header=BB159_14 Depth=2
	s_delay_alu instid0(SALU_CYCLE_1) | instskip(SKIP_1) | instid1(SALU_CYCLE_1)
	s_or_b32 exec_lo, exec_lo, s27
	s_add_i32 s22, s22, 1
	s_cmp_eq_u32 s22, s9
	s_cbranch_scc1 .LBB159_23
.LBB159_14:                             ;   Parent Loop BB159_10 Depth=1
                                        ; =>  This Loop Header: Depth=2
                                        ;       Child Loop BB159_17 Depth 3
	s_lshl_b64 s[28:29], s[22:23], 3
	v_mov_b32_e32 v4, v1
	v_add_co_u32 v13, vcc_lo, v5, s28
	v_add_co_ci_u32_e32 v14, vcc_lo, s29, v6, vcc_lo
	v_add_co_u32 v2, vcc_lo, v29, s28
	v_add_co_ci_u32_e32 v3, vcc_lo, s29, v30, vcc_lo
	s_lshl_b64 s[28:29], s[22:23], 4
	s_clause 0x1
	global_load_b64 v[21:22], v[13:14], off
	global_load_b64 v[17:18], v[2:3], off
	v_add_co_u32 v19, vcc_lo, v11, s28
	v_add_co_ci_u32_e32 v20, vcc_lo, s29, v12, vcc_lo
	s_lshl_b64 s[28:29], s[22:23], 2
	v_dual_mov_b32 v2, v1 :: v_dual_mov_b32 v23, s6
	v_add_co_u32 v15, vcc_lo, v9, s28
	v_mov_b32_e32 v3, v1
	v_add_co_ci_u32_e32 v16, vcc_lo, s29, v10, vcc_lo
	s_mov_b32 s27, exec_lo
	global_store_b128 v[19:20], v[1:4], off
	global_store_b32 v[15:16], v23, off
	s_waitcnt vmcnt(0)
	v_cmpx_lt_i64_e64 v[21:22], v[17:18]
	s_cbranch_execz .LBB159_13
; %bb.15:                               ;   in Loop: Header=BB159_14 Depth=2
	v_lshlrev_b64 v[2:3], 2, v[21:22]
	v_lshlrev_b64 v[25:26], 4, v[21:22]
	s_mov_b32 s28, 0
                                        ; implicit-def: $sgpr29
                                        ; implicit-def: $sgpr31
                                        ; implicit-def: $sgpr30
	s_delay_alu instid0(VALU_DEP_2) | instskip(NEXT) | instid1(VALU_DEP_3)
	v_add_co_u32 v23, vcc_lo, s20, v2
	v_add_co_ci_u32_e32 v24, vcc_lo, s21, v3, vcc_lo
	s_delay_alu instid0(VALU_DEP_3) | instskip(NEXT) | instid1(VALU_DEP_4)
	v_add_co_u32 v25, vcc_lo, s2, v25
	v_add_co_ci_u32_e32 v26, vcc_lo, s3, v26, vcc_lo
	s_set_inst_prefetch_distance 0x1
	s_branch .LBB159_17
	.p2align	6
.LBB159_16:                             ;   in Loop: Header=BB159_17 Depth=3
	s_or_b32 exec_lo, exec_lo, s33
	s_delay_alu instid0(SALU_CYCLE_1) | instskip(NEXT) | instid1(SALU_CYCLE_1)
	s_and_b32 s1, exec_lo, s31
	s_or_b32 s28, s1, s28
	s_and_not1_b32 s1, s29, exec_lo
	s_and_b32 s29, s30, exec_lo
	s_delay_alu instid0(SALU_CYCLE_1)
	s_or_b32 s29, s1, s29
	s_and_not1_b32 exec_lo, exec_lo, s28
	s_cbranch_execz .LBB159_19
.LBB159_17:                             ;   Parent Loop BB159_10 Depth=1
                                        ;     Parent Loop BB159_14 Depth=2
                                        ; =>    This Inner Loop Header: Depth=3
	global_load_b128 v[40:43], v[25:26], off
	s_or_b32 s30, s30, exec_lo
	s_or_b32 s31, s31, exec_lo
	s_mov_b32 s33, exec_lo
	s_waitcnt vmcnt(0)
	global_store_b128 v[19:20], v[40:43], off
	global_load_b32 v2, v[23:24], off
	s_waitcnt vmcnt(0)
	v_subrev_nc_u32_e32 v4, s10, v2
	v_dual_mov_b32 v2, v21 :: v_dual_mov_b32 v3, v22
                                        ; implicit-def: $vgpr21_vgpr22
	s_delay_alu instid0(VALU_DEP_2)
	v_cmpx_lt_i32_e64 v4, v7
	s_cbranch_execz .LBB159_16
; %bb.18:                               ;   in Loop: Header=BB159_17 Depth=3
	s_delay_alu instid0(VALU_DEP_2) | instskip(NEXT) | instid1(VALU_DEP_3)
	v_add_co_u32 v21, vcc_lo, v2, 1
	v_add_co_ci_u32_e32 v22, vcc_lo, 0, v3, vcc_lo
	v_add_co_u32 v23, vcc_lo, v23, 4
	v_add_co_ci_u32_e32 v24, vcc_lo, 0, v24, vcc_lo
	s_delay_alu instid0(VALU_DEP_3) | instskip(SKIP_1) | instid1(VALU_DEP_1)
	v_cmp_ge_i64_e32 vcc_lo, v[21:22], v[17:18]
	v_add_co_u32 v25, s1, v25, 16
	v_add_co_ci_u32_e64 v26, s1, 0, v26, s1
	s_and_not1_b32 s1, s31, exec_lo
	s_and_b32 s31, vcc_lo, exec_lo
	s_and_not1_b32 s30, s30, exec_lo
	s_or_b32 s31, s1, s31
	s_branch .LBB159_16
.LBB159_19:                             ;   in Loop: Header=BB159_14 Depth=2
	s_set_inst_prefetch_distance 0x2
	s_or_b32 exec_lo, exec_lo, s28
	s_xor_b32 s1, s29, -1
	s_delay_alu instid0(SALU_CYCLE_1) | instskip(NEXT) | instid1(SALU_CYCLE_1)
	s_and_saveexec_b32 s28, s1
	s_xor_b32 s1, exec_lo, s28
	s_cbranch_execz .LBB159_21
; %bb.20:                               ;   in Loop: Header=BB159_14 Depth=2
	global_store_b32 v[15:16], v4, off
                                        ; implicit-def: $vgpr15_vgpr16
                                        ; implicit-def: $vgpr13_vgpr14
.LBB159_21:                             ;   in Loop: Header=BB159_14 Depth=2
	s_and_not1_saveexec_b32 s1, s1
	s_cbranch_execz .LBB159_12
; %bb.22:                               ;   in Loop: Header=BB159_14 Depth=2
	v_min_i32_e32 v39, v4, v39
	global_store_b32 v[15:16], v4, off
	global_store_b64 v[13:14], v[2:3], off
	s_branch .LBB159_12
.LBB159_23:                             ;   in Loop: Header=BB159_10 Depth=1
	ds_bpermute_b32 v2, v31, v39
	s_waitcnt lgkmcnt(0)
	v_min_i32_e32 v2, v2, v39
	ds_bpermute_b32 v3, v32, v2
	s_waitcnt lgkmcnt(0)
	v_min_i32_e32 v2, v3, v2
	;; [unrolled: 3-line block ×5, first 2 shown]
	s_delay_alu instid0(VALU_DEP_1) | instskip(SKIP_1) | instid1(SALU_CYCLE_1)
	v_cmp_gt_i32_e32 vcc_lo, s6, v2
	s_and_b32 s22, s0, vcc_lo
	s_and_saveexec_b32 s1, s22
	s_cbranch_execz .LBB159_27
; %bb.24:                               ;   in Loop: Header=BB159_10 Depth=1
	v_sub_nc_u32_e32 v3, 0, v2
	s_mov_b32 s22, exec_lo
	s_delay_alu instid0(VALU_DEP_1) | instskip(NEXT) | instid1(VALU_DEP_1)
	v_max_i32_e32 v3, v2, v3
	v_mul_hi_u32 v4, v3, v36
	s_delay_alu instid0(VALU_DEP_1) | instskip(NEXT) | instid1(VALU_DEP_1)
	v_mul_lo_u32 v7, v4, s12
	v_sub_nc_u32_e32 v3, v3, v7
	v_add_nc_u32_e32 v7, 1, v4
	s_delay_alu instid0(VALU_DEP_2) | instskip(SKIP_1) | instid1(VALU_DEP_2)
	v_subrev_nc_u32_e32 v13, s12, v3
	v_cmp_le_u32_e32 vcc_lo, s12, v3
	v_dual_cndmask_b32 v4, v4, v7 :: v_dual_cndmask_b32 v3, v3, v13
	v_ashrrev_i32_e32 v7, 31, v2
	s_delay_alu instid0(VALU_DEP_2) | instskip(NEXT) | instid1(VALU_DEP_3)
	v_add_nc_u32_e32 v13, 1, v4
	v_cmp_le_u32_e32 vcc_lo, s12, v3
	s_delay_alu instid0(VALU_DEP_3) | instskip(NEXT) | instid1(VALU_DEP_3)
	v_xor_b32_e32 v7, s15, v7
	v_cndmask_b32_e32 v3, v4, v13, vcc_lo
	s_delay_alu instid0(VALU_DEP_1) | instskip(NEXT) | instid1(VALU_DEP_1)
	v_xor_b32_e32 v3, v3, v7
	v_sub_nc_u32_e32 v3, v3, v7
	s_delay_alu instid0(VALU_DEP_1)
	v_cmpx_ge_i32_e64 v3, v37
	s_cbranch_execz .LBB159_26
; %bb.25:                               ;   in Loop: Header=BB159_10 Depth=1
	v_add_nc_u32_e32 v13, s7, v38
	v_add_nc_u32_e32 v37, 1, v3
	v_add_nc_u32_e32 v38, 1, v38
	v_add_nc_u32_e32 v3, s26, v3
	s_delay_alu instid0(VALU_DEP_4) | instskip(NEXT) | instid1(VALU_DEP_1)
	v_ashrrev_i32_e32 v14, 31, v13
	v_lshlrev_b64 v[13:14], 2, v[13:14]
	s_delay_alu instid0(VALU_DEP_1) | instskip(NEXT) | instid1(VALU_DEP_2)
	v_add_co_u32 v13, vcc_lo, s16, v13
	v_add_co_ci_u32_e32 v14, vcc_lo, s17, v14, vcc_lo
	global_store_b32 v[13:14], v3, off
.LBB159_26:                             ;   in Loop: Header=BB159_10 Depth=1
	s_or_b32 exec_lo, exec_lo, s22
.LBB159_27:                             ;   in Loop: Header=BB159_10 Depth=1
	s_delay_alu instid0(SALU_CYCLE_1)
	s_or_b32 exec_lo, exec_lo, s1
	ds_bpermute_b32 v4, v27, v2
	ds_bpermute_b32 v38, v27, v38
	s_and_not1_b32 vcc_lo, exec_lo, s11
	s_cbranch_vccnz .LBB159_9
; %bb.28:                               ;   in Loop: Header=BB159_10 Depth=1
	s_waitcnt lgkmcnt(1)
	v_sub_nc_u32_e32 v2, 0, v4
	s_waitcnt lgkmcnt(0)
	v_add_nc_u32_e32 v13, s14, v38
	s_mov_b32 s1, s9
	s_delay_alu instid0(VALU_DEP_2) | instskip(NEXT) | instid1(VALU_DEP_2)
	v_max_i32_e32 v2, v4, v2
	v_ashrrev_i32_e32 v14, 31, v13
	v_mul_lo_u32 v15, s4, v13
	s_delay_alu instid0(VALU_DEP_3) | instskip(NEXT) | instid1(VALU_DEP_1)
	v_mul_hi_u32 v7, v2, v36
	v_mul_lo_u32 v3, v7, s12
	s_delay_alu instid0(VALU_DEP_1) | instskip(SKIP_2) | instid1(VALU_DEP_3)
	v_sub_nc_u32_e32 v16, v2, v3
	v_mad_u64_u32 v[2:3], null, s13, v13, 0
	v_mul_lo_u32 v13, s13, v14
	v_subrev_nc_u32_e32 v14, s12, v16
	v_cmp_le_u32_e32 vcc_lo, s12, v16
	s_delay_alu instid0(VALU_DEP_2) | instskip(NEXT) | instid1(VALU_DEP_1)
	v_dual_cndmask_b32 v14, v16, v14 :: v_dual_add_nc_u32 v17, 1, v7
	v_cndmask_b32_e32 v7, v7, v17, vcc_lo
	v_ashrrev_i32_e32 v17, 31, v4
	v_add3_u32 v3, v3, v13, v15
	v_mov_b32_e32 v15, v0
	v_cmp_le_u32_e32 vcc_lo, s12, v14
	v_mov_b32_e32 v14, v10
	v_add_nc_u32_e32 v16, 1, v7
	v_xor_b32_e32 v18, s15, v17
	v_mov_b32_e32 v13, v9
	s_delay_alu instid0(VALU_DEP_3) | instskip(SKIP_2) | instid1(VALU_DEP_3)
	v_cndmask_b32_e32 v7, v7, v16, vcc_lo
	v_lshlrev_b64 v[16:17], 4, v[2:3]
	v_dual_mov_b32 v2, v11 :: v_dual_mov_b32 v3, v12
	v_xor_b32_e32 v7, v7, v18
	s_delay_alu instid0(VALU_DEP_3) | instskip(NEXT) | instid1(VALU_DEP_4)
	v_add_co_u32 v21, vcc_lo, s18, v16
	v_add_co_ci_u32_e32 v22, vcc_lo, s19, v17, vcc_lo
	s_delay_alu instid0(VALU_DEP_3)
	v_sub_nc_u32_e32 v23, v7, v18
	v_mov_b32_e32 v7, v28
	s_branch .LBB159_31
.LBB159_29:                             ;   in Loop: Header=BB159_31 Depth=2
	global_load_b128 v[39:42], v[2:3], off
	v_lshlrev_b64 v[16:17], 4, v[17:18]
	v_lshlrev_b64 v[18:19], 4, v[19:20]
	s_delay_alu instid0(VALU_DEP_2) | instskip(NEXT) | instid1(VALU_DEP_3)
	v_add_co_u32 v16, vcc_lo, v21, v16
	v_add_co_ci_u32_e32 v17, vcc_lo, v22, v17, vcc_lo
	s_delay_alu instid0(VALU_DEP_2) | instskip(NEXT) | instid1(VALU_DEP_2)
	v_add_co_u32 v16, vcc_lo, v16, v18
	v_add_co_ci_u32_e32 v17, vcc_lo, v17, v19, vcc_lo
	s_waitcnt vmcnt(0)
	global_store_b128 v[16:17], v[39:42], off
.LBB159_30:                             ;   in Loop: Header=BB159_31 Depth=2
	s_or_b32 exec_lo, exec_lo, s22
	v_add_co_u32 v13, vcc_lo, v13, 4
	v_add_co_ci_u32_e32 v14, vcc_lo, 0, v14, vcc_lo
	v_add_co_u32 v2, vcc_lo, v2, 16
	v_add_nc_u32_e32 v7, s24, v7
	v_add_nc_u32_e32 v15, 32, v15
	v_add_co_ci_u32_e32 v3, vcc_lo, 0, v3, vcc_lo
	s_add_i32 s1, s1, -1
	s_delay_alu instid0(SALU_CYCLE_1)
	s_cmp_eq_u32 s1, 0
	s_cbranch_scc1 .LBB159_9
.LBB159_31:                             ;   Parent Loop BB159_10 Depth=1
                                        ; =>  This Inner Loop Header: Depth=2
	global_load_b32 v16, v[13:14], off
	s_mov_b32 s22, exec_lo
	s_waitcnt vmcnt(0)
	v_cmpx_gt_i32_e64 s6, v16
	s_cbranch_execz .LBB159_30
; %bb.32:                               ;   in Loop: Header=BB159_31 Depth=2
	v_sub_nc_u32_e32 v17, 0, v16
	v_ashrrev_i32_e32 v25, 31, v16
	s_delay_alu instid0(VALU_DEP_2) | instskip(NEXT) | instid1(VALU_DEP_2)
	v_max_i32_e32 v17, v16, v17
	v_xor_b32_e32 v20, s15, v25
	s_delay_alu instid0(VALU_DEP_2) | instskip(NEXT) | instid1(VALU_DEP_1)
	v_mul_hi_u32 v18, v17, v36
	v_mul_lo_u32 v19, v18, s12
	s_delay_alu instid0(VALU_DEP_1) | instskip(SKIP_1) | instid1(VALU_DEP_2)
	v_sub_nc_u32_e32 v24, v17, v19
	v_add_nc_u32_e32 v17, 1, v18
	v_subrev_nc_u32_e32 v26, s12, v24
	v_cmp_le_u32_e32 vcc_lo, s12, v24
	s_delay_alu instid0(VALU_DEP_2) | instskip(NEXT) | instid1(VALU_DEP_1)
	v_dual_cndmask_b32 v17, v18, v17 :: v_dual_cndmask_b32 v18, v24, v26
	v_add_nc_u32_e32 v19, 1, v17
	s_delay_alu instid0(VALU_DEP_2) | instskip(NEXT) | instid1(VALU_DEP_2)
	v_cmp_le_u32_e32 vcc_lo, s12, v18
	v_cndmask_b32_e32 v17, v17, v19, vcc_lo
	s_delay_alu instid0(VALU_DEP_1) | instskip(NEXT) | instid1(VALU_DEP_1)
	v_xor_b32_e32 v17, v17, v20
	v_sub_nc_u32_e32 v17, v17, v20
	s_delay_alu instid0(VALU_DEP_1)
	v_cmp_eq_u32_e32 vcc_lo, v17, v23
	s_and_b32 exec_lo, exec_lo, vcc_lo
	s_cbranch_execz .LBB159_30
; %bb.33:                               ;   in Loop: Header=BB159_31 Depth=2
	s_and_b32 vcc_lo, exec_lo, s5
	s_cbranch_vccz .LBB159_35
; %bb.34:                               ;   in Loop: Header=BB159_31 Depth=2
	v_mul_lo_u32 v17, v23, s8
	s_delay_alu instid0(VALU_DEP_1) | instskip(NEXT) | instid1(VALU_DEP_1)
	v_sub_nc_u32_e32 v16, v16, v17
	v_mul_lo_u32 v17, v16, s8
	v_mov_b32_e32 v16, v1
	s_delay_alu instid0(VALU_DEP_1) | instskip(NEXT) | instid1(VALU_DEP_3)
	v_dual_mov_b32 v20, v16 :: v_dual_mov_b32 v19, v15
	v_ashrrev_i32_e32 v18, 31, v17
	s_cbranch_execnz .LBB159_29
	s_branch .LBB159_36
.LBB159_35:                             ;   in Loop: Header=BB159_31 Depth=2
                                        ; implicit-def: $vgpr19_vgpr20
                                        ; implicit-def: $vgpr17_vgpr18
.LBB159_36:                             ;   in Loop: Header=BB159_31 Depth=2
	v_cmp_le_u32_e32 vcc_lo, s12, v24
	v_cndmask_b32_e32 v16, v24, v26, vcc_lo
	s_delay_alu instid0(VALU_DEP_1) | instskip(SKIP_1) | instid1(VALU_DEP_2)
	v_subrev_nc_u32_e32 v17, s12, v16
	v_cmp_le_u32_e32 vcc_lo, s12, v16
	v_cndmask_b32_e32 v16, v16, v17, vcc_lo
	v_dual_mov_b32 v18, v8 :: v_dual_mov_b32 v17, v7
	s_delay_alu instid0(VALU_DEP_2) | instskip(NEXT) | instid1(VALU_DEP_1)
	v_xor_b32_e32 v16, v16, v25
	v_sub_nc_u32_e32 v19, v16, v25
	s_delay_alu instid0(VALU_DEP_1)
	v_ashrrev_i32_e32 v20, 31, v19
	s_branch .LBB159_29
.LBB159_37:
	s_nop 0
	s_sendmsg sendmsg(MSG_DEALLOC_VGPRS)
	s_endpgm
	.section	.rodata,"a",@progbits
	.p2align	6, 0x0
	.amdhsa_kernel _ZN9rocsparseL21csr2bsr_65_inf_kernelILj32E21rocsparse_complex_numIdEliEEv20rocsparse_direction_T2_S4_S4_S4_S4_S4_21rocsparse_index_base_PKT0_PKT1_PKS4_S5_PS6_PS9_PS4_SF_SG_SE_
		.amdhsa_group_segment_fixed_size 0
		.amdhsa_private_segment_fixed_size 0
		.amdhsa_kernarg_size 112
		.amdhsa_user_sgpr_count 15
		.amdhsa_user_sgpr_dispatch_ptr 0
		.amdhsa_user_sgpr_queue_ptr 0
		.amdhsa_user_sgpr_kernarg_segment_ptr 1
		.amdhsa_user_sgpr_dispatch_id 0
		.amdhsa_user_sgpr_private_segment_size 0
		.amdhsa_wavefront_size32 1
		.amdhsa_uses_dynamic_stack 0
		.amdhsa_enable_private_segment 0
		.amdhsa_system_sgpr_workgroup_id_x 1
		.amdhsa_system_sgpr_workgroup_id_y 0
		.amdhsa_system_sgpr_workgroup_id_z 0
		.amdhsa_system_sgpr_workgroup_info 0
		.amdhsa_system_vgpr_workitem_id 0
		.amdhsa_next_free_vgpr 44
		.amdhsa_next_free_sgpr 34
		.amdhsa_reserve_vcc 1
		.amdhsa_float_round_mode_32 0
		.amdhsa_float_round_mode_16_64 0
		.amdhsa_float_denorm_mode_32 3
		.amdhsa_float_denorm_mode_16_64 3
		.amdhsa_dx10_clamp 1
		.amdhsa_ieee_mode 1
		.amdhsa_fp16_overflow 0
		.amdhsa_workgroup_processor_mode 1
		.amdhsa_memory_ordered 1
		.amdhsa_forward_progress 0
		.amdhsa_shared_vgpr_count 0
		.amdhsa_exception_fp_ieee_invalid_op 0
		.amdhsa_exception_fp_denorm_src 0
		.amdhsa_exception_fp_ieee_div_zero 0
		.amdhsa_exception_fp_ieee_overflow 0
		.amdhsa_exception_fp_ieee_underflow 0
		.amdhsa_exception_fp_ieee_inexact 0
		.amdhsa_exception_int_div_zero 0
	.end_amdhsa_kernel
	.section	.text._ZN9rocsparseL21csr2bsr_65_inf_kernelILj32E21rocsparse_complex_numIdEliEEv20rocsparse_direction_T2_S4_S4_S4_S4_S4_21rocsparse_index_base_PKT0_PKT1_PKS4_S5_PS6_PS9_PS4_SF_SG_SE_,"axG",@progbits,_ZN9rocsparseL21csr2bsr_65_inf_kernelILj32E21rocsparse_complex_numIdEliEEv20rocsparse_direction_T2_S4_S4_S4_S4_S4_21rocsparse_index_base_PKT0_PKT1_PKS4_S5_PS6_PS9_PS4_SF_SG_SE_,comdat
.Lfunc_end159:
	.size	_ZN9rocsparseL21csr2bsr_65_inf_kernelILj32E21rocsparse_complex_numIdEliEEv20rocsparse_direction_T2_S4_S4_S4_S4_S4_21rocsparse_index_base_PKT0_PKT1_PKS4_S5_PS6_PS9_PS4_SF_SG_SE_, .Lfunc_end159-_ZN9rocsparseL21csr2bsr_65_inf_kernelILj32E21rocsparse_complex_numIdEliEEv20rocsparse_direction_T2_S4_S4_S4_S4_S4_21rocsparse_index_base_PKT0_PKT1_PKS4_S5_PS6_PS9_PS4_SF_SG_SE_
                                        ; -- End function
	.section	.AMDGPU.csdata,"",@progbits
; Kernel info:
; codeLenInByte = 2276
; NumSgprs: 36
; NumVgprs: 44
; ScratchSize: 0
; MemoryBound: 0
; FloatMode: 240
; IeeeMode: 1
; LDSByteSize: 0 bytes/workgroup (compile time only)
; SGPRBlocks: 4
; VGPRBlocks: 5
; NumSGPRsForWavesPerEU: 36
; NumVGPRsForWavesPerEU: 44
; Occupancy: 16
; WaveLimiterHint : 0
; COMPUTE_PGM_RSRC2:SCRATCH_EN: 0
; COMPUTE_PGM_RSRC2:USER_SGPR: 15
; COMPUTE_PGM_RSRC2:TRAP_HANDLER: 0
; COMPUTE_PGM_RSRC2:TGID_X_EN: 1
; COMPUTE_PGM_RSRC2:TGID_Y_EN: 0
; COMPUTE_PGM_RSRC2:TGID_Z_EN: 0
; COMPUTE_PGM_RSRC2:TIDIG_COMP_CNT: 0
	.section	.text._ZN9rocsparseL35csr2bsr_block_dim_equals_one_kernelILj256E21rocsparse_complex_numIdEilEEvT2_S3_S3_S3_21rocsparse_index_base_PKT0_PKT1_PKS3_S4_PS5_PS8_PS3_,"axG",@progbits,_ZN9rocsparseL35csr2bsr_block_dim_equals_one_kernelILj256E21rocsparse_complex_numIdEilEEvT2_S3_S3_S3_21rocsparse_index_base_PKT0_PKT1_PKS3_S4_PS5_PS8_PS3_,comdat
	.globl	_ZN9rocsparseL35csr2bsr_block_dim_equals_one_kernelILj256E21rocsparse_complex_numIdEilEEvT2_S3_S3_S3_21rocsparse_index_base_PKT0_PKT1_PKS3_S4_PS5_PS8_PS3_ ; -- Begin function _ZN9rocsparseL35csr2bsr_block_dim_equals_one_kernelILj256E21rocsparse_complex_numIdEilEEvT2_S3_S3_S3_21rocsparse_index_base_PKT0_PKT1_PKS3_S4_PS5_PS8_PS3_
	.p2align	8
	.type	_ZN9rocsparseL35csr2bsr_block_dim_equals_one_kernelILj256E21rocsparse_complex_numIdEilEEvT2_S3_S3_S3_21rocsparse_index_base_PKT0_PKT1_PKS3_S4_PS5_PS8_PS3_,@function
_ZN9rocsparseL35csr2bsr_block_dim_equals_one_kernelILj256E21rocsparse_complex_numIdEilEEvT2_S3_S3_S3_21rocsparse_index_base_PKT0_PKT1_PKS3_S4_PS5_PS8_PS3_: ; @_ZN9rocsparseL35csr2bsr_block_dim_equals_one_kernelILj256E21rocsparse_complex_numIdEilEEvT2_S3_S3_S3_21rocsparse_index_base_PKT0_PKT1_PKS3_S4_PS5_PS8_PS3_
; %bb.0:
	s_clause 0x1
	s_load_b64 s[2:3], s[0:1], 0x0
	s_load_b128 s[4:7], s[0:1], 0x28
	v_lshl_or_b32 v0, s15, 8, v0
	s_waitcnt lgkmcnt(0)
	s_lshl_b64 s[2:3], s[2:3], 2
	s_delay_alu instid0(SALU_CYCLE_1)
	s_add_u32 s2, s6, s2
	s_addc_u32 s3, s7, s3
	s_clause 0x1
	s_load_b32 s2, s[2:3], 0x0
	s_load_b32 s3, s[6:7], 0x0
	s_waitcnt lgkmcnt(0)
	s_sub_i32 s10, s2, s3
	s_mov_b32 s2, exec_lo
	v_cmpx_gt_i32_e64 s10, v0
	s_cbranch_execz .LBB160_3
; %bb.1:
	s_clause 0x5
	s_load_b32 s11, s[0:1], 0x40
	s_load_b64 s[2:3], s[0:1], 0x48
	s_load_b32 s12, s[0:1], 0x20
	s_load_b32 s13, s[0:1], 0x60
	s_load_b64 s[6:7], s[0:1], 0x38
	s_load_b64 s[8:9], s[0:1], 0x58
	s_mov_b32 s1, 0
	s_waitcnt lgkmcnt(0)
	s_sub_u32 s11, s11, s12
	s_subb_u32 s12, 0, 0
	s_lshl_b32 s13, s13, 8
	s_set_inst_prefetch_distance 0x1
	.p2align	6
.LBB160_2:                              ; =>This Inner Loop Header: Depth=1
	v_ashrrev_i32_e32 v1, 31, v0
	s_delay_alu instid0(VALU_DEP_1) | instskip(SKIP_2) | instid1(VALU_DEP_3)
	v_lshlrev_b64 v[2:3], 3, v[0:1]
	v_lshlrev_b64 v[6:7], 4, v[0:1]
	v_add_nc_u32_e32 v0, s13, v0
	v_add_co_u32 v4, vcc_lo, s6, v2
	s_delay_alu instid0(VALU_DEP_4)
	v_add_co_ci_u32_e32 v5, vcc_lo, s7, v3, vcc_lo
	v_add_co_u32 v1, vcc_lo, s8, v2
	v_add_co_ci_u32_e32 v2, vcc_lo, s9, v3, vcc_lo
	global_load_b64 v[4:5], v[4:5], off
	s_waitcnt vmcnt(0)
	v_add_co_u32 v3, vcc_lo, s11, v4
	v_add_co_ci_u32_e32 v4, vcc_lo, s12, v5, vcc_lo
	v_add_co_u32 v8, vcc_lo, s4, v6
	v_add_co_ci_u32_e32 v9, vcc_lo, s5, v7, vcc_lo
	global_store_b64 v[1:2], v[3:4], off
	v_cmp_le_i32_e32 vcc_lo, s10, v0
	v_add_co_u32 v5, s0, s2, v6
	global_load_b128 v[1:4], v[8:9], off
	v_add_co_ci_u32_e64 v6, s0, s3, v7, s0
	s_or_b32 s1, vcc_lo, s1
	s_waitcnt vmcnt(0)
	global_store_b128 v[5:6], v[1:4], off
	s_and_not1_b32 exec_lo, exec_lo, s1
	s_cbranch_execnz .LBB160_2
.LBB160_3:
	s_set_inst_prefetch_distance 0x2
	s_nop 0
	s_sendmsg sendmsg(MSG_DEALLOC_VGPRS)
	s_endpgm
	.section	.rodata,"a",@progbits
	.p2align	6, 0x0
	.amdhsa_kernel _ZN9rocsparseL35csr2bsr_block_dim_equals_one_kernelILj256E21rocsparse_complex_numIdEilEEvT2_S3_S3_S3_21rocsparse_index_base_PKT0_PKT1_PKS3_S4_PS5_PS8_PS3_
		.amdhsa_group_segment_fixed_size 0
		.amdhsa_private_segment_fixed_size 0
		.amdhsa_kernarg_size 352
		.amdhsa_user_sgpr_count 15
		.amdhsa_user_sgpr_dispatch_ptr 0
		.amdhsa_user_sgpr_queue_ptr 0
		.amdhsa_user_sgpr_kernarg_segment_ptr 1
		.amdhsa_user_sgpr_dispatch_id 0
		.amdhsa_user_sgpr_private_segment_size 0
		.amdhsa_wavefront_size32 1
		.amdhsa_uses_dynamic_stack 0
		.amdhsa_enable_private_segment 0
		.amdhsa_system_sgpr_workgroup_id_x 1
		.amdhsa_system_sgpr_workgroup_id_y 0
		.amdhsa_system_sgpr_workgroup_id_z 0
		.amdhsa_system_sgpr_workgroup_info 0
		.amdhsa_system_vgpr_workitem_id 0
		.amdhsa_next_free_vgpr 10
		.amdhsa_next_free_sgpr 16
		.amdhsa_reserve_vcc 1
		.amdhsa_float_round_mode_32 0
		.amdhsa_float_round_mode_16_64 0
		.amdhsa_float_denorm_mode_32 3
		.amdhsa_float_denorm_mode_16_64 3
		.amdhsa_dx10_clamp 1
		.amdhsa_ieee_mode 1
		.amdhsa_fp16_overflow 0
		.amdhsa_workgroup_processor_mode 1
		.amdhsa_memory_ordered 1
		.amdhsa_forward_progress 0
		.amdhsa_shared_vgpr_count 0
		.amdhsa_exception_fp_ieee_invalid_op 0
		.amdhsa_exception_fp_denorm_src 0
		.amdhsa_exception_fp_ieee_div_zero 0
		.amdhsa_exception_fp_ieee_overflow 0
		.amdhsa_exception_fp_ieee_underflow 0
		.amdhsa_exception_fp_ieee_inexact 0
		.amdhsa_exception_int_div_zero 0
	.end_amdhsa_kernel
	.section	.text._ZN9rocsparseL35csr2bsr_block_dim_equals_one_kernelILj256E21rocsparse_complex_numIdEilEEvT2_S3_S3_S3_21rocsparse_index_base_PKT0_PKT1_PKS3_S4_PS5_PS8_PS3_,"axG",@progbits,_ZN9rocsparseL35csr2bsr_block_dim_equals_one_kernelILj256E21rocsparse_complex_numIdEilEEvT2_S3_S3_S3_21rocsparse_index_base_PKT0_PKT1_PKS3_S4_PS5_PS8_PS3_,comdat
.Lfunc_end160:
	.size	_ZN9rocsparseL35csr2bsr_block_dim_equals_one_kernelILj256E21rocsparse_complex_numIdEilEEvT2_S3_S3_S3_21rocsparse_index_base_PKT0_PKT1_PKS3_S4_PS5_PS8_PS3_, .Lfunc_end160-_ZN9rocsparseL35csr2bsr_block_dim_equals_one_kernelILj256E21rocsparse_complex_numIdEilEEvT2_S3_S3_S3_21rocsparse_index_base_PKT0_PKT1_PKS3_S4_PS5_PS8_PS3_
                                        ; -- End function
	.section	.AMDGPU.csdata,"",@progbits
; Kernel info:
; codeLenInByte = 336
; NumSgprs: 18
; NumVgprs: 10
; ScratchSize: 0
; MemoryBound: 0
; FloatMode: 240
; IeeeMode: 1
; LDSByteSize: 0 bytes/workgroup (compile time only)
; SGPRBlocks: 2
; VGPRBlocks: 1
; NumSGPRsForWavesPerEU: 18
; NumVGPRsForWavesPerEU: 10
; Occupancy: 16
; WaveLimiterHint : 0
; COMPUTE_PGM_RSRC2:SCRATCH_EN: 0
; COMPUTE_PGM_RSRC2:USER_SGPR: 15
; COMPUTE_PGM_RSRC2:TRAP_HANDLER: 0
; COMPUTE_PGM_RSRC2:TGID_X_EN: 1
; COMPUTE_PGM_RSRC2:TGID_Y_EN: 0
; COMPUTE_PGM_RSRC2:TGID_Z_EN: 0
; COMPUTE_PGM_RSRC2:TIDIG_COMP_CNT: 0
	.section	.text._ZN9rocsparseL42csr2bsr_wavefront_per_row_multipass_kernelILj256ELj16ELj4E21rocsparse_complex_numIdEilEEv20rocsparse_direction_T4_S4_S4_S4_S4_21rocsparse_index_base_PKT2_PKT3_PKS4_S5_PS6_PS9_PS4_,"axG",@progbits,_ZN9rocsparseL42csr2bsr_wavefront_per_row_multipass_kernelILj256ELj16ELj4E21rocsparse_complex_numIdEilEEv20rocsparse_direction_T4_S4_S4_S4_S4_21rocsparse_index_base_PKT2_PKT3_PKS4_S5_PS6_PS9_PS4_,comdat
	.globl	_ZN9rocsparseL42csr2bsr_wavefront_per_row_multipass_kernelILj256ELj16ELj4E21rocsparse_complex_numIdEilEEv20rocsparse_direction_T4_S4_S4_S4_S4_21rocsparse_index_base_PKT2_PKT3_PKS4_S5_PS6_PS9_PS4_ ; -- Begin function _ZN9rocsparseL42csr2bsr_wavefront_per_row_multipass_kernelILj256ELj16ELj4E21rocsparse_complex_numIdEilEEv20rocsparse_direction_T4_S4_S4_S4_S4_21rocsparse_index_base_PKT2_PKT3_PKS4_S5_PS6_PS9_PS4_
	.p2align	8
	.type	_ZN9rocsparseL42csr2bsr_wavefront_per_row_multipass_kernelILj256ELj16ELj4E21rocsparse_complex_numIdEilEEv20rocsparse_direction_T4_S4_S4_S4_S4_21rocsparse_index_base_PKT2_PKT3_PKS4_S5_PS6_PS9_PS4_,@function
_ZN9rocsparseL42csr2bsr_wavefront_per_row_multipass_kernelILj256ELj16ELj4E21rocsparse_complex_numIdEilEEv20rocsparse_direction_T4_S4_S4_S4_S4_21rocsparse_index_base_PKT2_PKT3_PKS4_S5_PS6_PS9_PS4_: ; @_ZN9rocsparseL42csr2bsr_wavefront_per_row_multipass_kernelILj256ELj16ELj4E21rocsparse_complex_numIdEilEEv20rocsparse_direction_T4_S4_S4_S4_S4_21rocsparse_index_base_PKT2_PKT3_PKS4_S5_PS6_PS9_PS4_
; %bb.0:
	s_load_b64 s[8:9], s[0:1], 0x28
	v_lshrrev_b32_e32 v20, 4, v0
	s_mov_b32 s10, s15
	s_ashr_i32 s11, s15, 31
	s_clause 0x1
	s_load_b64 s[14:15], s[0:1], 0x8
	s_load_b128 s[4:7], s[0:1], 0x18
	s_lshl_b64 s[2:3], s[10:11], 4
	v_mov_b32_e32 v4, 0
	v_or_b32_e32 v5, s2, v20
	v_bfe_u32 v3, v0, 2, 2
	s_clause 0x1
	s_load_b32 s16, s[0:1], 0x30
	s_load_b64 s[12:13], s[0:1], 0x40
	v_mov_b32_e32 v10, v4
	s_waitcnt lgkmcnt(0)
	v_mul_lo_u32 v6, v5, s9
	v_mad_u64_u32 v[1:2], null, v5, s8, v[3:4]
	s_mul_i32 s2, s3, s8
	s_delay_alu instid0(VALU_DEP_1) | instid1(SALU_CYCLE_1)
	v_add3_u32 v2, s2, v2, v6
	v_cmp_gt_i64_e64 s2, s[8:9], v[3:4]
	s_delay_alu instid0(VALU_DEP_2) | instskip(NEXT) | instid1(VALU_DEP_2)
	v_cmp_gt_i64_e32 vcc_lo, s[14:15], v[1:2]
	s_and_b32 s3, s2, vcc_lo
	s_delay_alu instid0(SALU_CYCLE_1)
	s_and_saveexec_b32 s11, s3
	s_cbranch_execz .LBB161_2
; %bb.1:
	v_lshlrev_b64 v[5:6], 2, v[1:2]
	s_delay_alu instid0(VALU_DEP_1) | instskip(NEXT) | instid1(VALU_DEP_2)
	v_add_co_u32 v5, vcc_lo, s12, v5
	v_add_co_ci_u32_e32 v6, vcc_lo, s13, v6, vcc_lo
	global_load_b32 v5, v[5:6], off
	s_waitcnt vmcnt(0)
	v_subrev_nc_u32_e32 v10, s16, v5
.LBB161_2:
	s_or_b32 exec_lo, exec_lo, s11
	s_and_saveexec_b32 s11, s3
	s_cbranch_execz .LBB161_4
; %bb.3:
	v_lshlrev_b64 v[1:2], 2, v[1:2]
	s_delay_alu instid0(VALU_DEP_1) | instskip(NEXT) | instid1(VALU_DEP_2)
	v_add_co_u32 v1, vcc_lo, s12, v1
	v_add_co_ci_u32_e32 v2, vcc_lo, s13, v2, vcc_lo
	global_load_b32 v1, v[1:2], off offset:4
	s_waitcnt vmcnt(0)
	v_subrev_nc_u32_e32 v4, s16, v1
.LBB161_4:
	s_or_b32 exec_lo, exec_lo, s11
	s_load_b32 s17, s[0:1], 0x50
	v_mov_b32_e32 v2, 0
	v_lshl_or_b32 v1, s10, 4, v20
	s_mov_b32 s3, exec_lo
	s_delay_alu instid0(VALU_DEP_2) | instskip(NEXT) | instid1(VALU_DEP_2)
	v_mov_b32_e32 v5, v2
	v_cmpx_gt_i64_e64 s[4:5], v[1:2]
	s_cbranch_execz .LBB161_6
; %bb.5:
	s_load_b64 s[4:5], s[0:1], 0x60
	v_lshlrev_b64 v[1:2], 2, v[1:2]
	s_waitcnt lgkmcnt(0)
	s_delay_alu instid0(VALU_DEP_1) | instskip(NEXT) | instid1(VALU_DEP_2)
	v_add_co_u32 v1, vcc_lo, s4, v1
	v_add_co_ci_u32_e32 v2, vcc_lo, s5, v2, vcc_lo
	global_load_b32 v1, v[1:2], off
	s_waitcnt vmcnt(0)
	v_subrev_nc_u32_e32 v5, s17, v1
.LBB161_6:
	s_or_b32 exec_lo, exec_lo, s3
	v_cmp_lt_i64_e64 s3, s[6:7], 1
	s_delay_alu instid0(VALU_DEP_1)
	s_and_b32 vcc_lo, exec_lo, s3
	s_cbranch_vccnz .LBB161_25
; %bb.7:
	v_mbcnt_lo_u32_b32 v6, -1, 0
	v_mad_u64_u32 v[11:12], null, v3, s8, 0
	v_and_b32_e32 v7, 3, v0
	s_load_b64 s[4:5], s[0:1], 0x68
	s_delay_alu instid0(VALU_DEP_3)
	v_xor_b32_e32 v2, 2, v6
	v_xor_b32_e32 v8, 1, v6
	s_clause 0x3
	s_load_b64 s[14:15], s[0:1], 0x58
	s_load_b64 s[10:11], s[0:1], 0x48
	;; [unrolled: 1-line block ×3, first 2 shown]
	s_load_b32 s0, s[0:1], 0x0
	s_mul_i32 s3, s8, s9
	v_mov_b32_e32 v30, 1
	v_cmp_gt_i32_e32 vcc_lo, 32, v2
	v_and_b32_e32 v1, 0x3f0, v0
	s_mov_b32 s1, 0
	s_mul_i32 s19, s8, s8
	v_dual_mov_b32 v31, 0 :: v_dual_cndmask_b32 v2, v6, v2
	s_delay_alu instid0(VALU_DEP_2) | instskip(SKIP_2) | instid1(VALU_DEP_4)
	v_lshl_or_b32 v21, v3, 2, v1
	v_mad_u64_u32 v[0:1], null, v7, s8, 0
	v_cmp_gt_i32_e32 vcc_lo, 32, v8
	v_dual_cndmask_b32 v14, v6, v8 :: v_dual_lshlrev_b32 v23, 2, v2
	s_delay_alu instid0(VALU_DEP_3) | instskip(SKIP_2) | instid1(VALU_DEP_4)
	v_mad_u64_u32 v[8:9], null, v7, s9, v[1:2]
	v_mov_b32_e32 v2, v12
	v_or_b32_e32 v13, v21, v7
	v_dual_mov_b32 v9, 0 :: v_dual_lshlrev_b32 v24, 2, v14
	s_waitcnt lgkmcnt(0)
	s_cmp_eq_u32 s0, 0
	s_mul_hi_u32 s0, s8, s8
	s_delay_alu instid0(VALU_DEP_4) | instskip(SKIP_2) | instid1(VALU_DEP_3)
	v_dual_mov_b32 v1, v8 :: v_dual_lshlrev_b32 v22, 4, v13
	v_mad_u64_u32 v[12:13], null, v3, s9, v[2:3]
	v_lshlrev_b32_e32 v2, 4, v3
	v_lshlrev_b64 v[0:1], 4, v[0:1]
	v_mov_b32_e32 v8, v9
	s_delay_alu instid0(VALU_DEP_2) | instskip(NEXT) | instid1(VALU_DEP_3)
	v_add_co_u32 v3, vcc_lo, s14, v0
	v_add_co_ci_u32_e32 v13, vcc_lo, s15, v1, vcc_lo
	v_lshlrev_b64 v[0:1], 4, v[11:12]
	v_lshlrev_b32_e32 v11, 4, v7
	s_delay_alu instid0(VALU_DEP_4) | instskip(NEXT) | instid1(VALU_DEP_4)
	v_add_co_u32 v2, vcc_lo, v3, v2
	v_add_co_ci_u32_e32 v3, vcc_lo, 0, v13, vcc_lo
	s_delay_alu instid0(VALU_DEP_4) | instskip(SKIP_2) | instid1(VALU_DEP_3)
	v_add_co_u32 v0, vcc_lo, s14, v0
	v_add_co_ci_u32_e32 v1, vcc_lo, s15, v1, vcc_lo
	v_xor_b32_e32 v12, 8, v6
	v_add_co_u32 v0, vcc_lo, v0, v11
	s_delay_alu instid0(VALU_DEP_3)
	v_add_co_ci_u32_e32 v1, vcc_lo, 0, v1, vcc_lo
	v_xor_b32_e32 v11, 4, v6
	s_cselect_b32 vcc_lo, -1, 0
	s_add_i32 s14, s0, s3
	v_cmp_gt_i32_e64 s0, 32, v12
	v_dual_cndmask_b32 v29, v2, v0 :: v_dual_lshlrev_b32 v14, 2, v6
	v_cndmask_b32_e32 v28, v3, v1, vcc_lo
	v_mov_b32_e32 v0, 0
	s_delay_alu instid0(VALU_DEP_4)
	v_cndmask_b32_e64 v12, v6, v12, s0
	v_cmp_gt_i32_e64 s0, 32, v11
	v_or_b32_e32 v25, 12, v14
	v_or_b32_e32 v27, 60, v14
	v_mov_b32_e32 v13, 0
	v_mov_b32_e32 v14, 0
	v_cndmask_b32_e64 v6, v6, v11, s0
	v_cmp_gt_u64_e64 s0, s[8:9], v[7:8]
	v_dual_mov_b32 v1, v9 :: v_dual_lshlrev_b32 v8, 2, v12
	v_mov_b32_e32 v2, v9
	s_delay_alu instid0(VALU_DEP_4) | instskip(SKIP_1) | instid1(VALU_DEP_4)
	v_dual_mov_b32 v3, v9 :: v_dual_lshlrev_b32 v26, 2, v6
	s_add_i32 s18, s14, s3
	s_and_b32 s20, s2, s0
	s_ashr_i32 s2, s9, 31
	s_sub_i32 s21, 0, s8
	s_branch .LBB161_10
.LBB161_8:                              ;   in Loop: Header=BB161_10 Depth=1
	s_or_b32 exec_lo, exec_lo, s3
	v_mov_b32_e32 v6, 1
.LBB161_9:                              ;   in Loop: Header=BB161_10 Depth=1
	s_or_b32 exec_lo, exec_lo, s0
	ds_bpermute_b32 v13, v8, v11
	ds_bpermute_b32 v14, v8, v12
	v_add_nc_u32_e32 v5, v6, v5
	s_waitcnt lgkmcnt(0)
	s_waitcnt_vscnt null, 0x0
	buffer_gl0_inv
	buffer_gl0_inv
	v_cmp_lt_i64_e32 vcc_lo, v[13:14], v[11:12]
	v_dual_cndmask_b32 v12, v12, v14 :: v_dual_cndmask_b32 v11, v11, v13
	ds_bpermute_b32 v14, v26, v12
	ds_bpermute_b32 v13, v26, v11
	s_waitcnt lgkmcnt(0)
	v_cmp_lt_i64_e32 vcc_lo, v[13:14], v[11:12]
	v_dual_cndmask_b32 v12, v12, v14 :: v_dual_cndmask_b32 v11, v11, v13
	ds_bpermute_b32 v14, v23, v12
	ds_bpermute_b32 v13, v23, v11
	s_waitcnt lgkmcnt(0)
	;; [unrolled: 5-line block ×3, first 2 shown]
	v_cmp_lt_i64_e32 vcc_lo, v[13:14], v[11:12]
	v_cndmask_b32_e32 v11, v11, v13, vcc_lo
	ds_bpermute_b32 v13, v27, v11
	s_waitcnt lgkmcnt(0)
	v_ashrrev_i32_e32 v14, 31, v13
	v_mov_b32_e32 v31, v13
	s_delay_alu instid0(VALU_DEP_2) | instskip(SKIP_1) | instid1(SALU_CYCLE_1)
	v_cmp_le_i64_e32 vcc_lo, s[6:7], v[13:14]
	s_or_b32 s1, vcc_lo, s1
	s_and_not1_b32 exec_lo, exec_lo, s1
	s_cbranch_execz .LBB161_25
.LBB161_10:                             ; =>This Loop Header: Depth=1
                                        ;     Child Loop BB161_13 Depth 2
	v_dual_mov_b32 v12, s7 :: v_dual_add_nc_u32 v15, v10, v7
	v_dual_mov_b32 v11, s6 :: v_dual_mov_b32 v10, v4
	s_mov_b32 s22, exec_lo
	ds_store_b8 v20, v9 offset:4096
	ds_store_b128 v22, v[0:3]
	s_waitcnt lgkmcnt(0)
	buffer_gl0_inv
	v_cmpx_lt_i32_e64 v15, v4
	s_cbranch_execz .LBB161_22
; %bb.11:                               ;   in Loop: Header=BB161_10 Depth=1
	v_mad_u64_u32 v[17:18], null, v13, s8, 0
	v_dual_mov_b32 v12, s7 :: v_dual_mov_b32 v11, s6
	v_mov_b32_e32 v6, v4
	s_mov_b32 s23, 0
	s_branch .LBB161_13
.LBB161_12:                             ;   in Loop: Header=BB161_13 Depth=2
	s_or_b32 exec_lo, exec_lo, s3
	s_delay_alu instid0(VALU_DEP_1) | instskip(SKIP_1) | instid1(VALU_DEP_1)
	v_dual_mov_b32 v6, v10 :: v_dual_add_nc_u32 v15, 4, v15
	s_xor_b32 s3, vcc_lo, -1
	v_cmp_ge_i32_e64 s0, v15, v4
	s_delay_alu instid0(VALU_DEP_1) | instskip(NEXT) | instid1(SALU_CYCLE_1)
	s_or_b32 s0, s3, s0
	s_and_b32 s0, exec_lo, s0
	s_delay_alu instid0(SALU_CYCLE_1) | instskip(NEXT) | instid1(SALU_CYCLE_1)
	s_or_b32 s23, s0, s23
	s_and_not1_b32 exec_lo, exec_lo, s23
	s_cbranch_execz .LBB161_21
.LBB161_13:                             ;   Parent Loop BB161_10 Depth=1
                                        ; =>  This Inner Loop Header: Depth=2
	v_ashrrev_i32_e32 v16, 31, v15
	s_mov_b32 s0, exec_lo
	s_delay_alu instid0(VALU_DEP_1) | instskip(NEXT) | instid1(VALU_DEP_1)
	v_lshlrev_b64 v[18:19], 3, v[15:16]
	v_add_co_u32 v18, vcc_lo, s10, v18
	s_delay_alu instid0(VALU_DEP_2) | instskip(SKIP_4) | instid1(VALU_DEP_1)
	v_add_co_ci_u32_e32 v19, vcc_lo, s11, v19, vcc_lo
	global_load_b64 v[18:19], v[18:19], off
	s_waitcnt vmcnt(0)
	v_sub_co_u32 v32, vcc_lo, v18, s16
	v_subrev_co_ci_u32_e32 v33, vcc_lo, 0, v19, vcc_lo
                                        ; implicit-def: $vgpr18_vgpr19
	v_or_b32_e32 v10, s9, v33
	s_delay_alu instid0(VALU_DEP_1)
	v_cmpx_ne_u64_e32 0, v[9:10]
	s_xor_b32 s24, exec_lo, s0
	s_cbranch_execz .LBB161_15
; %bb.14:                               ;   in Loop: Header=BB161_13 Depth=2
	s_add_u32 s14, s8, s2
	s_mov_b32 s3, s2
	s_addc_u32 s15, s9, s2
	s_delay_alu instid0(SALU_CYCLE_1) | instskip(NEXT) | instid1(SALU_CYCLE_1)
	s_xor_b64 s[14:15], s[14:15], s[2:3]
	v_cvt_f32_u32_e32 v10, s14
	v_cvt_f32_u32_e32 v18, s15
	s_sub_u32 s0, 0, s14
	s_subb_u32 s3, 0, s15
	s_delay_alu instid0(VALU_DEP_1) | instskip(NEXT) | instid1(VALU_DEP_1)
	v_fmac_f32_e32 v10, 0x4f800000, v18
	v_rcp_f32_e32 v10, v10
	s_waitcnt_depctr 0xfff
	v_mul_f32_e32 v10, 0x5f7ffffc, v10
	s_delay_alu instid0(VALU_DEP_1) | instskip(NEXT) | instid1(VALU_DEP_1)
	v_mul_f32_e32 v18, 0x2f800000, v10
	v_trunc_f32_e32 v18, v18
	s_delay_alu instid0(VALU_DEP_1) | instskip(SKIP_1) | instid1(VALU_DEP_2)
	v_fmac_f32_e32 v10, 0xcf800000, v18
	v_cvt_u32_f32_e32 v18, v18
	v_cvt_u32_f32_e32 v10, v10
	s_delay_alu instid0(VALU_DEP_2) | instskip(NEXT) | instid1(VALU_DEP_2)
	v_mul_lo_u32 v19, s0, v18
	v_mul_hi_u32 v34, s0, v10
	v_mul_lo_u32 v35, s3, v10
	s_delay_alu instid0(VALU_DEP_2) | instskip(SKIP_1) | instid1(VALU_DEP_2)
	v_add_nc_u32_e32 v19, v34, v19
	v_mul_lo_u32 v34, s0, v10
	v_add_nc_u32_e32 v19, v19, v35
	s_delay_alu instid0(VALU_DEP_2) | instskip(NEXT) | instid1(VALU_DEP_2)
	v_mul_hi_u32 v35, v10, v34
	v_mul_lo_u32 v36, v10, v19
	v_mul_hi_u32 v37, v10, v19
	v_mul_hi_u32 v38, v18, v34
	v_mul_lo_u32 v34, v18, v34
	v_mul_hi_u32 v39, v18, v19
	v_mul_lo_u32 v19, v18, v19
	v_add_co_u32 v35, vcc_lo, v35, v36
	v_add_co_ci_u32_e32 v36, vcc_lo, 0, v37, vcc_lo
	s_delay_alu instid0(VALU_DEP_2) | instskip(NEXT) | instid1(VALU_DEP_2)
	v_add_co_u32 v34, vcc_lo, v35, v34
	v_add_co_ci_u32_e32 v34, vcc_lo, v36, v38, vcc_lo
	v_add_co_ci_u32_e32 v35, vcc_lo, 0, v39, vcc_lo
	v_ashrrev_i32_e32 v38, 31, v33
	s_delay_alu instid0(VALU_DEP_3) | instskip(NEXT) | instid1(VALU_DEP_3)
	v_add_co_u32 v19, vcc_lo, v34, v19
	v_add_co_ci_u32_e32 v34, vcc_lo, 0, v35, vcc_lo
	s_delay_alu instid0(VALU_DEP_2) | instskip(NEXT) | instid1(VALU_DEP_2)
	v_add_co_u32 v10, vcc_lo, v10, v19
	v_add_co_ci_u32_e32 v18, vcc_lo, v18, v34, vcc_lo
	s_delay_alu instid0(VALU_DEP_2) | instskip(SKIP_1) | instid1(VALU_DEP_3)
	v_mul_hi_u32 v19, s0, v10
	v_mul_lo_u32 v35, s3, v10
	v_mul_lo_u32 v34, s0, v18
	s_delay_alu instid0(VALU_DEP_1) | instskip(SKIP_1) | instid1(VALU_DEP_2)
	v_add_nc_u32_e32 v19, v19, v34
	v_mul_lo_u32 v34, s0, v10
	v_add_nc_u32_e32 v19, v19, v35
	s_delay_alu instid0(VALU_DEP_2) | instskip(NEXT) | instid1(VALU_DEP_2)
	v_mul_hi_u32 v35, v10, v34
	v_mul_lo_u32 v36, v10, v19
	v_mul_hi_u32 v37, v10, v19
	v_mul_hi_u32 v39, v18, v34
	v_mul_lo_u32 v34, v18, v34
	v_mul_hi_u32 v40, v18, v19
	v_mul_lo_u32 v19, v18, v19
	v_add_co_u32 v35, vcc_lo, v35, v36
	v_add_co_ci_u32_e32 v36, vcc_lo, 0, v37, vcc_lo
	s_delay_alu instid0(VALU_DEP_2) | instskip(NEXT) | instid1(VALU_DEP_2)
	v_add_co_u32 v34, vcc_lo, v35, v34
	v_add_co_ci_u32_e32 v34, vcc_lo, v36, v39, vcc_lo
	v_add_co_ci_u32_e32 v35, vcc_lo, 0, v40, vcc_lo
	v_add_co_u32 v36, vcc_lo, v32, v38
	v_add_co_ci_u32_e32 v33, vcc_lo, v33, v38, vcc_lo
	s_delay_alu instid0(VALU_DEP_4) | instskip(NEXT) | instid1(VALU_DEP_4)
	v_add_co_u32 v19, vcc_lo, v34, v19
	v_add_co_ci_u32_e32 v34, vcc_lo, 0, v35, vcc_lo
	s_delay_alu instid0(VALU_DEP_4) | instskip(NEXT) | instid1(VALU_DEP_3)
	v_xor_b32_e32 v37, v36, v38
	v_add_co_u32 v10, vcc_lo, v10, v19
	s_delay_alu instid0(VALU_DEP_3) | instskip(SKIP_1) | instid1(VALU_DEP_3)
	v_add_co_ci_u32_e32 v39, vcc_lo, v18, v34, vcc_lo
	v_xor_b32_e32 v40, v33, v38
	v_mul_hi_u32 v41, v37, v10
	s_delay_alu instid0(VALU_DEP_3) | instskip(NEXT) | instid1(VALU_DEP_3)
	v_mad_u64_u32 v[18:19], null, v37, v39, 0
	v_mad_u64_u32 v[33:34], null, v40, v10, 0
	;; [unrolled: 1-line block ×3, first 2 shown]
	s_delay_alu instid0(VALU_DEP_3) | instskip(NEXT) | instid1(VALU_DEP_4)
	v_add_co_u32 v10, vcc_lo, v41, v18
	v_add_co_ci_u32_e32 v18, vcc_lo, 0, v19, vcc_lo
	s_delay_alu instid0(VALU_DEP_2) | instskip(NEXT) | instid1(VALU_DEP_2)
	v_add_co_u32 v10, vcc_lo, v10, v33
	v_add_co_ci_u32_e32 v10, vcc_lo, v18, v34, vcc_lo
	v_add_co_ci_u32_e32 v18, vcc_lo, 0, v36, vcc_lo
	s_delay_alu instid0(VALU_DEP_2) | instskip(NEXT) | instid1(VALU_DEP_2)
	v_add_co_u32 v10, vcc_lo, v10, v35
	v_add_co_ci_u32_e32 v33, vcc_lo, 0, v18, vcc_lo
	s_delay_alu instid0(VALU_DEP_2) | instskip(SKIP_1) | instid1(VALU_DEP_3)
	v_mul_lo_u32 v34, s15, v10
	v_mad_u64_u32 v[18:19], null, s14, v10, 0
	v_mul_lo_u32 v35, s14, v33
	s_delay_alu instid0(VALU_DEP_2) | instskip(NEXT) | instid1(VALU_DEP_2)
	v_sub_co_u32 v18, vcc_lo, v37, v18
	v_add3_u32 v19, v19, v35, v34
	s_delay_alu instid0(VALU_DEP_1) | instskip(NEXT) | instid1(VALU_DEP_1)
	v_sub_nc_u32_e32 v34, v40, v19
	v_subrev_co_ci_u32_e64 v34, s0, s15, v34, vcc_lo
	v_add_co_u32 v35, s0, v10, 2
	s_delay_alu instid0(VALU_DEP_1) | instskip(SKIP_3) | instid1(VALU_DEP_3)
	v_add_co_ci_u32_e64 v36, s0, 0, v33, s0
	v_sub_co_u32 v37, s0, v18, s14
	v_sub_co_ci_u32_e32 v19, vcc_lo, v40, v19, vcc_lo
	v_subrev_co_ci_u32_e64 v34, s0, 0, v34, s0
	v_cmp_le_u32_e32 vcc_lo, s14, v37
	s_delay_alu instid0(VALU_DEP_3) | instskip(SKIP_1) | instid1(VALU_DEP_4)
	v_cmp_eq_u32_e64 s0, s15, v19
	v_cndmask_b32_e64 v37, 0, -1, vcc_lo
	v_cmp_le_u32_e32 vcc_lo, s15, v34
	v_cndmask_b32_e64 v39, 0, -1, vcc_lo
	v_cmp_le_u32_e32 vcc_lo, s14, v18
	;; [unrolled: 2-line block ×3, first 2 shown]
	v_cndmask_b32_e64 v40, 0, -1, vcc_lo
	v_cmp_eq_u32_e32 vcc_lo, s15, v34
	s_delay_alu instid0(VALU_DEP_2) | instskip(SKIP_3) | instid1(VALU_DEP_3)
	v_cndmask_b32_e64 v18, v40, v18, s0
	v_cndmask_b32_e32 v34, v39, v37, vcc_lo
	v_add_co_u32 v37, vcc_lo, v10, 1
	v_add_co_ci_u32_e32 v39, vcc_lo, 0, v33, vcc_lo
	v_cmp_ne_u32_e32 vcc_lo, 0, v34
	s_delay_alu instid0(VALU_DEP_2) | instskip(SKIP_2) | instid1(VALU_DEP_3)
	v_dual_cndmask_b32 v34, v37, v35 :: v_dual_cndmask_b32 v19, v39, v36
	v_cmp_ne_u32_e32 vcc_lo, 0, v18
	v_xor_b32_e32 v35, s2, v38
	v_cndmask_b32_e32 v10, v10, v34, vcc_lo
	s_delay_alu instid0(VALU_DEP_4) | instskip(NEXT) | instid1(VALU_DEP_2)
	v_cndmask_b32_e32 v18, v33, v19, vcc_lo
	v_xor_b32_e32 v10, v10, v35
	s_delay_alu instid0(VALU_DEP_2) | instskip(NEXT) | instid1(VALU_DEP_2)
	v_xor_b32_e32 v19, v18, v35
	v_sub_co_u32 v18, vcc_lo, v10, v35
	s_delay_alu instid0(VALU_DEP_2)
	v_sub_co_ci_u32_e32 v19, vcc_lo, v19, v35, vcc_lo
.LBB161_15:                             ;   in Loop: Header=BB161_13 Depth=2
	s_and_not1_saveexec_b32 s0, s24
	s_cbranch_execz .LBB161_17
; %bb.16:                               ;   in Loop: Header=BB161_13 Depth=2
	v_cvt_f32_u32_e32 v10, s8
	s_delay_alu instid0(VALU_DEP_1) | instskip(SKIP_2) | instid1(VALU_DEP_1)
	v_rcp_iflag_f32_e32 v10, v10
	s_waitcnt_depctr 0xfff
	v_mul_f32_e32 v10, 0x4f7ffffe, v10
	v_cvt_u32_f32_e32 v10, v10
	s_delay_alu instid0(VALU_DEP_1) | instskip(NEXT) | instid1(VALU_DEP_1)
	v_mul_lo_u32 v18, s21, v10
	v_mul_hi_u32 v18, v10, v18
	s_delay_alu instid0(VALU_DEP_1) | instskip(NEXT) | instid1(VALU_DEP_1)
	v_add_nc_u32_e32 v10, v10, v18
	v_mul_hi_u32 v10, v32, v10
	s_delay_alu instid0(VALU_DEP_1) | instskip(NEXT) | instid1(VALU_DEP_1)
	v_mul_lo_u32 v18, v10, s8
	v_sub_nc_u32_e32 v18, v32, v18
	s_delay_alu instid0(VALU_DEP_1) | instskip(SKIP_1) | instid1(VALU_DEP_2)
	v_subrev_nc_u32_e32 v33, s8, v18
	v_cmp_le_u32_e32 vcc_lo, s8, v18
	v_dual_cndmask_b32 v18, v18, v33 :: v_dual_add_nc_u32 v19, 1, v10
	s_delay_alu instid0(VALU_DEP_1) | instskip(NEXT) | instid1(VALU_DEP_2)
	v_cndmask_b32_e32 v10, v10, v19, vcc_lo
	v_cmp_le_u32_e32 vcc_lo, s8, v18
	s_delay_alu instid0(VALU_DEP_2) | instskip(NEXT) | instid1(VALU_DEP_1)
	v_add_nc_u32_e32 v19, 1, v10
	v_dual_cndmask_b32 v18, v10, v19 :: v_dual_mov_b32 v19, v9
.LBB161_17:                             ;   in Loop: Header=BB161_13 Depth=2
	s_or_b32 exec_lo, exec_lo, s0
	s_delay_alu instid0(VALU_DEP_1)
	v_cmp_eq_u64_e32 vcc_lo, v[18:19], v[13:14]
	s_mov_b32 s3, exec_lo
	v_cmpx_ne_u64_e64 v[18:19], v[13:14]
	s_xor_b32 s3, exec_lo, s3
; %bb.18:                               ;   in Loop: Header=BB161_13 Depth=2
	v_cmp_lt_i64_e64 s0, v[18:19], v[11:12]
                                        ; implicit-def: $vgpr32
                                        ; implicit-def: $vgpr6
	s_delay_alu instid0(VALU_DEP_1)
	v_cndmask_b32_e64 v12, v12, v19, s0
	v_cndmask_b32_e64 v11, v11, v18, s0
; %bb.19:                               ;   in Loop: Header=BB161_13 Depth=2
	s_or_saveexec_b32 s3, s3
	v_mov_b32_e32 v10, v15
	s_xor_b32 exec_lo, exec_lo, s3
	s_cbranch_execz .LBB161_12
; %bb.20:                               ;   in Loop: Header=BB161_13 Depth=2
	v_lshlrev_b64 v[18:19], 4, v[15:16]
	v_sub_nc_u32_e32 v10, v32, v17
	s_delay_alu instid0(VALU_DEP_1) | instskip(NEXT) | instid1(VALU_DEP_3)
	v_add_lshl_u32 v16, v21, v10, 4
	v_add_co_u32 v18, s0, s12, v18
	s_delay_alu instid0(VALU_DEP_1)
	v_add_co_ci_u32_e64 v19, s0, s13, v19, s0
	v_mov_b32_e32 v10, v6
	global_load_b128 v[33:36], v[18:19], off
	ds_store_b8 v20, v30 offset:4096
	s_waitcnt vmcnt(0)
	ds_store_2addr_b64 v16, v[33:34], v[35:36] offset1:1
	s_branch .LBB161_12
.LBB161_21:                             ;   in Loop: Header=BB161_10 Depth=1
	s_or_b32 exec_lo, exec_lo, s23
.LBB161_22:                             ;   in Loop: Header=BB161_10 Depth=1
	s_delay_alu instid0(SALU_CYCLE_1)
	s_or_b32 exec_lo, exec_lo, s22
	ds_bpermute_b32 v6, v23, v10
	s_waitcnt lgkmcnt(0)
	buffer_gl0_inv
	ds_load_u8 v13, v20 offset:4096
	v_min_i32_e32 v6, v6, v10
	ds_bpermute_b32 v10, v24, v6
	s_waitcnt lgkmcnt(0)
	v_min_i32_e32 v6, v10, v6
	ds_bpermute_b32 v10, v25, v6
	v_and_b32_e32 v6, 1, v13
	s_delay_alu instid0(VALU_DEP_1)
	v_cmp_eq_u32_e32 vcc_lo, 1, v6
	v_mov_b32_e32 v6, 0
	s_and_saveexec_b32 s0, vcc_lo
	s_cbranch_execz .LBB161_9
; %bb.23:                               ;   in Loop: Header=BB161_10 Depth=1
	v_ashrrev_i32_e32 v6, 31, v5
	v_add_nc_u32_e32 v13, s17, v31
	s_delay_alu instid0(VALU_DEP_2) | instskip(NEXT) | instid1(VALU_DEP_2)
	v_lshlrev_b64 v[15:16], 3, v[5:6]
	v_ashrrev_i32_e32 v14, 31, v13
	s_delay_alu instid0(VALU_DEP_2) | instskip(NEXT) | instid1(VALU_DEP_3)
	v_add_co_u32 v15, vcc_lo, s4, v15
	v_add_co_ci_u32_e32 v16, vcc_lo, s5, v16, vcc_lo
	global_store_b64 v[15:16], v[13:14], off
	s_and_saveexec_b32 s3, s20
	s_cbranch_execz .LBB161_8
; %bb.24:                               ;   in Loop: Header=BB161_10 Depth=1
	v_mul_lo_u32 v19, s18, v5
	v_mul_lo_u32 v6, s19, v6
	v_mad_u64_u32 v[17:18], null, s19, v5, 0
	ds_load_2addr_b64 v[13:16], v22 offset1:1
	v_add3_u32 v18, v18, v6, v19
	s_delay_alu instid0(VALU_DEP_1) | instskip(NEXT) | instid1(VALU_DEP_1)
	v_lshlrev_b64 v[17:18], 4, v[17:18]
	v_add_co_u32 v17, vcc_lo, v29, v17
	s_delay_alu instid0(VALU_DEP_2)
	v_add_co_ci_u32_e32 v18, vcc_lo, v28, v18, vcc_lo
	s_waitcnt lgkmcnt(0)
	global_store_b128 v[17:18], v[13:16], off
	s_branch .LBB161_8
.LBB161_25:
	s_endpgm
	.section	.rodata,"a",@progbits
	.p2align	6, 0x0
	.amdhsa_kernel _ZN9rocsparseL42csr2bsr_wavefront_per_row_multipass_kernelILj256ELj16ELj4E21rocsparse_complex_numIdEilEEv20rocsparse_direction_T4_S4_S4_S4_S4_21rocsparse_index_base_PKT2_PKT3_PKS4_S5_PS6_PS9_PS4_
		.amdhsa_group_segment_fixed_size 4112
		.amdhsa_private_segment_fixed_size 0
		.amdhsa_kernarg_size 112
		.amdhsa_user_sgpr_count 15
		.amdhsa_user_sgpr_dispatch_ptr 0
		.amdhsa_user_sgpr_queue_ptr 0
		.amdhsa_user_sgpr_kernarg_segment_ptr 1
		.amdhsa_user_sgpr_dispatch_id 0
		.amdhsa_user_sgpr_private_segment_size 0
		.amdhsa_wavefront_size32 1
		.amdhsa_uses_dynamic_stack 0
		.amdhsa_enable_private_segment 0
		.amdhsa_system_sgpr_workgroup_id_x 1
		.amdhsa_system_sgpr_workgroup_id_y 0
		.amdhsa_system_sgpr_workgroup_id_z 0
		.amdhsa_system_sgpr_workgroup_info 0
		.amdhsa_system_vgpr_workitem_id 0
		.amdhsa_next_free_vgpr 42
		.amdhsa_next_free_sgpr 25
		.amdhsa_reserve_vcc 1
		.amdhsa_float_round_mode_32 0
		.amdhsa_float_round_mode_16_64 0
		.amdhsa_float_denorm_mode_32 3
		.amdhsa_float_denorm_mode_16_64 3
		.amdhsa_dx10_clamp 1
		.amdhsa_ieee_mode 1
		.amdhsa_fp16_overflow 0
		.amdhsa_workgroup_processor_mode 1
		.amdhsa_memory_ordered 1
		.amdhsa_forward_progress 0
		.amdhsa_shared_vgpr_count 0
		.amdhsa_exception_fp_ieee_invalid_op 0
		.amdhsa_exception_fp_denorm_src 0
		.amdhsa_exception_fp_ieee_div_zero 0
		.amdhsa_exception_fp_ieee_overflow 0
		.amdhsa_exception_fp_ieee_underflow 0
		.amdhsa_exception_fp_ieee_inexact 0
		.amdhsa_exception_int_div_zero 0
	.end_amdhsa_kernel
	.section	.text._ZN9rocsparseL42csr2bsr_wavefront_per_row_multipass_kernelILj256ELj16ELj4E21rocsparse_complex_numIdEilEEv20rocsparse_direction_T4_S4_S4_S4_S4_21rocsparse_index_base_PKT2_PKT3_PKS4_S5_PS6_PS9_PS4_,"axG",@progbits,_ZN9rocsparseL42csr2bsr_wavefront_per_row_multipass_kernelILj256ELj16ELj4E21rocsparse_complex_numIdEilEEv20rocsparse_direction_T4_S4_S4_S4_S4_21rocsparse_index_base_PKT2_PKT3_PKS4_S5_PS6_PS9_PS4_,comdat
.Lfunc_end161:
	.size	_ZN9rocsparseL42csr2bsr_wavefront_per_row_multipass_kernelILj256ELj16ELj4E21rocsparse_complex_numIdEilEEv20rocsparse_direction_T4_S4_S4_S4_S4_21rocsparse_index_base_PKT2_PKT3_PKS4_S5_PS6_PS9_PS4_, .Lfunc_end161-_ZN9rocsparseL42csr2bsr_wavefront_per_row_multipass_kernelILj256ELj16ELj4E21rocsparse_complex_numIdEilEEv20rocsparse_direction_T4_S4_S4_S4_S4_21rocsparse_index_base_PKT2_PKT3_PKS4_S5_PS6_PS9_PS4_
                                        ; -- End function
	.section	.AMDGPU.csdata,"",@progbits
; Kernel info:
; codeLenInByte = 2568
; NumSgprs: 27
; NumVgprs: 42
; ScratchSize: 0
; MemoryBound: 0
; FloatMode: 240
; IeeeMode: 1
; LDSByteSize: 4112 bytes/workgroup (compile time only)
; SGPRBlocks: 3
; VGPRBlocks: 5
; NumSGPRsForWavesPerEU: 27
; NumVGPRsForWavesPerEU: 42
; Occupancy: 16
; WaveLimiterHint : 0
; COMPUTE_PGM_RSRC2:SCRATCH_EN: 0
; COMPUTE_PGM_RSRC2:USER_SGPR: 15
; COMPUTE_PGM_RSRC2:TRAP_HANDLER: 0
; COMPUTE_PGM_RSRC2:TGID_X_EN: 1
; COMPUTE_PGM_RSRC2:TGID_Y_EN: 0
; COMPUTE_PGM_RSRC2:TGID_Z_EN: 0
; COMPUTE_PGM_RSRC2:TIDIG_COMP_CNT: 0
	.section	.text._ZN9rocsparseL42csr2bsr_wavefront_per_row_multipass_kernelILj256ELj64ELj8E21rocsparse_complex_numIdEilEEv20rocsparse_direction_T4_S4_S4_S4_S4_21rocsparse_index_base_PKT2_PKT3_PKS4_S5_PS6_PS9_PS4_,"axG",@progbits,_ZN9rocsparseL42csr2bsr_wavefront_per_row_multipass_kernelILj256ELj64ELj8E21rocsparse_complex_numIdEilEEv20rocsparse_direction_T4_S4_S4_S4_S4_21rocsparse_index_base_PKT2_PKT3_PKS4_S5_PS6_PS9_PS4_,comdat
	.globl	_ZN9rocsparseL42csr2bsr_wavefront_per_row_multipass_kernelILj256ELj64ELj8E21rocsparse_complex_numIdEilEEv20rocsparse_direction_T4_S4_S4_S4_S4_21rocsparse_index_base_PKT2_PKT3_PKS4_S5_PS6_PS9_PS4_ ; -- Begin function _ZN9rocsparseL42csr2bsr_wavefront_per_row_multipass_kernelILj256ELj64ELj8E21rocsparse_complex_numIdEilEEv20rocsparse_direction_T4_S4_S4_S4_S4_21rocsparse_index_base_PKT2_PKT3_PKS4_S5_PS6_PS9_PS4_
	.p2align	8
	.type	_ZN9rocsparseL42csr2bsr_wavefront_per_row_multipass_kernelILj256ELj64ELj8E21rocsparse_complex_numIdEilEEv20rocsparse_direction_T4_S4_S4_S4_S4_21rocsparse_index_base_PKT2_PKT3_PKS4_S5_PS6_PS9_PS4_,@function
_ZN9rocsparseL42csr2bsr_wavefront_per_row_multipass_kernelILj256ELj64ELj8E21rocsparse_complex_numIdEilEEv20rocsparse_direction_T4_S4_S4_S4_S4_21rocsparse_index_base_PKT2_PKT3_PKS4_S5_PS6_PS9_PS4_: ; @_ZN9rocsparseL42csr2bsr_wavefront_per_row_multipass_kernelILj256ELj64ELj8E21rocsparse_complex_numIdEilEEv20rocsparse_direction_T4_S4_S4_S4_S4_21rocsparse_index_base_PKT2_PKT3_PKS4_S5_PS6_PS9_PS4_
; %bb.0:
	s_load_b64 s[8:9], s[0:1], 0x28
	v_lshrrev_b32_e32 v20, 6, v0
	s_mov_b32 s10, s15
	s_ashr_i32 s11, s15, 31
	s_clause 0x1
	s_load_b64 s[14:15], s[0:1], 0x8
	s_load_b128 s[4:7], s[0:1], 0x18
	s_lshl_b64 s[2:3], s[10:11], 2
	v_mov_b32_e32 v4, 0
	v_or_b32_e32 v5, s2, v20
	v_bfe_u32 v3, v0, 3, 3
	s_clause 0x1
	s_load_b32 s16, s[0:1], 0x30
	s_load_b64 s[12:13], s[0:1], 0x40
	v_mov_b32_e32 v10, v4
	s_waitcnt lgkmcnt(0)
	v_mul_lo_u32 v6, v5, s9
	v_mad_u64_u32 v[1:2], null, v5, s8, v[3:4]
	s_mul_i32 s2, s3, s8
	s_delay_alu instid0(VALU_DEP_1) | instid1(SALU_CYCLE_1)
	v_add3_u32 v2, s2, v2, v6
	v_cmp_gt_i64_e64 s2, s[8:9], v[3:4]
	s_delay_alu instid0(VALU_DEP_2) | instskip(NEXT) | instid1(VALU_DEP_2)
	v_cmp_gt_i64_e32 vcc_lo, s[14:15], v[1:2]
	s_and_b32 s3, s2, vcc_lo
	s_delay_alu instid0(SALU_CYCLE_1)
	s_and_saveexec_b32 s11, s3
	s_cbranch_execz .LBB162_2
; %bb.1:
	v_lshlrev_b64 v[5:6], 2, v[1:2]
	s_delay_alu instid0(VALU_DEP_1) | instskip(NEXT) | instid1(VALU_DEP_2)
	v_add_co_u32 v5, vcc_lo, s12, v5
	v_add_co_ci_u32_e32 v6, vcc_lo, s13, v6, vcc_lo
	global_load_b32 v5, v[5:6], off
	s_waitcnt vmcnt(0)
	v_subrev_nc_u32_e32 v10, s16, v5
.LBB162_2:
	s_or_b32 exec_lo, exec_lo, s11
	s_and_saveexec_b32 s11, s3
	s_cbranch_execz .LBB162_4
; %bb.3:
	v_lshlrev_b64 v[1:2], 2, v[1:2]
	s_delay_alu instid0(VALU_DEP_1) | instskip(NEXT) | instid1(VALU_DEP_2)
	v_add_co_u32 v1, vcc_lo, s12, v1
	v_add_co_ci_u32_e32 v2, vcc_lo, s13, v2, vcc_lo
	global_load_b32 v1, v[1:2], off offset:4
	s_waitcnt vmcnt(0)
	v_subrev_nc_u32_e32 v4, s16, v1
.LBB162_4:
	s_or_b32 exec_lo, exec_lo, s11
	s_load_b32 s17, s[0:1], 0x50
	v_mov_b32_e32 v2, 0
	v_lshl_or_b32 v1, s10, 2, v20
	s_mov_b32 s3, exec_lo
	s_delay_alu instid0(VALU_DEP_2) | instskip(NEXT) | instid1(VALU_DEP_2)
	v_mov_b32_e32 v5, v2
	v_cmpx_gt_i64_e64 s[4:5], v[1:2]
	s_cbranch_execz .LBB162_6
; %bb.5:
	s_load_b64 s[4:5], s[0:1], 0x60
	v_lshlrev_b64 v[1:2], 2, v[1:2]
	s_waitcnt lgkmcnt(0)
	s_delay_alu instid0(VALU_DEP_1) | instskip(NEXT) | instid1(VALU_DEP_2)
	v_add_co_u32 v1, vcc_lo, s4, v1
	v_add_co_ci_u32_e32 v2, vcc_lo, s5, v2, vcc_lo
	global_load_b32 v1, v[1:2], off
	s_waitcnt vmcnt(0)
	v_subrev_nc_u32_e32 v5, s17, v1
.LBB162_6:
	s_or_b32 exec_lo, exec_lo, s3
	v_cmp_lt_i64_e64 s3, s[6:7], 1
	s_delay_alu instid0(VALU_DEP_1)
	s_and_b32 vcc_lo, exec_lo, s3
	s_cbranch_vccnz .LBB162_25
; %bb.7:
	v_and_b32_e32 v1, 0x3c0, v0
	v_mbcnt_lo_u32_b32 v2, -1, 0
	v_and_b32_e32 v7, 7, v0
	v_mad_u64_u32 v[11:12], null, v3, s8, 0
	s_delay_alu instid0(VALU_DEP_4) | instskip(NEXT) | instid1(VALU_DEP_4)
	v_lshl_or_b32 v21, v3, 3, v1
	v_xor_b32_e32 v8, 4, v2
	s_delay_alu instid0(VALU_DEP_4) | instskip(SKIP_1) | instid1(VALU_DEP_4)
	v_mad_u64_u32 v[0:1], null, v7, s8, 0
	v_xor_b32_e32 v13, 2, v2
	v_or_b32_e32 v6, v21, v7
	s_delay_alu instid0(VALU_DEP_4)
	v_cmp_gt_i32_e32 vcc_lo, 32, v8
	s_clause 0x4
	s_load_b64 s[4:5], s[0:1], 0x68
	s_load_b64 s[14:15], s[0:1], 0x58
	s_load_b64 s[10:11], s[0:1], 0x48
	s_load_b64 s[12:13], s[0:1], 0x38
	s_load_b32 s0, s[0:1], 0x0
	v_xor_b32_e32 v14, 1, v2
	v_lshlrev_b32_e32 v22, 4, v6
	v_cndmask_b32_e32 v6, v2, v8, vcc_lo
	v_mad_u64_u32 v[8:9], null, v7, s9, v[1:2]
	v_mov_b32_e32 v9, 0
	v_mov_b32_e32 v1, v12
	v_cmp_gt_i32_e32 vcc_lo, 32, v13
	v_dual_mov_b32 v32, 1 :: v_dual_lshlrev_b32 v23, 2, v6
	s_mul_i32 s3, s8, s9
	s_mul_hi_u32 s1, s8, s8
	v_cndmask_b32_e32 v15, v2, v13, vcc_lo
	v_mad_u64_u32 v[12:13], null, v3, s9, v[1:2]
	v_mov_b32_e32 v1, v8
	v_cmp_gt_i32_e32 vcc_lo, 32, v14
	v_dual_mov_b32 v8, v9 :: v_dual_lshlrev_b32 v3, 4, v3
	s_waitcnt lgkmcnt(0)
	s_cmp_eq_u32 s0, 0
	v_lshlrev_b64 v[0:1], 4, v[0:1]
	v_lshlrev_b64 v[11:12], 4, v[11:12]
	v_cndmask_b32_e32 v13, v2, v14, vcc_lo
	v_lshl_or_b32 v26, v2, 2, 28
	v_bfrev_b32_e32 v29, 0.5
	v_mov_b32_e32 v33, 0
	v_add_co_u32 v0, s0, s14, v0
	s_delay_alu instid0(VALU_DEP_1)
	v_add_co_ci_u32_e64 v1, s0, s15, v1, s0
	v_lshlrev_b32_e32 v25, 2, v13
	v_add_co_u32 v6, s0, s14, v11
	v_mov_b32_e32 v13, 0
	v_dual_mov_b32 v14, 0 :: v_dual_lshlrev_b32 v11, 4, v7
	v_cmp_gt_u64_e32 vcc_lo, s[8:9], v[7:8]
	v_add_co_ci_u32_e64 v8, s0, s15, v12, s0
	v_add_co_u32 v0, s0, v0, v3
	s_delay_alu instid0(VALU_DEP_1) | instskip(SKIP_1) | instid1(VALU_DEP_1)
	v_add_co_ci_u32_e64 v1, s0, 0, v1, s0
	v_add_co_u32 v3, s0, v6, v11
	v_add_co_ci_u32_e64 v6, s0, 0, v8, s0
	v_or_b32_e32 v8, 32, v2
	s_cselect_b32 s0, -1, 0
	v_xor_b32_e32 v11, 16, v2
	s_add_i32 s14, s1, s3
	v_xor_b32_e32 v12, 8, v2
	v_cmp_gt_i32_e64 s1, 32, v8
	v_cndmask_b32_e64 v30, v1, v6, s0
	v_cndmask_b32_e64 v31, v0, v3, s0
	v_dual_mov_b32 v0, 0 :: v_dual_mov_b32 v1, v9
	s_delay_alu instid0(VALU_DEP_4)
	v_cndmask_b32_e64 v8, v2, v8, s1
	v_cmp_gt_i32_e64 s1, 32, v11
	v_mov_b32_e32 v3, v9
	s_mov_b32 s18, 0
	s_mul_i32 s19, s8, s8
	v_lshlrev_b32_e32 v8, 2, v8
	v_cndmask_b32_e64 v11, v2, v11, s1
	v_cmp_gt_i32_e64 s1, 32, v12
	v_lshlrev_b32_e32 v24, 2, v15
	s_and_b32 s20, s2, vcc_lo
	s_ashr_i32 s2, s9, 31
	v_lshlrev_b32_e32 v27, 2, v11
	v_cndmask_b32_e64 v2, v2, v12, s1
	s_add_i32 s1, s14, s3
	s_sub_i32 s21, 0, s8
	s_delay_alu instid0(VALU_DEP_1)
	v_lshlrev_b32_e32 v28, 2, v2
	v_mov_b32_e32 v2, v9
	s_branch .LBB162_10
.LBB162_8:                              ;   in Loop: Header=BB162_10 Depth=1
	s_or_b32 exec_lo, exec_lo, s3
	v_mov_b32_e32 v6, 1
.LBB162_9:                              ;   in Loop: Header=BB162_10 Depth=1
	s_or_b32 exec_lo, exec_lo, s0
	ds_bpermute_b32 v13, v8, v11
	ds_bpermute_b32 v14, v8, v12
	v_add_nc_u32_e32 v5, v6, v5
	s_waitcnt lgkmcnt(0)
	s_waitcnt_vscnt null, 0x0
	buffer_gl0_inv
	buffer_gl0_inv
	v_cmp_lt_i64_e32 vcc_lo, v[13:14], v[11:12]
	v_dual_cndmask_b32 v12, v12, v14 :: v_dual_cndmask_b32 v11, v11, v13
	ds_bpermute_b32 v14, v27, v12
	ds_bpermute_b32 v13, v27, v11
	s_waitcnt lgkmcnt(0)
	v_cmp_lt_i64_e32 vcc_lo, v[13:14], v[11:12]
	v_dual_cndmask_b32 v12, v12, v14 :: v_dual_cndmask_b32 v11, v11, v13
	ds_bpermute_b32 v14, v28, v12
	ds_bpermute_b32 v13, v28, v11
	s_waitcnt lgkmcnt(0)
	;; [unrolled: 5-line block ×5, first 2 shown]
	v_cmp_lt_i64_e32 vcc_lo, v[13:14], v[11:12]
	v_cndmask_b32_e32 v11, v11, v13, vcc_lo
	ds_bpermute_b32 v13, v29, v11
	s_waitcnt lgkmcnt(0)
	v_ashrrev_i32_e32 v14, 31, v13
	v_mov_b32_e32 v33, v13
	s_delay_alu instid0(VALU_DEP_2) | instskip(SKIP_1) | instid1(SALU_CYCLE_1)
	v_cmp_le_i64_e32 vcc_lo, s[6:7], v[13:14]
	s_or_b32 s18, vcc_lo, s18
	s_and_not1_b32 exec_lo, exec_lo, s18
	s_cbranch_execz .LBB162_25
.LBB162_10:                             ; =>This Loop Header: Depth=1
                                        ;     Child Loop BB162_13 Depth 2
	v_dual_mov_b32 v12, s7 :: v_dual_add_nc_u32 v15, v10, v7
	v_dual_mov_b32 v11, s6 :: v_dual_mov_b32 v10, v4
	s_mov_b32 s22, exec_lo
	ds_store_b8 v20, v9 offset:4096
	ds_store_b128 v22, v[0:3]
	s_waitcnt lgkmcnt(0)
	buffer_gl0_inv
	v_cmpx_lt_i32_e64 v15, v4
	s_cbranch_execz .LBB162_22
; %bb.11:                               ;   in Loop: Header=BB162_10 Depth=1
	v_mad_u64_u32 v[17:18], null, v13, s8, 0
	v_dual_mov_b32 v12, s7 :: v_dual_mov_b32 v11, s6
	v_mov_b32_e32 v6, v4
	s_mov_b32 s23, 0
	s_branch .LBB162_13
.LBB162_12:                             ;   in Loop: Header=BB162_13 Depth=2
	s_or_b32 exec_lo, exec_lo, s3
	s_delay_alu instid0(VALU_DEP_1) | instskip(SKIP_1) | instid1(VALU_DEP_1)
	v_dual_mov_b32 v6, v10 :: v_dual_add_nc_u32 v15, 8, v15
	s_xor_b32 s3, vcc_lo, -1
	v_cmp_ge_i32_e64 s0, v15, v4
	s_delay_alu instid0(VALU_DEP_1) | instskip(NEXT) | instid1(SALU_CYCLE_1)
	s_or_b32 s0, s3, s0
	s_and_b32 s0, exec_lo, s0
	s_delay_alu instid0(SALU_CYCLE_1) | instskip(NEXT) | instid1(SALU_CYCLE_1)
	s_or_b32 s23, s0, s23
	s_and_not1_b32 exec_lo, exec_lo, s23
	s_cbranch_execz .LBB162_21
.LBB162_13:                             ;   Parent Loop BB162_10 Depth=1
                                        ; =>  This Inner Loop Header: Depth=2
	v_ashrrev_i32_e32 v16, 31, v15
	s_mov_b32 s0, exec_lo
	s_delay_alu instid0(VALU_DEP_1) | instskip(NEXT) | instid1(VALU_DEP_1)
	v_lshlrev_b64 v[18:19], 3, v[15:16]
	v_add_co_u32 v18, vcc_lo, s10, v18
	s_delay_alu instid0(VALU_DEP_2) | instskip(SKIP_4) | instid1(VALU_DEP_1)
	v_add_co_ci_u32_e32 v19, vcc_lo, s11, v19, vcc_lo
	global_load_b64 v[18:19], v[18:19], off
	s_waitcnt vmcnt(0)
	v_sub_co_u32 v34, vcc_lo, v18, s16
	v_subrev_co_ci_u32_e32 v35, vcc_lo, 0, v19, vcc_lo
                                        ; implicit-def: $vgpr18_vgpr19
	v_or_b32_e32 v10, s9, v35
	s_delay_alu instid0(VALU_DEP_1)
	v_cmpx_ne_u64_e32 0, v[9:10]
	s_xor_b32 s24, exec_lo, s0
	s_cbranch_execz .LBB162_15
; %bb.14:                               ;   in Loop: Header=BB162_13 Depth=2
	s_add_u32 s14, s8, s2
	s_mov_b32 s3, s2
	s_addc_u32 s15, s9, s2
	s_delay_alu instid0(SALU_CYCLE_1) | instskip(NEXT) | instid1(SALU_CYCLE_1)
	s_xor_b64 s[14:15], s[14:15], s[2:3]
	v_cvt_f32_u32_e32 v10, s14
	v_cvt_f32_u32_e32 v18, s15
	s_sub_u32 s0, 0, s14
	s_subb_u32 s3, 0, s15
	s_delay_alu instid0(VALU_DEP_1) | instskip(NEXT) | instid1(VALU_DEP_1)
	v_fmac_f32_e32 v10, 0x4f800000, v18
	v_rcp_f32_e32 v10, v10
	s_waitcnt_depctr 0xfff
	v_mul_f32_e32 v10, 0x5f7ffffc, v10
	s_delay_alu instid0(VALU_DEP_1) | instskip(NEXT) | instid1(VALU_DEP_1)
	v_mul_f32_e32 v18, 0x2f800000, v10
	v_trunc_f32_e32 v18, v18
	s_delay_alu instid0(VALU_DEP_1) | instskip(SKIP_1) | instid1(VALU_DEP_2)
	v_fmac_f32_e32 v10, 0xcf800000, v18
	v_cvt_u32_f32_e32 v18, v18
	v_cvt_u32_f32_e32 v10, v10
	s_delay_alu instid0(VALU_DEP_2) | instskip(NEXT) | instid1(VALU_DEP_2)
	v_mul_lo_u32 v19, s0, v18
	v_mul_hi_u32 v36, s0, v10
	v_mul_lo_u32 v37, s3, v10
	s_delay_alu instid0(VALU_DEP_2) | instskip(SKIP_1) | instid1(VALU_DEP_2)
	v_add_nc_u32_e32 v19, v36, v19
	v_mul_lo_u32 v36, s0, v10
	v_add_nc_u32_e32 v19, v19, v37
	s_delay_alu instid0(VALU_DEP_2) | instskip(NEXT) | instid1(VALU_DEP_2)
	v_mul_hi_u32 v37, v10, v36
	v_mul_lo_u32 v38, v10, v19
	v_mul_hi_u32 v39, v10, v19
	v_mul_hi_u32 v40, v18, v36
	v_mul_lo_u32 v36, v18, v36
	v_mul_hi_u32 v41, v18, v19
	v_mul_lo_u32 v19, v18, v19
	v_add_co_u32 v37, vcc_lo, v37, v38
	v_add_co_ci_u32_e32 v38, vcc_lo, 0, v39, vcc_lo
	s_delay_alu instid0(VALU_DEP_2) | instskip(NEXT) | instid1(VALU_DEP_2)
	v_add_co_u32 v36, vcc_lo, v37, v36
	v_add_co_ci_u32_e32 v36, vcc_lo, v38, v40, vcc_lo
	v_add_co_ci_u32_e32 v37, vcc_lo, 0, v41, vcc_lo
	v_ashrrev_i32_e32 v40, 31, v35
	s_delay_alu instid0(VALU_DEP_3) | instskip(NEXT) | instid1(VALU_DEP_3)
	v_add_co_u32 v19, vcc_lo, v36, v19
	v_add_co_ci_u32_e32 v36, vcc_lo, 0, v37, vcc_lo
	s_delay_alu instid0(VALU_DEP_2) | instskip(NEXT) | instid1(VALU_DEP_2)
	v_add_co_u32 v10, vcc_lo, v10, v19
	v_add_co_ci_u32_e32 v18, vcc_lo, v18, v36, vcc_lo
	s_delay_alu instid0(VALU_DEP_2) | instskip(SKIP_1) | instid1(VALU_DEP_3)
	v_mul_hi_u32 v19, s0, v10
	v_mul_lo_u32 v37, s3, v10
	v_mul_lo_u32 v36, s0, v18
	s_delay_alu instid0(VALU_DEP_1) | instskip(SKIP_1) | instid1(VALU_DEP_2)
	v_add_nc_u32_e32 v19, v19, v36
	v_mul_lo_u32 v36, s0, v10
	v_add_nc_u32_e32 v19, v19, v37
	s_delay_alu instid0(VALU_DEP_2) | instskip(NEXT) | instid1(VALU_DEP_2)
	v_mul_hi_u32 v37, v10, v36
	v_mul_lo_u32 v38, v10, v19
	v_mul_hi_u32 v39, v10, v19
	v_mul_hi_u32 v41, v18, v36
	v_mul_lo_u32 v36, v18, v36
	v_mul_hi_u32 v42, v18, v19
	v_mul_lo_u32 v19, v18, v19
	v_add_co_u32 v37, vcc_lo, v37, v38
	v_add_co_ci_u32_e32 v38, vcc_lo, 0, v39, vcc_lo
	s_delay_alu instid0(VALU_DEP_2) | instskip(NEXT) | instid1(VALU_DEP_2)
	v_add_co_u32 v36, vcc_lo, v37, v36
	v_add_co_ci_u32_e32 v36, vcc_lo, v38, v41, vcc_lo
	v_add_co_ci_u32_e32 v37, vcc_lo, 0, v42, vcc_lo
	v_add_co_u32 v38, vcc_lo, v34, v40
	v_add_co_ci_u32_e32 v35, vcc_lo, v35, v40, vcc_lo
	s_delay_alu instid0(VALU_DEP_4) | instskip(NEXT) | instid1(VALU_DEP_4)
	v_add_co_u32 v19, vcc_lo, v36, v19
	v_add_co_ci_u32_e32 v36, vcc_lo, 0, v37, vcc_lo
	s_delay_alu instid0(VALU_DEP_4) | instskip(NEXT) | instid1(VALU_DEP_3)
	v_xor_b32_e32 v39, v38, v40
	v_add_co_u32 v10, vcc_lo, v10, v19
	s_delay_alu instid0(VALU_DEP_3) | instskip(SKIP_1) | instid1(VALU_DEP_3)
	v_add_co_ci_u32_e32 v41, vcc_lo, v18, v36, vcc_lo
	v_xor_b32_e32 v42, v35, v40
	v_mul_hi_u32 v43, v39, v10
	s_delay_alu instid0(VALU_DEP_3) | instskip(NEXT) | instid1(VALU_DEP_3)
	v_mad_u64_u32 v[18:19], null, v39, v41, 0
	v_mad_u64_u32 v[35:36], null, v42, v10, 0
	;; [unrolled: 1-line block ×3, first 2 shown]
	s_delay_alu instid0(VALU_DEP_3) | instskip(NEXT) | instid1(VALU_DEP_4)
	v_add_co_u32 v10, vcc_lo, v43, v18
	v_add_co_ci_u32_e32 v18, vcc_lo, 0, v19, vcc_lo
	s_delay_alu instid0(VALU_DEP_2) | instskip(NEXT) | instid1(VALU_DEP_2)
	v_add_co_u32 v10, vcc_lo, v10, v35
	v_add_co_ci_u32_e32 v10, vcc_lo, v18, v36, vcc_lo
	v_add_co_ci_u32_e32 v18, vcc_lo, 0, v38, vcc_lo
	s_delay_alu instid0(VALU_DEP_2) | instskip(NEXT) | instid1(VALU_DEP_2)
	v_add_co_u32 v10, vcc_lo, v10, v37
	v_add_co_ci_u32_e32 v35, vcc_lo, 0, v18, vcc_lo
	s_delay_alu instid0(VALU_DEP_2) | instskip(SKIP_1) | instid1(VALU_DEP_3)
	v_mul_lo_u32 v36, s15, v10
	v_mad_u64_u32 v[18:19], null, s14, v10, 0
	v_mul_lo_u32 v37, s14, v35
	s_delay_alu instid0(VALU_DEP_2) | instskip(NEXT) | instid1(VALU_DEP_2)
	v_sub_co_u32 v18, vcc_lo, v39, v18
	v_add3_u32 v19, v19, v37, v36
	s_delay_alu instid0(VALU_DEP_1) | instskip(NEXT) | instid1(VALU_DEP_1)
	v_sub_nc_u32_e32 v36, v42, v19
	v_subrev_co_ci_u32_e64 v36, s0, s15, v36, vcc_lo
	v_add_co_u32 v37, s0, v10, 2
	s_delay_alu instid0(VALU_DEP_1) | instskip(SKIP_3) | instid1(VALU_DEP_3)
	v_add_co_ci_u32_e64 v38, s0, 0, v35, s0
	v_sub_co_u32 v39, s0, v18, s14
	v_sub_co_ci_u32_e32 v19, vcc_lo, v42, v19, vcc_lo
	v_subrev_co_ci_u32_e64 v36, s0, 0, v36, s0
	v_cmp_le_u32_e32 vcc_lo, s14, v39
	s_delay_alu instid0(VALU_DEP_3) | instskip(SKIP_1) | instid1(VALU_DEP_4)
	v_cmp_eq_u32_e64 s0, s15, v19
	v_cndmask_b32_e64 v39, 0, -1, vcc_lo
	v_cmp_le_u32_e32 vcc_lo, s15, v36
	v_cndmask_b32_e64 v41, 0, -1, vcc_lo
	v_cmp_le_u32_e32 vcc_lo, s14, v18
	;; [unrolled: 2-line block ×3, first 2 shown]
	v_cndmask_b32_e64 v42, 0, -1, vcc_lo
	v_cmp_eq_u32_e32 vcc_lo, s15, v36
	s_delay_alu instid0(VALU_DEP_2) | instskip(SKIP_3) | instid1(VALU_DEP_3)
	v_cndmask_b32_e64 v18, v42, v18, s0
	v_cndmask_b32_e32 v36, v41, v39, vcc_lo
	v_add_co_u32 v39, vcc_lo, v10, 1
	v_add_co_ci_u32_e32 v41, vcc_lo, 0, v35, vcc_lo
	v_cmp_ne_u32_e32 vcc_lo, 0, v36
	s_delay_alu instid0(VALU_DEP_2) | instskip(SKIP_2) | instid1(VALU_DEP_3)
	v_dual_cndmask_b32 v19, v41, v38 :: v_dual_cndmask_b32 v36, v39, v37
	v_cmp_ne_u32_e32 vcc_lo, 0, v18
	v_xor_b32_e32 v37, s2, v40
	v_cndmask_b32_e32 v10, v10, v36, vcc_lo
	s_delay_alu instid0(VALU_DEP_4) | instskip(NEXT) | instid1(VALU_DEP_2)
	v_cndmask_b32_e32 v18, v35, v19, vcc_lo
	v_xor_b32_e32 v10, v10, v37
	s_delay_alu instid0(VALU_DEP_2) | instskip(NEXT) | instid1(VALU_DEP_2)
	v_xor_b32_e32 v19, v18, v37
	v_sub_co_u32 v18, vcc_lo, v10, v37
	s_delay_alu instid0(VALU_DEP_2)
	v_sub_co_ci_u32_e32 v19, vcc_lo, v19, v37, vcc_lo
.LBB162_15:                             ;   in Loop: Header=BB162_13 Depth=2
	s_and_not1_saveexec_b32 s0, s24
	s_cbranch_execz .LBB162_17
; %bb.16:                               ;   in Loop: Header=BB162_13 Depth=2
	v_cvt_f32_u32_e32 v10, s8
	s_delay_alu instid0(VALU_DEP_1) | instskip(SKIP_2) | instid1(VALU_DEP_1)
	v_rcp_iflag_f32_e32 v10, v10
	s_waitcnt_depctr 0xfff
	v_mul_f32_e32 v10, 0x4f7ffffe, v10
	v_cvt_u32_f32_e32 v10, v10
	s_delay_alu instid0(VALU_DEP_1) | instskip(NEXT) | instid1(VALU_DEP_1)
	v_mul_lo_u32 v18, s21, v10
	v_mul_hi_u32 v18, v10, v18
	s_delay_alu instid0(VALU_DEP_1) | instskip(NEXT) | instid1(VALU_DEP_1)
	v_add_nc_u32_e32 v10, v10, v18
	v_mul_hi_u32 v10, v34, v10
	s_delay_alu instid0(VALU_DEP_1) | instskip(NEXT) | instid1(VALU_DEP_1)
	v_mul_lo_u32 v18, v10, s8
	v_sub_nc_u32_e32 v18, v34, v18
	s_delay_alu instid0(VALU_DEP_1) | instskip(SKIP_1) | instid1(VALU_DEP_2)
	v_subrev_nc_u32_e32 v35, s8, v18
	v_cmp_le_u32_e32 vcc_lo, s8, v18
	v_dual_cndmask_b32 v18, v18, v35 :: v_dual_add_nc_u32 v19, 1, v10
	s_delay_alu instid0(VALU_DEP_1) | instskip(NEXT) | instid1(VALU_DEP_2)
	v_cndmask_b32_e32 v10, v10, v19, vcc_lo
	v_cmp_le_u32_e32 vcc_lo, s8, v18
	s_delay_alu instid0(VALU_DEP_2) | instskip(NEXT) | instid1(VALU_DEP_1)
	v_add_nc_u32_e32 v19, 1, v10
	v_dual_cndmask_b32 v18, v10, v19 :: v_dual_mov_b32 v19, v9
.LBB162_17:                             ;   in Loop: Header=BB162_13 Depth=2
	s_or_b32 exec_lo, exec_lo, s0
	s_delay_alu instid0(VALU_DEP_1)
	v_cmp_eq_u64_e32 vcc_lo, v[18:19], v[13:14]
	s_mov_b32 s3, exec_lo
	v_cmpx_ne_u64_e64 v[18:19], v[13:14]
	s_xor_b32 s3, exec_lo, s3
; %bb.18:                               ;   in Loop: Header=BB162_13 Depth=2
	v_cmp_lt_i64_e64 s0, v[18:19], v[11:12]
                                        ; implicit-def: $vgpr34
                                        ; implicit-def: $vgpr6
	s_delay_alu instid0(VALU_DEP_1)
	v_cndmask_b32_e64 v12, v12, v19, s0
	v_cndmask_b32_e64 v11, v11, v18, s0
; %bb.19:                               ;   in Loop: Header=BB162_13 Depth=2
	s_or_saveexec_b32 s3, s3
	v_mov_b32_e32 v10, v15
	s_xor_b32 exec_lo, exec_lo, s3
	s_cbranch_execz .LBB162_12
; %bb.20:                               ;   in Loop: Header=BB162_13 Depth=2
	v_lshlrev_b64 v[18:19], 4, v[15:16]
	v_sub_nc_u32_e32 v10, v34, v17
	s_delay_alu instid0(VALU_DEP_1) | instskip(NEXT) | instid1(VALU_DEP_3)
	v_add_lshl_u32 v16, v21, v10, 4
	v_add_co_u32 v18, s0, s12, v18
	s_delay_alu instid0(VALU_DEP_1)
	v_add_co_ci_u32_e64 v19, s0, s13, v19, s0
	v_mov_b32_e32 v10, v6
	global_load_b128 v[35:38], v[18:19], off
	ds_store_b8 v20, v32 offset:4096
	s_waitcnt vmcnt(0)
	ds_store_2addr_b64 v16, v[35:36], v[37:38] offset1:1
	s_branch .LBB162_12
.LBB162_21:                             ;   in Loop: Header=BB162_10 Depth=1
	s_or_b32 exec_lo, exec_lo, s23
.LBB162_22:                             ;   in Loop: Header=BB162_10 Depth=1
	s_delay_alu instid0(SALU_CYCLE_1)
	s_or_b32 exec_lo, exec_lo, s22
	ds_bpermute_b32 v6, v23, v10
	s_waitcnt lgkmcnt(0)
	buffer_gl0_inv
	ds_load_u8 v13, v20 offset:4096
	v_min_i32_e32 v6, v6, v10
	ds_bpermute_b32 v10, v24, v6
	s_waitcnt lgkmcnt(0)
	v_min_i32_e32 v6, v10, v6
	ds_bpermute_b32 v10, v25, v6
	s_waitcnt lgkmcnt(0)
	v_min_i32_e32 v6, v10, v6
	ds_bpermute_b32 v10, v26, v6
	v_and_b32_e32 v6, 1, v13
	s_delay_alu instid0(VALU_DEP_1)
	v_cmp_eq_u32_e32 vcc_lo, 1, v6
	v_mov_b32_e32 v6, 0
	s_and_saveexec_b32 s0, vcc_lo
	s_cbranch_execz .LBB162_9
; %bb.23:                               ;   in Loop: Header=BB162_10 Depth=1
	v_ashrrev_i32_e32 v6, 31, v5
	v_add_nc_u32_e32 v13, s17, v33
	s_delay_alu instid0(VALU_DEP_2) | instskip(NEXT) | instid1(VALU_DEP_2)
	v_lshlrev_b64 v[15:16], 3, v[5:6]
	v_ashrrev_i32_e32 v14, 31, v13
	s_delay_alu instid0(VALU_DEP_2) | instskip(NEXT) | instid1(VALU_DEP_3)
	v_add_co_u32 v15, vcc_lo, s4, v15
	v_add_co_ci_u32_e32 v16, vcc_lo, s5, v16, vcc_lo
	global_store_b64 v[15:16], v[13:14], off
	s_and_saveexec_b32 s3, s20
	s_cbranch_execz .LBB162_8
; %bb.24:                               ;   in Loop: Header=BB162_10 Depth=1
	v_mul_lo_u32 v19, s1, v5
	v_mul_lo_u32 v6, s19, v6
	v_mad_u64_u32 v[17:18], null, s19, v5, 0
	ds_load_2addr_b64 v[13:16], v22 offset1:1
	v_add3_u32 v18, v18, v6, v19
	s_delay_alu instid0(VALU_DEP_1) | instskip(NEXT) | instid1(VALU_DEP_1)
	v_lshlrev_b64 v[17:18], 4, v[17:18]
	v_add_co_u32 v17, vcc_lo, v31, v17
	s_delay_alu instid0(VALU_DEP_2)
	v_add_co_ci_u32_e32 v18, vcc_lo, v30, v18, vcc_lo
	s_waitcnt lgkmcnt(0)
	global_store_b128 v[17:18], v[13:16], off
	s_branch .LBB162_8
.LBB162_25:
	s_endpgm
	.section	.rodata,"a",@progbits
	.p2align	6, 0x0
	.amdhsa_kernel _ZN9rocsparseL42csr2bsr_wavefront_per_row_multipass_kernelILj256ELj64ELj8E21rocsparse_complex_numIdEilEEv20rocsparse_direction_T4_S4_S4_S4_S4_21rocsparse_index_base_PKT2_PKT3_PKS4_S5_PS6_PS9_PS4_
		.amdhsa_group_segment_fixed_size 4104
		.amdhsa_private_segment_fixed_size 0
		.amdhsa_kernarg_size 112
		.amdhsa_user_sgpr_count 15
		.amdhsa_user_sgpr_dispatch_ptr 0
		.amdhsa_user_sgpr_queue_ptr 0
		.amdhsa_user_sgpr_kernarg_segment_ptr 1
		.amdhsa_user_sgpr_dispatch_id 0
		.amdhsa_user_sgpr_private_segment_size 0
		.amdhsa_wavefront_size32 1
		.amdhsa_uses_dynamic_stack 0
		.amdhsa_enable_private_segment 0
		.amdhsa_system_sgpr_workgroup_id_x 1
		.amdhsa_system_sgpr_workgroup_id_y 0
		.amdhsa_system_sgpr_workgroup_id_z 0
		.amdhsa_system_sgpr_workgroup_info 0
		.amdhsa_system_vgpr_workitem_id 0
		.amdhsa_next_free_vgpr 44
		.amdhsa_next_free_sgpr 25
		.amdhsa_reserve_vcc 1
		.amdhsa_float_round_mode_32 0
		.amdhsa_float_round_mode_16_64 0
		.amdhsa_float_denorm_mode_32 3
		.amdhsa_float_denorm_mode_16_64 3
		.amdhsa_dx10_clamp 1
		.amdhsa_ieee_mode 1
		.amdhsa_fp16_overflow 0
		.amdhsa_workgroup_processor_mode 1
		.amdhsa_memory_ordered 1
		.amdhsa_forward_progress 0
		.amdhsa_shared_vgpr_count 0
		.amdhsa_exception_fp_ieee_invalid_op 0
		.amdhsa_exception_fp_denorm_src 0
		.amdhsa_exception_fp_ieee_div_zero 0
		.amdhsa_exception_fp_ieee_overflow 0
		.amdhsa_exception_fp_ieee_underflow 0
		.amdhsa_exception_fp_ieee_inexact 0
		.amdhsa_exception_int_div_zero 0
	.end_amdhsa_kernel
	.section	.text._ZN9rocsparseL42csr2bsr_wavefront_per_row_multipass_kernelILj256ELj64ELj8E21rocsparse_complex_numIdEilEEv20rocsparse_direction_T4_S4_S4_S4_S4_21rocsparse_index_base_PKT2_PKT3_PKS4_S5_PS6_PS9_PS4_,"axG",@progbits,_ZN9rocsparseL42csr2bsr_wavefront_per_row_multipass_kernelILj256ELj64ELj8E21rocsparse_complex_numIdEilEEv20rocsparse_direction_T4_S4_S4_S4_S4_21rocsparse_index_base_PKT2_PKT3_PKS4_S5_PS6_PS9_PS4_,comdat
.Lfunc_end162:
	.size	_ZN9rocsparseL42csr2bsr_wavefront_per_row_multipass_kernelILj256ELj64ELj8E21rocsparse_complex_numIdEilEEv20rocsparse_direction_T4_S4_S4_S4_S4_21rocsparse_index_base_PKT2_PKT3_PKS4_S5_PS6_PS9_PS4_, .Lfunc_end162-_ZN9rocsparseL42csr2bsr_wavefront_per_row_multipass_kernelILj256ELj64ELj8E21rocsparse_complex_numIdEilEEv20rocsparse_direction_T4_S4_S4_S4_S4_21rocsparse_index_base_PKT2_PKT3_PKS4_S5_PS6_PS9_PS4_
                                        ; -- End function
	.section	.AMDGPU.csdata,"",@progbits
; Kernel info:
; codeLenInByte = 2696
; NumSgprs: 27
; NumVgprs: 44
; ScratchSize: 0
; MemoryBound: 0
; FloatMode: 240
; IeeeMode: 1
; LDSByteSize: 4104 bytes/workgroup (compile time only)
; SGPRBlocks: 3
; VGPRBlocks: 5
; NumSGPRsForWavesPerEU: 27
; NumVGPRsForWavesPerEU: 44
; Occupancy: 16
; WaveLimiterHint : 0
; COMPUTE_PGM_RSRC2:SCRATCH_EN: 0
; COMPUTE_PGM_RSRC2:USER_SGPR: 15
; COMPUTE_PGM_RSRC2:TRAP_HANDLER: 0
; COMPUTE_PGM_RSRC2:TGID_X_EN: 1
; COMPUTE_PGM_RSRC2:TGID_Y_EN: 0
; COMPUTE_PGM_RSRC2:TGID_Z_EN: 0
; COMPUTE_PGM_RSRC2:TIDIG_COMP_CNT: 0
	.section	.text._ZN9rocsparseL42csr2bsr_wavefront_per_row_multipass_kernelILj256ELj32ELj8E21rocsparse_complex_numIdEilEEv20rocsparse_direction_T4_S4_S4_S4_S4_21rocsparse_index_base_PKT2_PKT3_PKS4_S5_PS6_PS9_PS4_,"axG",@progbits,_ZN9rocsparseL42csr2bsr_wavefront_per_row_multipass_kernelILj256ELj32ELj8E21rocsparse_complex_numIdEilEEv20rocsparse_direction_T4_S4_S4_S4_S4_21rocsparse_index_base_PKT2_PKT3_PKS4_S5_PS6_PS9_PS4_,comdat
	.globl	_ZN9rocsparseL42csr2bsr_wavefront_per_row_multipass_kernelILj256ELj32ELj8E21rocsparse_complex_numIdEilEEv20rocsparse_direction_T4_S4_S4_S4_S4_21rocsparse_index_base_PKT2_PKT3_PKS4_S5_PS6_PS9_PS4_ ; -- Begin function _ZN9rocsparseL42csr2bsr_wavefront_per_row_multipass_kernelILj256ELj32ELj8E21rocsparse_complex_numIdEilEEv20rocsparse_direction_T4_S4_S4_S4_S4_21rocsparse_index_base_PKT2_PKT3_PKS4_S5_PS6_PS9_PS4_
	.p2align	8
	.type	_ZN9rocsparseL42csr2bsr_wavefront_per_row_multipass_kernelILj256ELj32ELj8E21rocsparse_complex_numIdEilEEv20rocsparse_direction_T4_S4_S4_S4_S4_21rocsparse_index_base_PKT2_PKT3_PKS4_S5_PS6_PS9_PS4_,@function
_ZN9rocsparseL42csr2bsr_wavefront_per_row_multipass_kernelILj256ELj32ELj8E21rocsparse_complex_numIdEilEEv20rocsparse_direction_T4_S4_S4_S4_S4_21rocsparse_index_base_PKT2_PKT3_PKS4_S5_PS6_PS9_PS4_: ; @_ZN9rocsparseL42csr2bsr_wavefront_per_row_multipass_kernelILj256ELj32ELj8E21rocsparse_complex_numIdEilEEv20rocsparse_direction_T4_S4_S4_S4_S4_21rocsparse_index_base_PKT2_PKT3_PKS4_S5_PS6_PS9_PS4_
; %bb.0:
	s_load_b64 s[12:13], s[0:1], 0x28
	v_lshrrev_b32_e32 v23, 5, v0
	s_mov_b32 s8, s15
	s_ashr_i32 s9, s15, 31
	s_clause 0x1
	s_load_b64 s[14:15], s[0:1], 0x8
	s_load_b128 s[4:7], s[0:1], 0x18
	s_lshl_b64 s[2:3], s[8:9], 3
	v_mov_b32_e32 v4, 0
	v_or_b32_e32 v5, s2, v23
	v_bfe_u32 v3, v0, 2, 3
	s_clause 0x1
	s_load_b32 s18, s[0:1], 0x30
	s_load_b64 s[10:11], s[0:1], 0x40
	v_mov_b32_e32 v8, v4
	s_waitcnt lgkmcnt(0)
	v_mul_lo_u32 v6, v5, s13
	v_mad_u64_u32 v[1:2], null, v5, s12, v[3:4]
	s_mul_i32 s2, s3, s12
	s_delay_alu instid0(VALU_DEP_1) | instid1(SALU_CYCLE_1)
	v_add3_u32 v2, s2, v2, v6
	v_cmp_gt_i64_e64 s2, s[12:13], v[3:4]
	s_delay_alu instid0(VALU_DEP_2) | instskip(NEXT) | instid1(VALU_DEP_2)
	v_cmp_gt_i64_e32 vcc_lo, s[14:15], v[1:2]
	s_and_b32 s3, s2, vcc_lo
	s_delay_alu instid0(SALU_CYCLE_1)
	s_and_saveexec_b32 s9, s3
	s_cbranch_execz .LBB163_2
; %bb.1:
	v_lshlrev_b64 v[5:6], 2, v[1:2]
	s_delay_alu instid0(VALU_DEP_1) | instskip(NEXT) | instid1(VALU_DEP_2)
	v_add_co_u32 v5, vcc_lo, s10, v5
	v_add_co_ci_u32_e32 v6, vcc_lo, s11, v6, vcc_lo
	global_load_b32 v5, v[5:6], off
	s_waitcnt vmcnt(0)
	v_subrev_nc_u32_e32 v8, s18, v5
.LBB163_2:
	s_or_b32 exec_lo, exec_lo, s9
	s_and_saveexec_b32 s9, s3
	s_cbranch_execz .LBB163_4
; %bb.3:
	v_lshlrev_b64 v[1:2], 2, v[1:2]
	s_delay_alu instid0(VALU_DEP_1) | instskip(NEXT) | instid1(VALU_DEP_2)
	v_add_co_u32 v1, vcc_lo, s10, v1
	v_add_co_ci_u32_e32 v2, vcc_lo, s11, v2, vcc_lo
	global_load_b32 v1, v[1:2], off offset:4
	s_waitcnt vmcnt(0)
	v_subrev_nc_u32_e32 v4, s18, v1
.LBB163_4:
	s_or_b32 exec_lo, exec_lo, s9
	s_load_b32 s19, s[0:1], 0x50
	v_mov_b32_e32 v2, 0
	v_lshl_or_b32 v1, s8, 3, v23
	s_mov_b32 s3, exec_lo
	s_delay_alu instid0(VALU_DEP_2) | instskip(NEXT) | instid1(VALU_DEP_2)
	v_mov_b32_e32 v5, v2
	v_cmpx_gt_i64_e64 s[4:5], v[1:2]
	s_cbranch_execz .LBB163_6
; %bb.5:
	s_load_b64 s[4:5], s[0:1], 0x60
	v_lshlrev_b64 v[1:2], 2, v[1:2]
	s_waitcnt lgkmcnt(0)
	s_delay_alu instid0(VALU_DEP_1) | instskip(NEXT) | instid1(VALU_DEP_2)
	v_add_co_u32 v1, vcc_lo, s4, v1
	v_add_co_ci_u32_e32 v2, vcc_lo, s5, v2, vcc_lo
	global_load_b32 v1, v[1:2], off
	s_waitcnt vmcnt(0)
	v_subrev_nc_u32_e32 v5, s19, v1
.LBB163_6:
	s_or_b32 exec_lo, exec_lo, s3
	v_cmp_lt_i64_e64 s3, s[6:7], 1
	s_delay_alu instid0(VALU_DEP_1)
	s_and_b32 vcc_lo, exec_lo, s3
	s_cbranch_vccnz .LBB163_34
; %bb.7:
	s_load_b64 s[10:11], s[0:1], 0x58
	v_mad_u64_u32 v[1:2], null, v3, s12, 0
	v_mbcnt_lo_u32_b32 v15, -1, 0
	v_dual_mov_b32 v7, 0 :: v_dual_lshlrev_b32 v6, 4, v3
	s_mul_i32 s3, s12, s13
	s_mul_hi_u32 s4, s12, s12
	s_delay_alu instid0(VALU_DEP_2) | instskip(NEXT) | instid1(VALU_DEP_4)
	v_xor_b32_e32 v9, 2, v15
	v_mad_u64_u32 v[10:11], null, v3, s13, v[2:3]
	s_add_i32 s8, s4, s3
	s_load_b64 s[4:5], s[0:1], 0x68
	s_delay_alu instid0(VALU_DEP_2)
	v_cmp_gt_i32_e32 vcc_lo, 32, v9
	s_clause 0x2
	s_load_b64 s[14:15], s[0:1], 0x48
	s_load_b64 s[16:17], s[0:1], 0x38
	s_load_b32 s0, s[0:1], 0x0
	v_xor_b32_e32 v12, 1, v15
	v_lshl_or_b32 v29, v15, 2, 12
	s_add_i32 s20, s8, s3
	s_mov_b32 s8, 0
	v_mov_b32_e32 v36, 0x7c
	s_waitcnt lgkmcnt(0)
	v_add_co_u32 v24, s1, s10, v6
	v_dual_cndmask_b32 v11, v15, v9 :: v_dual_lshlrev_b32 v6, 6, v23
	v_dual_mov_b32 v2, v10 :: v_dual_and_b32 v9, 3, v0
	v_cmp_gt_i32_e32 vcc_lo, 32, v12
	s_delay_alu instid0(VALU_DEP_3)
	v_lshl_or_b32 v26, v3, 3, v6
	v_xor_b32_e32 v3, 8, v15
	v_lshlrev_b32_e32 v27, 2, v11
	v_lshlrev_b64 v[0:1], 4, v[1:2]
	v_xor_b32_e32 v2, 16, v15
	v_cndmask_b32_e32 v12, v15, v12, vcc_lo
	v_or_b32_e32 v6, v26, v9
	v_add_co_ci_u32_e64 v25, null, s11, 0, s1
	v_add_co_u32 v30, vcc_lo, s10, v0
	v_add_co_ci_u32_e32 v31, vcc_lo, s11, v1, vcc_lo
	v_cmp_gt_i32_e32 vcc_lo, 32, v2
	v_lshlrev_b32_e32 v28, 2, v12
	v_or_b32_e32 v0, 4, v9
	v_mad_u64_u32 v[11:12], null, v9, s12, 0
	v_cndmask_b32_e32 v1, v15, v2, vcc_lo
	v_cmp_gt_i32_e32 vcc_lo, 32, v3
	s_delay_alu instid0(VALU_DEP_4)
	v_mad_u64_u32 v[13:14], null, v0, s12, 0
	v_lshlrev_b32_e32 v34, 4, v6
	s_mov_b32 s9, s8
	v_cndmask_b32_e32 v2, v15, v3, vcc_lo
	v_xor_b32_e32 v3, 4, v15
	s_mov_b32 s10, s8
	s_mov_b32 s11, s8
	s_cmp_lg_u32 s0, 0
	v_mov_b32_e32 v38, 1
	v_cmp_gt_i32_e32 vcc_lo, 32, v3
	v_dual_mov_b32 v1, v12 :: v_dual_lshlrev_b32 v32, 2, v1
	v_dual_mov_b32 v2, v14 :: v_dual_lshlrev_b32 v33, 2, v2
	v_cndmask_b32_e32 v3, v15, v3, vcc_lo
	v_dual_mov_b32 v10, v7 :: v_dual_mov_b32 v39, 0
	s_mul_i32 s21, s12, s12
	s_delay_alu instid0(VALU_DEP_3) | instskip(NEXT) | instid1(VALU_DEP_3)
	v_mad_u64_u32 v[14:15], null, v9, s13, v[1:2]
	v_lshlrev_b32_e32 v35, 2, v3
	v_mad_u64_u32 v[15:16], null, v0, s13, v[2:3]
	v_mov_b32_e32 v1, v7
	v_cmp_gt_u64_e32 vcc_lo, s[12:13], v[9:10]
	v_mov_b32_e32 v16, 0
	v_mov_b32_e32 v12, v14
	v_or_b32_e32 v37, 64, v34
	v_cmp_gt_u64_e64 s0, s[12:13], v[0:1]
	v_mov_b32_e32 v14, v15
	v_dual_mov_b32 v0, s8 :: v_dual_mov_b32 v3, s11
	v_mov_b32_e32 v1, s9
	v_lshlrev_b64 v[10:11], 4, v[11:12]
	s_delay_alu instid0(VALU_DEP_4)
	v_lshlrev_b64 v[12:13], 4, v[13:14]
	v_dual_mov_b32 v17, 0 :: v_dual_mov_b32 v2, s10
	s_cselect_b32 s1, -1, 0
	s_and_b32 s22, s2, vcc_lo
	s_and_b32 s9, s2, s0
	s_ashr_i32 s2, s13, 31
	s_sub_i32 s23, 0, s12
	s_branch .LBB163_11
.LBB163_8:                              ;   in Loop: Header=BB163_11 Depth=1
	v_mov_b32_e32 v18, s10
.LBB163_9:                              ;   in Loop: Header=BB163_11 Depth=1
	s_or_b32 exec_lo, exec_lo, s3
.LBB163_10:                             ;   in Loop: Header=BB163_11 Depth=1
	s_delay_alu instid0(SALU_CYCLE_1)
	s_or_b32 exec_lo, exec_lo, s0
	ds_bpermute_b32 v16, v32, v14
	ds_bpermute_b32 v17, v32, v15
	v_add_nc_u32_e32 v5, v18, v5
	s_waitcnt lgkmcnt(0)
	s_waitcnt_vscnt null, 0x0
	buffer_gl0_inv
	buffer_gl0_inv
	v_cmp_lt_i64_e32 vcc_lo, v[16:17], v[14:15]
	v_dual_cndmask_b32 v15, v15, v17 :: v_dual_cndmask_b32 v14, v14, v16
	ds_bpermute_b32 v17, v33, v15
	ds_bpermute_b32 v16, v33, v14
	s_waitcnt lgkmcnt(0)
	v_cmp_lt_i64_e32 vcc_lo, v[16:17], v[14:15]
	v_dual_cndmask_b32 v15, v15, v17 :: v_dual_cndmask_b32 v14, v14, v16
	ds_bpermute_b32 v17, v35, v15
	ds_bpermute_b32 v16, v35, v14
	s_waitcnt lgkmcnt(0)
	;; [unrolled: 5-line block ×4, first 2 shown]
	v_cmp_lt_i64_e32 vcc_lo, v[16:17], v[14:15]
	v_cndmask_b32_e32 v6, v14, v16, vcc_lo
	ds_bpermute_b32 v16, v36, v6
	s_waitcnt lgkmcnt(0)
	v_mov_b32_e32 v39, v16
	v_ashrrev_i32_e32 v17, 31, v16
	s_delay_alu instid0(VALU_DEP_1) | instskip(SKIP_1) | instid1(SALU_CYCLE_1)
	v_cmp_le_i64_e32 vcc_lo, s[6:7], v[16:17]
	s_or_b32 s8, vcc_lo, s8
	s_and_not1_b32 exec_lo, exec_lo, s8
	s_cbranch_execz .LBB163_34
.LBB163_11:                             ; =>This Loop Header: Depth=1
                                        ;     Child Loop BB163_14 Depth 2
	v_dual_mov_b32 v15, s7 :: v_dual_add_nc_u32 v18, v8, v9
	v_mov_b32_e32 v14, s6
	v_mov_b32_e32 v8, v4
	s_mov_b32 s24, exec_lo
	ds_store_b8 v23, v7 offset:8192
	ds_store_b128 v34, v[0:3]
	ds_store_b128 v34, v[0:3] offset:64
	s_waitcnt lgkmcnt(0)
	buffer_gl0_inv
	v_cmpx_lt_i32_e64 v18, v4
	s_cbranch_execz .LBB163_23
; %bb.12:                               ;   in Loop: Header=BB163_11 Depth=1
	v_mad_u64_u32 v[20:21], null, v16, s12, 0
	v_dual_mov_b32 v15, s7 :: v_dual_mov_b32 v14, s6
	v_mov_b32_e32 v6, v4
	s_mov_b32 s25, 0
	s_branch .LBB163_14
.LBB163_13:                             ;   in Loop: Header=BB163_14 Depth=2
	s_or_b32 exec_lo, exec_lo, s3
	v_add_nc_u32_e32 v18, 4, v18
	s_xor_b32 s3, vcc_lo, -1
	v_mov_b32_e32 v6, v8
	s_delay_alu instid0(VALU_DEP_2) | instskip(NEXT) | instid1(VALU_DEP_1)
	v_cmp_ge_i32_e64 s0, v18, v4
	s_or_b32 s0, s3, s0
	s_delay_alu instid0(SALU_CYCLE_1) | instskip(NEXT) | instid1(SALU_CYCLE_1)
	s_and_b32 s0, exec_lo, s0
	s_or_b32 s25, s0, s25
	s_delay_alu instid0(SALU_CYCLE_1)
	s_and_not1_b32 exec_lo, exec_lo, s25
	s_cbranch_execz .LBB163_22
.LBB163_14:                             ;   Parent Loop BB163_11 Depth=1
                                        ; =>  This Inner Loop Header: Depth=2
	v_ashrrev_i32_e32 v19, 31, v18
	s_mov_b32 s0, exec_lo
	s_delay_alu instid0(VALU_DEP_1) | instskip(NEXT) | instid1(VALU_DEP_1)
	v_lshlrev_b64 v[21:22], 3, v[18:19]
	v_add_co_u32 v21, vcc_lo, s14, v21
	s_delay_alu instid0(VALU_DEP_2) | instskip(SKIP_4) | instid1(VALU_DEP_1)
	v_add_co_ci_u32_e32 v22, vcc_lo, s15, v22, vcc_lo
	global_load_b64 v[21:22], v[21:22], off
	s_waitcnt vmcnt(0)
	v_sub_co_u32 v40, vcc_lo, v21, s18
	v_subrev_co_ci_u32_e32 v41, vcc_lo, 0, v22, vcc_lo
                                        ; implicit-def: $vgpr21_vgpr22
	v_or_b32_e32 v8, s13, v41
	s_delay_alu instid0(VALU_DEP_1)
	v_cmpx_ne_u64_e32 0, v[7:8]
	s_xor_b32 s26, exec_lo, s0
	s_cbranch_execz .LBB163_16
; %bb.15:                               ;   in Loop: Header=BB163_14 Depth=2
	s_add_u32 s10, s12, s2
	s_mov_b32 s3, s2
	s_addc_u32 s11, s13, s2
	s_delay_alu instid0(SALU_CYCLE_1) | instskip(NEXT) | instid1(SALU_CYCLE_1)
	s_xor_b64 s[10:11], s[10:11], s[2:3]
	v_cvt_f32_u32_e32 v8, s10
	v_cvt_f32_u32_e32 v21, s11
	s_sub_u32 s0, 0, s10
	s_subb_u32 s3, 0, s11
	s_delay_alu instid0(VALU_DEP_1) | instskip(NEXT) | instid1(VALU_DEP_1)
	v_fmac_f32_e32 v8, 0x4f800000, v21
	v_rcp_f32_e32 v8, v8
	s_waitcnt_depctr 0xfff
	v_mul_f32_e32 v8, 0x5f7ffffc, v8
	s_delay_alu instid0(VALU_DEP_1) | instskip(NEXT) | instid1(VALU_DEP_1)
	v_mul_f32_e32 v21, 0x2f800000, v8
	v_trunc_f32_e32 v21, v21
	s_delay_alu instid0(VALU_DEP_1) | instskip(SKIP_1) | instid1(VALU_DEP_2)
	v_fmac_f32_e32 v8, 0xcf800000, v21
	v_cvt_u32_f32_e32 v21, v21
	v_cvt_u32_f32_e32 v8, v8
	s_delay_alu instid0(VALU_DEP_2) | instskip(NEXT) | instid1(VALU_DEP_2)
	v_mul_lo_u32 v22, s0, v21
	v_mul_hi_u32 v42, s0, v8
	v_mul_lo_u32 v43, s3, v8
	s_delay_alu instid0(VALU_DEP_2) | instskip(SKIP_1) | instid1(VALU_DEP_2)
	v_add_nc_u32_e32 v22, v42, v22
	v_mul_lo_u32 v42, s0, v8
	v_add_nc_u32_e32 v22, v22, v43
	s_delay_alu instid0(VALU_DEP_2) | instskip(NEXT) | instid1(VALU_DEP_2)
	v_mul_hi_u32 v43, v8, v42
	v_mul_lo_u32 v44, v8, v22
	v_mul_hi_u32 v45, v8, v22
	v_mul_hi_u32 v46, v21, v42
	v_mul_lo_u32 v42, v21, v42
	v_mul_hi_u32 v47, v21, v22
	v_mul_lo_u32 v22, v21, v22
	v_add_co_u32 v43, vcc_lo, v43, v44
	v_add_co_ci_u32_e32 v44, vcc_lo, 0, v45, vcc_lo
	s_delay_alu instid0(VALU_DEP_2) | instskip(NEXT) | instid1(VALU_DEP_2)
	v_add_co_u32 v42, vcc_lo, v43, v42
	v_add_co_ci_u32_e32 v42, vcc_lo, v44, v46, vcc_lo
	v_add_co_ci_u32_e32 v43, vcc_lo, 0, v47, vcc_lo
	v_ashrrev_i32_e32 v46, 31, v41
	s_delay_alu instid0(VALU_DEP_3) | instskip(NEXT) | instid1(VALU_DEP_3)
	v_add_co_u32 v22, vcc_lo, v42, v22
	v_add_co_ci_u32_e32 v42, vcc_lo, 0, v43, vcc_lo
	s_delay_alu instid0(VALU_DEP_2) | instskip(NEXT) | instid1(VALU_DEP_2)
	v_add_co_u32 v8, vcc_lo, v8, v22
	v_add_co_ci_u32_e32 v21, vcc_lo, v21, v42, vcc_lo
	s_delay_alu instid0(VALU_DEP_2) | instskip(SKIP_1) | instid1(VALU_DEP_3)
	v_mul_hi_u32 v22, s0, v8
	v_mul_lo_u32 v43, s3, v8
	v_mul_lo_u32 v42, s0, v21
	s_delay_alu instid0(VALU_DEP_1) | instskip(SKIP_1) | instid1(VALU_DEP_2)
	v_add_nc_u32_e32 v22, v22, v42
	v_mul_lo_u32 v42, s0, v8
	v_add_nc_u32_e32 v22, v22, v43
	s_delay_alu instid0(VALU_DEP_2) | instskip(NEXT) | instid1(VALU_DEP_2)
	v_mul_hi_u32 v43, v8, v42
	v_mul_lo_u32 v44, v8, v22
	v_mul_hi_u32 v45, v8, v22
	v_mul_hi_u32 v47, v21, v42
	v_mul_lo_u32 v42, v21, v42
	v_mul_hi_u32 v48, v21, v22
	v_mul_lo_u32 v22, v21, v22
	v_add_co_u32 v43, vcc_lo, v43, v44
	v_add_co_ci_u32_e32 v44, vcc_lo, 0, v45, vcc_lo
	s_delay_alu instid0(VALU_DEP_2) | instskip(NEXT) | instid1(VALU_DEP_2)
	v_add_co_u32 v42, vcc_lo, v43, v42
	v_add_co_ci_u32_e32 v42, vcc_lo, v44, v47, vcc_lo
	v_add_co_ci_u32_e32 v43, vcc_lo, 0, v48, vcc_lo
	v_add_co_u32 v44, vcc_lo, v40, v46
	v_add_co_ci_u32_e32 v41, vcc_lo, v41, v46, vcc_lo
	s_delay_alu instid0(VALU_DEP_4) | instskip(NEXT) | instid1(VALU_DEP_4)
	v_add_co_u32 v22, vcc_lo, v42, v22
	v_add_co_ci_u32_e32 v42, vcc_lo, 0, v43, vcc_lo
	s_delay_alu instid0(VALU_DEP_4) | instskip(NEXT) | instid1(VALU_DEP_3)
	v_xor_b32_e32 v45, v44, v46
	v_add_co_u32 v8, vcc_lo, v8, v22
	s_delay_alu instid0(VALU_DEP_3) | instskip(SKIP_1) | instid1(VALU_DEP_3)
	v_add_co_ci_u32_e32 v47, vcc_lo, v21, v42, vcc_lo
	v_xor_b32_e32 v48, v41, v46
	v_mul_hi_u32 v49, v45, v8
	s_delay_alu instid0(VALU_DEP_3) | instskip(NEXT) | instid1(VALU_DEP_3)
	v_mad_u64_u32 v[21:22], null, v45, v47, 0
	v_mad_u64_u32 v[41:42], null, v48, v8, 0
	;; [unrolled: 1-line block ×3, first 2 shown]
	s_delay_alu instid0(VALU_DEP_3) | instskip(NEXT) | instid1(VALU_DEP_4)
	v_add_co_u32 v8, vcc_lo, v49, v21
	v_add_co_ci_u32_e32 v21, vcc_lo, 0, v22, vcc_lo
	s_delay_alu instid0(VALU_DEP_2) | instskip(NEXT) | instid1(VALU_DEP_2)
	v_add_co_u32 v8, vcc_lo, v8, v41
	v_add_co_ci_u32_e32 v8, vcc_lo, v21, v42, vcc_lo
	v_add_co_ci_u32_e32 v21, vcc_lo, 0, v44, vcc_lo
	s_delay_alu instid0(VALU_DEP_2) | instskip(NEXT) | instid1(VALU_DEP_2)
	v_add_co_u32 v8, vcc_lo, v8, v43
	v_add_co_ci_u32_e32 v41, vcc_lo, 0, v21, vcc_lo
	s_delay_alu instid0(VALU_DEP_2) | instskip(SKIP_1) | instid1(VALU_DEP_3)
	v_mul_lo_u32 v42, s11, v8
	v_mad_u64_u32 v[21:22], null, s10, v8, 0
	v_mul_lo_u32 v43, s10, v41
	s_delay_alu instid0(VALU_DEP_2) | instskip(NEXT) | instid1(VALU_DEP_2)
	v_sub_co_u32 v21, vcc_lo, v45, v21
	v_add3_u32 v22, v22, v43, v42
	s_delay_alu instid0(VALU_DEP_1) | instskip(NEXT) | instid1(VALU_DEP_1)
	v_sub_nc_u32_e32 v42, v48, v22
	v_subrev_co_ci_u32_e64 v42, s0, s11, v42, vcc_lo
	v_add_co_u32 v43, s0, v8, 2
	s_delay_alu instid0(VALU_DEP_1) | instskip(SKIP_3) | instid1(VALU_DEP_3)
	v_add_co_ci_u32_e64 v44, s0, 0, v41, s0
	v_sub_co_u32 v45, s0, v21, s10
	v_sub_co_ci_u32_e32 v22, vcc_lo, v48, v22, vcc_lo
	v_subrev_co_ci_u32_e64 v42, s0, 0, v42, s0
	v_cmp_le_u32_e32 vcc_lo, s10, v45
	s_delay_alu instid0(VALU_DEP_3) | instskip(SKIP_1) | instid1(VALU_DEP_4)
	v_cmp_eq_u32_e64 s0, s11, v22
	v_cndmask_b32_e64 v45, 0, -1, vcc_lo
	v_cmp_le_u32_e32 vcc_lo, s11, v42
	v_cndmask_b32_e64 v47, 0, -1, vcc_lo
	v_cmp_le_u32_e32 vcc_lo, s10, v21
	;; [unrolled: 2-line block ×3, first 2 shown]
	v_cndmask_b32_e64 v48, 0, -1, vcc_lo
	v_cmp_eq_u32_e32 vcc_lo, s11, v42
	s_delay_alu instid0(VALU_DEP_2) | instskip(SKIP_3) | instid1(VALU_DEP_3)
	v_cndmask_b32_e64 v21, v48, v21, s0
	v_cndmask_b32_e32 v42, v47, v45, vcc_lo
	v_add_co_u32 v45, vcc_lo, v8, 1
	v_add_co_ci_u32_e32 v47, vcc_lo, 0, v41, vcc_lo
	v_cmp_ne_u32_e32 vcc_lo, 0, v42
	s_delay_alu instid0(VALU_DEP_2) | instskip(NEXT) | instid1(VALU_DEP_4)
	v_cndmask_b32_e32 v22, v47, v44, vcc_lo
	v_cndmask_b32_e32 v42, v45, v43, vcc_lo
	v_cmp_ne_u32_e32 vcc_lo, 0, v21
	v_xor_b32_e32 v43, s2, v46
	s_delay_alu instid0(VALU_DEP_3) | instskip(SKIP_1) | instid1(VALU_DEP_2)
	v_cndmask_b32_e32 v8, v8, v42, vcc_lo
	v_cndmask_b32_e32 v21, v41, v22, vcc_lo
	v_xor_b32_e32 v8, v8, v43
	s_delay_alu instid0(VALU_DEP_2) | instskip(NEXT) | instid1(VALU_DEP_2)
	v_xor_b32_e32 v22, v21, v43
	v_sub_co_u32 v21, vcc_lo, v8, v43
	s_delay_alu instid0(VALU_DEP_2)
	v_sub_co_ci_u32_e32 v22, vcc_lo, v22, v43, vcc_lo
.LBB163_16:                             ;   in Loop: Header=BB163_14 Depth=2
	s_and_not1_saveexec_b32 s0, s26
	s_cbranch_execz .LBB163_18
; %bb.17:                               ;   in Loop: Header=BB163_14 Depth=2
	v_cvt_f32_u32_e32 v8, s12
	s_delay_alu instid0(VALU_DEP_1) | instskip(SKIP_2) | instid1(VALU_DEP_1)
	v_rcp_iflag_f32_e32 v8, v8
	s_waitcnt_depctr 0xfff
	v_mul_f32_e32 v8, 0x4f7ffffe, v8
	v_cvt_u32_f32_e32 v8, v8
	s_delay_alu instid0(VALU_DEP_1) | instskip(NEXT) | instid1(VALU_DEP_1)
	v_mul_lo_u32 v21, s23, v8
	v_mul_hi_u32 v21, v8, v21
	s_delay_alu instid0(VALU_DEP_1) | instskip(NEXT) | instid1(VALU_DEP_1)
	v_add_nc_u32_e32 v8, v8, v21
	v_mul_hi_u32 v8, v40, v8
	s_delay_alu instid0(VALU_DEP_1) | instskip(SKIP_1) | instid1(VALU_DEP_2)
	v_mul_lo_u32 v21, v8, s12
	v_add_nc_u32_e32 v22, 1, v8
	v_sub_nc_u32_e32 v21, v40, v21
	s_delay_alu instid0(VALU_DEP_1) | instskip(SKIP_1) | instid1(VALU_DEP_2)
	v_subrev_nc_u32_e32 v41, s12, v21
	v_cmp_le_u32_e32 vcc_lo, s12, v21
	v_dual_cndmask_b32 v21, v21, v41 :: v_dual_cndmask_b32 v8, v8, v22
	s_delay_alu instid0(VALU_DEP_1) | instskip(NEXT) | instid1(VALU_DEP_2)
	v_cmp_le_u32_e32 vcc_lo, s12, v21
	v_add_nc_u32_e32 v22, 1, v8
	s_delay_alu instid0(VALU_DEP_1)
	v_dual_cndmask_b32 v21, v8, v22 :: v_dual_mov_b32 v22, v7
.LBB163_18:                             ;   in Loop: Header=BB163_14 Depth=2
	s_or_b32 exec_lo, exec_lo, s0
	s_delay_alu instid0(VALU_DEP_1)
	v_cmp_eq_u64_e32 vcc_lo, v[21:22], v[16:17]
	s_mov_b32 s3, exec_lo
	v_cmpx_ne_u64_e64 v[21:22], v[16:17]
	s_xor_b32 s3, exec_lo, s3
; %bb.19:                               ;   in Loop: Header=BB163_14 Depth=2
	v_cmp_lt_i64_e64 s0, v[21:22], v[14:15]
                                        ; implicit-def: $vgpr40
                                        ; implicit-def: $vgpr6
	s_delay_alu instid0(VALU_DEP_1)
	v_cndmask_b32_e64 v15, v15, v22, s0
	v_cndmask_b32_e64 v14, v14, v21, s0
; %bb.20:                               ;   in Loop: Header=BB163_14 Depth=2
	s_or_saveexec_b32 s3, s3
	v_mov_b32_e32 v8, v18
	s_xor_b32 exec_lo, exec_lo, s3
	s_cbranch_execz .LBB163_13
; %bb.21:                               ;   in Loop: Header=BB163_14 Depth=2
	v_lshlrev_b64 v[21:22], 4, v[18:19]
	v_sub_nc_u32_e32 v8, v40, v20
	s_delay_alu instid0(VALU_DEP_1) | instskip(NEXT) | instid1(VALU_DEP_3)
	v_add_lshl_u32 v19, v26, v8, 4
	v_add_co_u32 v21, s0, s16, v21
	s_delay_alu instid0(VALU_DEP_1)
	v_add_co_ci_u32_e64 v22, s0, s17, v22, s0
	v_mov_b32_e32 v8, v6
	global_load_b128 v[41:44], v[21:22], off
	ds_store_b8 v23, v38 offset:8192
	s_waitcnt vmcnt(0)
	ds_store_2addr_b64 v19, v[41:42], v[43:44] offset1:1
	s_branch .LBB163_13
.LBB163_22:                             ;   in Loop: Header=BB163_11 Depth=1
	s_or_b32 exec_lo, exec_lo, s25
.LBB163_23:                             ;   in Loop: Header=BB163_11 Depth=1
	s_delay_alu instid0(SALU_CYCLE_1)
	s_or_b32 exec_lo, exec_lo, s24
	ds_bpermute_b32 v6, v27, v8
	s_waitcnt lgkmcnt(0)
	buffer_gl0_inv
	ds_load_u8 v16, v23 offset:8192
	v_mov_b32_e32 v18, 0
	s_mov_b32 s0, exec_lo
	v_min_i32_e32 v6, v6, v8
	ds_bpermute_b32 v8, v28, v6
	s_waitcnt lgkmcnt(0)
	v_min_i32_e32 v6, v8, v6
	ds_bpermute_b32 v8, v29, v6
	v_and_b32_e32 v6, 1, v16
	s_delay_alu instid0(VALU_DEP_1)
	v_cmpx_eq_u32_e32 1, v6
	s_cbranch_execz .LBB163_10
; %bb.24:                               ;   in Loop: Header=BB163_11 Depth=1
	v_ashrrev_i32_e32 v6, 31, v5
	v_mul_lo_u32 v18, s20, v5
	v_mad_u64_u32 v[16:17], null, s21, v5, 0
	v_add_nc_u32_e32 v20, s19, v39
	s_delay_alu instid0(VALU_DEP_4) | instskip(NEXT) | instid1(VALU_DEP_2)
	v_mul_lo_u32 v19, s21, v6
	v_ashrrev_i32_e32 v21, 31, v20
	s_delay_alu instid0(VALU_DEP_2) | instskip(SKIP_1) | instid1(VALU_DEP_2)
	v_add3_u32 v17, v17, v19, v18
	v_lshlrev_b64 v[18:19], 3, v[5:6]
	v_lshlrev_b64 v[39:40], 4, v[16:17]
	s_delay_alu instid0(VALU_DEP_2) | instskip(NEXT) | instid1(VALU_DEP_3)
	v_add_co_u32 v41, vcc_lo, s4, v18
	v_add_co_ci_u32_e32 v42, vcc_lo, s5, v19, vcc_lo
	s_delay_alu instid0(VALU_DEP_3) | instskip(NEXT) | instid1(VALU_DEP_4)
	v_add_co_u32 v17, vcc_lo, v24, v39
	v_add_co_ci_u32_e32 v19, vcc_lo, v25, v40, vcc_lo
	v_add_co_u32 v6, vcc_lo, v30, v39
	v_add_co_ci_u32_e32 v16, vcc_lo, v31, v40, vcc_lo
	global_store_b64 v[41:42], v[20:21], off
	s_and_saveexec_b32 s3, s22
	s_cbranch_execz .LBB163_28
; %bb.25:                               ;   in Loop: Header=BB163_11 Depth=1
	s_and_b32 vcc_lo, exec_lo, s1
	s_cbranch_vccz .LBB163_31
; %bb.26:                               ;   in Loop: Header=BB163_11 Depth=1
	ds_load_2addr_b64 v[39:42], v34 offset1:1
	v_add_co_u32 v20, vcc_lo, v17, v10
	v_add_co_ci_u32_e32 v21, vcc_lo, v19, v11, vcc_lo
	s_waitcnt lgkmcnt(0)
	global_store_b128 v[20:21], v[39:42], off
	s_cbranch_execnz .LBB163_28
.LBB163_27:                             ;   in Loop: Header=BB163_11 Depth=1
	ds_load_2addr_b64 v[39:42], v34 offset1:1
	v_lshlrev_b32_e32 v18, 4, v9
	s_delay_alu instid0(VALU_DEP_1)
	v_add_co_u32 v20, vcc_lo, v6, v18
	v_add_co_ci_u32_e32 v21, vcc_lo, 0, v16, vcc_lo
	s_waitcnt lgkmcnt(0)
	global_store_b128 v[20:21], v[39:42], off
.LBB163_28:                             ;   in Loop: Header=BB163_11 Depth=1
	s_or_b32 exec_lo, exec_lo, s3
	v_mov_b32_e32 v18, 1
	s_and_saveexec_b32 s3, s9
	s_cbranch_execz .LBB163_9
; %bb.29:                               ;   in Loop: Header=BB163_11 Depth=1
	s_and_not1_b32 vcc_lo, exec_lo, s1
	s_cbranch_vccnz .LBB163_32
; %bb.30:                               ;   in Loop: Header=BB163_11 Depth=1
	ds_load_2addr_b64 v[39:42], v37 offset1:1
	v_add_co_u32 v17, vcc_lo, v17, v12
	v_add_co_ci_u32_e32 v18, vcc_lo, v19, v13, vcc_lo
	s_mov_b32 s10, 1
	s_waitcnt lgkmcnt(0)
	global_store_b128 v[17:18], v[39:42], off
	s_cbranch_execnz .LBB163_8
	s_branch .LBB163_33
.LBB163_31:                             ;   in Loop: Header=BB163_11 Depth=1
	s_branch .LBB163_27
.LBB163_32:                             ;   in Loop: Header=BB163_11 Depth=1
                                        ; implicit-def: $sgpr10
.LBB163_33:                             ;   in Loop: Header=BB163_11 Depth=1
	ds_load_2addr_b64 v[17:20], v37 offset1:1
	v_lshlrev_b32_e32 v21, 4, v9
	s_mov_b32 s10, 1
	s_delay_alu instid0(VALU_DEP_1)
	v_add_co_u32 v21, vcc_lo, v6, v21
	v_add_co_ci_u32_e32 v22, vcc_lo, 0, v16, vcc_lo
	s_waitcnt lgkmcnt(0)
	global_store_b128 v[21:22], v[17:20], off offset:64
	s_branch .LBB163_8
.LBB163_34:
	s_endpgm
	.section	.rodata,"a",@progbits
	.p2align	6, 0x0
	.amdhsa_kernel _ZN9rocsparseL42csr2bsr_wavefront_per_row_multipass_kernelILj256ELj32ELj8E21rocsparse_complex_numIdEilEEv20rocsparse_direction_T4_S4_S4_S4_S4_21rocsparse_index_base_PKT2_PKT3_PKS4_S5_PS6_PS9_PS4_
		.amdhsa_group_segment_fixed_size 8200
		.amdhsa_private_segment_fixed_size 0
		.amdhsa_kernarg_size 112
		.amdhsa_user_sgpr_count 15
		.amdhsa_user_sgpr_dispatch_ptr 0
		.amdhsa_user_sgpr_queue_ptr 0
		.amdhsa_user_sgpr_kernarg_segment_ptr 1
		.amdhsa_user_sgpr_dispatch_id 0
		.amdhsa_user_sgpr_private_segment_size 0
		.amdhsa_wavefront_size32 1
		.amdhsa_uses_dynamic_stack 0
		.amdhsa_enable_private_segment 0
		.amdhsa_system_sgpr_workgroup_id_x 1
		.amdhsa_system_sgpr_workgroup_id_y 0
		.amdhsa_system_sgpr_workgroup_id_z 0
		.amdhsa_system_sgpr_workgroup_info 0
		.amdhsa_system_vgpr_workitem_id 0
		.amdhsa_next_free_vgpr 50
		.amdhsa_next_free_sgpr 27
		.amdhsa_reserve_vcc 1
		.amdhsa_float_round_mode_32 0
		.amdhsa_float_round_mode_16_64 0
		.amdhsa_float_denorm_mode_32 3
		.amdhsa_float_denorm_mode_16_64 3
		.amdhsa_dx10_clamp 1
		.amdhsa_ieee_mode 1
		.amdhsa_fp16_overflow 0
		.amdhsa_workgroup_processor_mode 1
		.amdhsa_memory_ordered 1
		.amdhsa_forward_progress 0
		.amdhsa_shared_vgpr_count 0
		.amdhsa_exception_fp_ieee_invalid_op 0
		.amdhsa_exception_fp_denorm_src 0
		.amdhsa_exception_fp_ieee_div_zero 0
		.amdhsa_exception_fp_ieee_overflow 0
		.amdhsa_exception_fp_ieee_underflow 0
		.amdhsa_exception_fp_ieee_inexact 0
		.amdhsa_exception_int_div_zero 0
	.end_amdhsa_kernel
	.section	.text._ZN9rocsparseL42csr2bsr_wavefront_per_row_multipass_kernelILj256ELj32ELj8E21rocsparse_complex_numIdEilEEv20rocsparse_direction_T4_S4_S4_S4_S4_21rocsparse_index_base_PKT2_PKT3_PKS4_S5_PS6_PS9_PS4_,"axG",@progbits,_ZN9rocsparseL42csr2bsr_wavefront_per_row_multipass_kernelILj256ELj32ELj8E21rocsparse_complex_numIdEilEEv20rocsparse_direction_T4_S4_S4_S4_S4_21rocsparse_index_base_PKT2_PKT3_PKS4_S5_PS6_PS9_PS4_,comdat
.Lfunc_end163:
	.size	_ZN9rocsparseL42csr2bsr_wavefront_per_row_multipass_kernelILj256ELj32ELj8E21rocsparse_complex_numIdEilEEv20rocsparse_direction_T4_S4_S4_S4_S4_21rocsparse_index_base_PKT2_PKT3_PKS4_S5_PS6_PS9_PS4_, .Lfunc_end163-_ZN9rocsparseL42csr2bsr_wavefront_per_row_multipass_kernelILj256ELj32ELj8E21rocsparse_complex_numIdEilEEv20rocsparse_direction_T4_S4_S4_S4_S4_21rocsparse_index_base_PKT2_PKT3_PKS4_S5_PS6_PS9_PS4_
                                        ; -- End function
	.section	.AMDGPU.csdata,"",@progbits
; Kernel info:
; codeLenInByte = 2824
; NumSgprs: 29
; NumVgprs: 50
; ScratchSize: 0
; MemoryBound: 0
; FloatMode: 240
; IeeeMode: 1
; LDSByteSize: 8200 bytes/workgroup (compile time only)
; SGPRBlocks: 3
; VGPRBlocks: 6
; NumSGPRsForWavesPerEU: 29
; NumVGPRsForWavesPerEU: 50
; Occupancy: 16
; WaveLimiterHint : 0
; COMPUTE_PGM_RSRC2:SCRATCH_EN: 0
; COMPUTE_PGM_RSRC2:USER_SGPR: 15
; COMPUTE_PGM_RSRC2:TRAP_HANDLER: 0
; COMPUTE_PGM_RSRC2:TGID_X_EN: 1
; COMPUTE_PGM_RSRC2:TGID_Y_EN: 0
; COMPUTE_PGM_RSRC2:TGID_Z_EN: 0
; COMPUTE_PGM_RSRC2:TIDIG_COMP_CNT: 0
	.section	.text._ZN9rocsparseL42csr2bsr_wavefront_per_row_multipass_kernelILj256ELj64ELj16E21rocsparse_complex_numIdEilEEv20rocsparse_direction_T4_S4_S4_S4_S4_21rocsparse_index_base_PKT2_PKT3_PKS4_S5_PS6_PS9_PS4_,"axG",@progbits,_ZN9rocsparseL42csr2bsr_wavefront_per_row_multipass_kernelILj256ELj64ELj16E21rocsparse_complex_numIdEilEEv20rocsparse_direction_T4_S4_S4_S4_S4_21rocsparse_index_base_PKT2_PKT3_PKS4_S5_PS6_PS9_PS4_,comdat
	.globl	_ZN9rocsparseL42csr2bsr_wavefront_per_row_multipass_kernelILj256ELj64ELj16E21rocsparse_complex_numIdEilEEv20rocsparse_direction_T4_S4_S4_S4_S4_21rocsparse_index_base_PKT2_PKT3_PKS4_S5_PS6_PS9_PS4_ ; -- Begin function _ZN9rocsparseL42csr2bsr_wavefront_per_row_multipass_kernelILj256ELj64ELj16E21rocsparse_complex_numIdEilEEv20rocsparse_direction_T4_S4_S4_S4_S4_21rocsparse_index_base_PKT2_PKT3_PKS4_S5_PS6_PS9_PS4_
	.p2align	8
	.type	_ZN9rocsparseL42csr2bsr_wavefront_per_row_multipass_kernelILj256ELj64ELj16E21rocsparse_complex_numIdEilEEv20rocsparse_direction_T4_S4_S4_S4_S4_21rocsparse_index_base_PKT2_PKT3_PKS4_S5_PS6_PS9_PS4_,@function
_ZN9rocsparseL42csr2bsr_wavefront_per_row_multipass_kernelILj256ELj64ELj16E21rocsparse_complex_numIdEilEEv20rocsparse_direction_T4_S4_S4_S4_S4_21rocsparse_index_base_PKT2_PKT3_PKS4_S5_PS6_PS9_PS4_: ; @_ZN9rocsparseL42csr2bsr_wavefront_per_row_multipass_kernelILj256ELj64ELj16E21rocsparse_complex_numIdEilEEv20rocsparse_direction_T4_S4_S4_S4_S4_21rocsparse_index_base_PKT2_PKT3_PKS4_S5_PS6_PS9_PS4_
; %bb.0:
	s_load_b64 s[12:13], s[0:1], 0x28
	v_lshrrev_b32_e32 v27, 6, v0
	s_mov_b32 s8, s15
	s_ashr_i32 s9, s15, 31
	s_clause 0x1
	s_load_b64 s[14:15], s[0:1], 0x8
	s_load_b128 s[4:7], s[0:1], 0x18
	s_lshl_b64 s[2:3], s[8:9], 2
	v_mov_b32_e32 v4, 0
	v_or_b32_e32 v5, s2, v27
	v_bfe_u32 v3, v0, 2, 4
	s_clause 0x1
	s_load_b32 s18, s[0:1], 0x30
	s_load_b64 s[10:11], s[0:1], 0x40
	v_mov_b32_e32 v8, v4
	s_waitcnt lgkmcnt(0)
	v_mul_lo_u32 v6, v5, s13
	v_mad_u64_u32 v[1:2], null, v5, s12, v[3:4]
	s_mul_i32 s2, s3, s12
	s_delay_alu instid0(VALU_DEP_1) | instid1(SALU_CYCLE_1)
	v_add3_u32 v2, s2, v2, v6
	v_cmp_gt_i64_e64 s2, s[12:13], v[3:4]
	s_delay_alu instid0(VALU_DEP_2) | instskip(NEXT) | instid1(VALU_DEP_2)
	v_cmp_gt_i64_e32 vcc_lo, s[14:15], v[1:2]
	s_and_b32 s3, s2, vcc_lo
	s_delay_alu instid0(SALU_CYCLE_1)
	s_and_saveexec_b32 s9, s3
	s_cbranch_execz .LBB164_2
; %bb.1:
	v_lshlrev_b64 v[5:6], 2, v[1:2]
	s_delay_alu instid0(VALU_DEP_1) | instskip(NEXT) | instid1(VALU_DEP_2)
	v_add_co_u32 v5, vcc_lo, s10, v5
	v_add_co_ci_u32_e32 v6, vcc_lo, s11, v6, vcc_lo
	global_load_b32 v5, v[5:6], off
	s_waitcnt vmcnt(0)
	v_subrev_nc_u32_e32 v8, s18, v5
.LBB164_2:
	s_or_b32 exec_lo, exec_lo, s9
	s_and_saveexec_b32 s9, s3
	s_cbranch_execz .LBB164_4
; %bb.3:
	v_lshlrev_b64 v[1:2], 2, v[1:2]
	s_delay_alu instid0(VALU_DEP_1) | instskip(NEXT) | instid1(VALU_DEP_2)
	v_add_co_u32 v1, vcc_lo, s10, v1
	v_add_co_ci_u32_e32 v2, vcc_lo, s11, v2, vcc_lo
	global_load_b32 v1, v[1:2], off offset:4
	s_waitcnt vmcnt(0)
	v_subrev_nc_u32_e32 v4, s18, v1
.LBB164_4:
	s_or_b32 exec_lo, exec_lo, s9
	s_load_b32 s19, s[0:1], 0x50
	v_mov_b32_e32 v2, 0
	v_lshl_or_b32 v1, s8, 2, v27
	s_mov_b32 s3, exec_lo
	s_delay_alu instid0(VALU_DEP_2) | instskip(NEXT) | instid1(VALU_DEP_2)
	v_mov_b32_e32 v5, v2
	v_cmpx_gt_i64_e64 s[4:5], v[1:2]
	s_cbranch_execz .LBB164_6
; %bb.5:
	s_load_b64 s[4:5], s[0:1], 0x60
	v_lshlrev_b64 v[1:2], 2, v[1:2]
	s_waitcnt lgkmcnt(0)
	s_delay_alu instid0(VALU_DEP_1) | instskip(NEXT) | instid1(VALU_DEP_2)
	v_add_co_u32 v1, vcc_lo, s4, v1
	v_add_co_ci_u32_e32 v2, vcc_lo, s5, v2, vcc_lo
	global_load_b32 v1, v[1:2], off
	s_waitcnt vmcnt(0)
	v_subrev_nc_u32_e32 v5, s19, v1
.LBB164_6:
	s_or_b32 exec_lo, exec_lo, s3
	v_cmp_lt_i64_e64 s3, s[6:7], 1
	s_delay_alu instid0(VALU_DEP_1)
	s_and_b32 vcc_lo, exec_lo, s3
	s_cbranch_vccnz .LBB164_44
; %bb.7:
	v_mad_u64_u32 v[1:2], null, v3, s12, 0
	v_mbcnt_lo_u32_b32 v11, -1, 0
	s_load_b64 s[10:11], s[0:1], 0x58
	v_dual_mov_b32 v7, 0 :: v_dual_lshlrev_b32 v6, 4, v3
	s_mul_i32 s3, s12, s13
	s_delay_alu instid0(VALU_DEP_2) | instskip(NEXT) | instid1(VALU_DEP_4)
	v_xor_b32_e32 v12, 2, v11
	v_mad_u64_u32 v[9:10], null, v3, s13, v[2:3]
	v_xor_b32_e32 v13, 1, v11
	s_mul_hi_u32 s4, s12, s12
	s_delay_alu instid0(VALU_DEP_3) | instskip(SKIP_3) | instid1(VALU_DEP_4)
	v_cmp_gt_i32_e32 vcc_lo, 32, v12
	s_add_i32 s8, s4, s3
	s_load_b64 s[4:5], s[0:1], 0x68
	v_lshl_or_b32 v33, v11, 2, 12
	v_dual_mov_b32 v2, v9 :: v_dual_cndmask_b32 v3, v11, v12
	v_cmp_gt_i32_e32 vcc_lo, 32, v13
	v_lshl_or_b32 v30, v27, 8, v6
	v_and_b32_e32 v9, 3, v0
	s_delay_alu instid0(VALU_DEP_4)
	v_lshlrev_b64 v[0:1], 4, v[1:2]
	v_or_b32_e32 v2, 32, v11
	v_cndmask_b32_e32 v10, v11, v13, vcc_lo
	s_clause 0x2
	s_load_b64 s[14:15], s[0:1], 0x48
	s_load_b64 s[16:17], s[0:1], 0x38
	s_load_b32 s0, s[0:1], 0x0
	v_or_b32_e32 v15, 12, v9
	s_waitcnt lgkmcnt(0)
	v_add_co_u32 v28, s1, s10, v6
	v_add_co_u32 v34, vcc_lo, s10, v0
	v_add_co_ci_u32_e32 v35, vcc_lo, s11, v1, vcc_lo
	v_xor_b32_e32 v0, 16, v11
	v_cmp_gt_i32_e32 vcc_lo, 32, v2
	v_or_b32_e32 v6, v30, v9
	v_mad_u64_u32 v[22:23], null, v15, s12, 0
	s_add_i32 s20, s8, s3
	v_cndmask_b32_e32 v1, v11, v2, vcc_lo
	v_xor_b32_e32 v2, 8, v11
	v_cmp_gt_i32_e32 vcc_lo, 32, v0
	v_lshlrev_b32_e32 v31, 2, v3
	v_xor_b32_e32 v3, 4, v11
	v_lshlrev_b32_e32 v37, 4, v6
	s_mov_b32 s8, 0
	v_cndmask_b32_e32 v0, v11, v0, vcc_lo
	v_cmp_gt_i32_e32 vcc_lo, 32, v2
	v_add_co_ci_u32_e64 v29, null, s11, 0, s1
	s_mov_b32 s9, s8
	s_delay_alu instid0(VALU_DEP_3)
	v_lshlrev_b32_e32 v38, 2, v0
	v_cndmask_b32_e32 v2, v11, v2, vcc_lo
	v_cmp_gt_i32_e32 vcc_lo, 32, v3
	v_lshlrev_b32_e32 v32, 2, v10
	v_or_b32_e32 v0, 4, v9
	v_mov_b32_e32 v10, v7
	s_mov_b32 s10, s8
	v_cndmask_b32_e32 v3, v11, v3, vcc_lo
	v_mad_u64_u32 v[11:12], null, v9, s12, 0
	v_mad_u64_u32 v[13:14], null, v0, s12, 0
	v_lshlrev_b32_e32 v36, 2, v1
	s_delay_alu instid0(VALU_DEP_4)
	v_lshlrev_b32_e32 v40, 2, v3
	v_cmp_gt_u64_e32 vcc_lo, s[12:13], v[9:10]
	v_dual_mov_b32 v10, v23 :: v_dual_mov_b32 v1, v12
	v_lshlrev_b32_e32 v39, 2, v2
	v_or_b32_e32 v2, 8, v9
	v_mov_b32_e32 v3, v14
	s_mov_b32 s11, s8
	v_mov_b32_e32 v16, v7
	s_cmp_lg_u32 s0, 0
	v_mad_u64_u32 v[17:18], null, v2, s12, 0
	v_mad_u64_u32 v[19:20], null, v9, s13, v[1:2]
	;; [unrolled: 1-line block ×3, first 2 shown]
	v_mov_b32_e32 v1, v7
	s_delay_alu instid0(VALU_DEP_4) | instskip(SKIP_2) | instid1(VALU_DEP_4)
	v_dual_mov_b32 v3, v7 :: v_dual_mov_b32 v6, v18
	v_bfrev_b32_e32 v41, 0.5
	v_mov_b32_e32 v12, v19
	v_cmp_gt_u64_e64 s0, s[12:13], v[0:1]
	v_mov_b32_e32 v14, v20
	v_mad_u64_u32 v[23:24], null, v2, s13, v[6:7]
	v_mad_u64_u32 v[24:25], null, v15, s13, v[10:11]
	v_cmp_gt_u64_e64 s1, s[12:13], v[2:3]
	v_dual_mov_b32 v0, s8 :: v_dual_mov_b32 v1, s9
	v_cmp_gt_u64_e64 s3, s[12:13], v[15:16]
	v_dual_mov_b32 v18, v23 :: v_dual_mov_b32 v3, s11
	v_dual_mov_b32 v23, v24 :: v_dual_mov_b32 v20, 0
	v_mov_b32_e32 v45, 1
	v_mov_b32_e32 v21, 0
	v_lshlrev_b64 v[10:11], 4, v[11:12]
	v_lshlrev_b64 v[12:13], 4, v[13:14]
	;; [unrolled: 1-line block ×4, first 2 shown]
	v_or_b32_e32 v42, 64, v37
	v_or_b32_e32 v43, 0x80, v37
	;; [unrolled: 1-line block ×3, first 2 shown]
	v_mov_b32_e32 v2, s10
	v_mov_b32_e32 v46, 0
	s_mul_i32 s21, s12, s12
	s_cselect_b32 s22, -1, 0
	s_and_b32 s23, s2, vcc_lo
	s_and_b32 s24, s2, s0
	s_and_b32 s1, s2, s1
	;; [unrolled: 1-line block ×3, first 2 shown]
	s_ashr_i32 s2, s13, 31
	s_sub_i32 s25, 0, s12
	s_branch .LBB164_11
.LBB164_8:                              ;   in Loop: Header=BB164_11 Depth=1
	v_mov_b32_e32 v23, s10
.LBB164_9:                              ;   in Loop: Header=BB164_11 Depth=1
	s_or_b32 exec_lo, exec_lo, s3
.LBB164_10:                             ;   in Loop: Header=BB164_11 Depth=1
	s_delay_alu instid0(SALU_CYCLE_1)
	s_or_b32 exec_lo, exec_lo, s0
	ds_bpermute_b32 v20, v36, v18
	ds_bpermute_b32 v21, v36, v19
	s_waitcnt lgkmcnt(0)
	s_waitcnt_vscnt null, 0x0
	buffer_gl0_inv
	buffer_gl0_inv
	v_add_nc_u32_e32 v5, v23, v5
	v_cmp_lt_i64_e32 vcc_lo, v[20:21], v[18:19]
	v_dual_cndmask_b32 v19, v19, v21 :: v_dual_cndmask_b32 v18, v18, v20
	ds_bpermute_b32 v21, v38, v19
	ds_bpermute_b32 v20, v38, v18
	s_waitcnt lgkmcnt(0)
	v_cmp_lt_i64_e32 vcc_lo, v[20:21], v[18:19]
	v_dual_cndmask_b32 v19, v19, v21 :: v_dual_cndmask_b32 v18, v18, v20
	ds_bpermute_b32 v21, v39, v19
	ds_bpermute_b32 v20, v39, v18
	s_waitcnt lgkmcnt(0)
	;; [unrolled: 5-line block ×5, first 2 shown]
	v_cmp_lt_i64_e32 vcc_lo, v[20:21], v[18:19]
	v_cndmask_b32_e32 v6, v18, v20, vcc_lo
	ds_bpermute_b32 v20, v41, v6
	s_waitcnt lgkmcnt(0)
	v_ashrrev_i32_e32 v21, 31, v20
	v_mov_b32_e32 v46, v20
	s_delay_alu instid0(VALU_DEP_2) | instskip(SKIP_1) | instid1(SALU_CYCLE_1)
	v_cmp_le_i64_e32 vcc_lo, s[6:7], v[20:21]
	s_or_b32 s8, vcc_lo, s8
	s_and_not1_b32 exec_lo, exec_lo, s8
	s_cbranch_execz .LBB164_44
.LBB164_11:                             ; =>This Loop Header: Depth=1
                                        ;     Child Loop BB164_14 Depth 2
	v_dual_mov_b32 v19, s7 :: v_dual_add_nc_u32 v22, v8, v9
	v_mov_b32_e32 v18, s6
	v_mov_b32_e32 v8, v4
	s_mov_b32 s26, exec_lo
	ds_store_b8 v27, v7 offset:16384
	ds_store_b128 v37, v[0:3]
	ds_store_b128 v37, v[0:3] offset:64
	ds_store_b128 v37, v[0:3] offset:128
	;; [unrolled: 1-line block ×3, first 2 shown]
	s_waitcnt lgkmcnt(0)
	buffer_gl0_inv
	v_cmpx_lt_i32_e64 v22, v4
	s_cbranch_execz .LBB164_23
; %bb.12:                               ;   in Loop: Header=BB164_11 Depth=1
	v_mad_u64_u32 v[24:25], null, v20, s12, 0
	v_dual_mov_b32 v19, s7 :: v_dual_mov_b32 v18, s6
	v_mov_b32_e32 v6, v4
	s_mov_b32 s27, 0
	s_branch .LBB164_14
.LBB164_13:                             ;   in Loop: Header=BB164_14 Depth=2
	s_or_b32 exec_lo, exec_lo, s3
	v_add_nc_u32_e32 v22, 4, v22
	s_xor_b32 s3, vcc_lo, -1
	v_mov_b32_e32 v6, v8
	s_delay_alu instid0(VALU_DEP_2) | instskip(NEXT) | instid1(VALU_DEP_1)
	v_cmp_ge_i32_e64 s0, v22, v4
	s_or_b32 s0, s3, s0
	s_delay_alu instid0(SALU_CYCLE_1) | instskip(NEXT) | instid1(SALU_CYCLE_1)
	s_and_b32 s0, exec_lo, s0
	s_or_b32 s27, s0, s27
	s_delay_alu instid0(SALU_CYCLE_1)
	s_and_not1_b32 exec_lo, exec_lo, s27
	s_cbranch_execz .LBB164_22
.LBB164_14:                             ;   Parent Loop BB164_11 Depth=1
                                        ; =>  This Inner Loop Header: Depth=2
	v_ashrrev_i32_e32 v23, 31, v22
	s_mov_b32 s0, exec_lo
	s_delay_alu instid0(VALU_DEP_1) | instskip(NEXT) | instid1(VALU_DEP_1)
	v_lshlrev_b64 v[25:26], 3, v[22:23]
	v_add_co_u32 v25, vcc_lo, s14, v25
	s_delay_alu instid0(VALU_DEP_2) | instskip(SKIP_4) | instid1(VALU_DEP_1)
	v_add_co_ci_u32_e32 v26, vcc_lo, s15, v26, vcc_lo
	global_load_b64 v[25:26], v[25:26], off
	s_waitcnt vmcnt(0)
	v_sub_co_u32 v47, vcc_lo, v25, s18
	v_subrev_co_ci_u32_e32 v48, vcc_lo, 0, v26, vcc_lo
                                        ; implicit-def: $vgpr25_vgpr26
	v_or_b32_e32 v8, s13, v48
	s_delay_alu instid0(VALU_DEP_1)
	v_cmpx_ne_u64_e32 0, v[7:8]
	s_xor_b32 s28, exec_lo, s0
	s_cbranch_execz .LBB164_16
; %bb.15:                               ;   in Loop: Header=BB164_14 Depth=2
	s_add_u32 s10, s12, s2
	s_mov_b32 s3, s2
	s_addc_u32 s11, s13, s2
	s_delay_alu instid0(SALU_CYCLE_1) | instskip(NEXT) | instid1(SALU_CYCLE_1)
	s_xor_b64 s[10:11], s[10:11], s[2:3]
	v_cvt_f32_u32_e32 v8, s10
	v_cvt_f32_u32_e32 v25, s11
	s_sub_u32 s0, 0, s10
	s_subb_u32 s3, 0, s11
	s_delay_alu instid0(VALU_DEP_1) | instskip(NEXT) | instid1(VALU_DEP_1)
	v_fmac_f32_e32 v8, 0x4f800000, v25
	v_rcp_f32_e32 v8, v8
	s_waitcnt_depctr 0xfff
	v_mul_f32_e32 v8, 0x5f7ffffc, v8
	s_delay_alu instid0(VALU_DEP_1) | instskip(NEXT) | instid1(VALU_DEP_1)
	v_mul_f32_e32 v25, 0x2f800000, v8
	v_trunc_f32_e32 v25, v25
	s_delay_alu instid0(VALU_DEP_1) | instskip(SKIP_1) | instid1(VALU_DEP_2)
	v_fmac_f32_e32 v8, 0xcf800000, v25
	v_cvt_u32_f32_e32 v25, v25
	v_cvt_u32_f32_e32 v8, v8
	s_delay_alu instid0(VALU_DEP_2) | instskip(NEXT) | instid1(VALU_DEP_2)
	v_mul_lo_u32 v26, s0, v25
	v_mul_hi_u32 v49, s0, v8
	v_mul_lo_u32 v50, s3, v8
	s_delay_alu instid0(VALU_DEP_2) | instskip(SKIP_1) | instid1(VALU_DEP_2)
	v_add_nc_u32_e32 v26, v49, v26
	v_mul_lo_u32 v49, s0, v8
	v_add_nc_u32_e32 v26, v26, v50
	s_delay_alu instid0(VALU_DEP_2) | instskip(NEXT) | instid1(VALU_DEP_2)
	v_mul_hi_u32 v50, v8, v49
	v_mul_lo_u32 v51, v8, v26
	v_mul_hi_u32 v52, v8, v26
	v_mul_hi_u32 v53, v25, v49
	v_mul_lo_u32 v49, v25, v49
	v_mul_hi_u32 v54, v25, v26
	v_mul_lo_u32 v26, v25, v26
	v_add_co_u32 v50, vcc_lo, v50, v51
	v_add_co_ci_u32_e32 v51, vcc_lo, 0, v52, vcc_lo
	s_delay_alu instid0(VALU_DEP_2) | instskip(NEXT) | instid1(VALU_DEP_2)
	v_add_co_u32 v49, vcc_lo, v50, v49
	v_add_co_ci_u32_e32 v49, vcc_lo, v51, v53, vcc_lo
	v_add_co_ci_u32_e32 v50, vcc_lo, 0, v54, vcc_lo
	v_ashrrev_i32_e32 v53, 31, v48
	s_delay_alu instid0(VALU_DEP_3) | instskip(NEXT) | instid1(VALU_DEP_3)
	v_add_co_u32 v26, vcc_lo, v49, v26
	v_add_co_ci_u32_e32 v49, vcc_lo, 0, v50, vcc_lo
	s_delay_alu instid0(VALU_DEP_2) | instskip(NEXT) | instid1(VALU_DEP_2)
	v_add_co_u32 v8, vcc_lo, v8, v26
	v_add_co_ci_u32_e32 v25, vcc_lo, v25, v49, vcc_lo
	s_delay_alu instid0(VALU_DEP_2) | instskip(SKIP_1) | instid1(VALU_DEP_3)
	v_mul_hi_u32 v26, s0, v8
	v_mul_lo_u32 v50, s3, v8
	v_mul_lo_u32 v49, s0, v25
	s_delay_alu instid0(VALU_DEP_1) | instskip(SKIP_1) | instid1(VALU_DEP_2)
	v_add_nc_u32_e32 v26, v26, v49
	v_mul_lo_u32 v49, s0, v8
	v_add_nc_u32_e32 v26, v26, v50
	s_delay_alu instid0(VALU_DEP_2) | instskip(NEXT) | instid1(VALU_DEP_2)
	v_mul_hi_u32 v50, v8, v49
	v_mul_lo_u32 v51, v8, v26
	v_mul_hi_u32 v52, v8, v26
	v_mul_hi_u32 v54, v25, v49
	v_mul_lo_u32 v49, v25, v49
	v_mul_hi_u32 v55, v25, v26
	v_mul_lo_u32 v26, v25, v26
	v_add_co_u32 v50, vcc_lo, v50, v51
	v_add_co_ci_u32_e32 v51, vcc_lo, 0, v52, vcc_lo
	s_delay_alu instid0(VALU_DEP_2) | instskip(NEXT) | instid1(VALU_DEP_2)
	v_add_co_u32 v49, vcc_lo, v50, v49
	v_add_co_ci_u32_e32 v49, vcc_lo, v51, v54, vcc_lo
	v_add_co_ci_u32_e32 v50, vcc_lo, 0, v55, vcc_lo
	v_add_co_u32 v51, vcc_lo, v47, v53
	v_add_co_ci_u32_e32 v48, vcc_lo, v48, v53, vcc_lo
	s_delay_alu instid0(VALU_DEP_4) | instskip(NEXT) | instid1(VALU_DEP_4)
	v_add_co_u32 v26, vcc_lo, v49, v26
	v_add_co_ci_u32_e32 v49, vcc_lo, 0, v50, vcc_lo
	s_delay_alu instid0(VALU_DEP_4) | instskip(NEXT) | instid1(VALU_DEP_3)
	v_xor_b32_e32 v52, v51, v53
	v_add_co_u32 v8, vcc_lo, v8, v26
	s_delay_alu instid0(VALU_DEP_3) | instskip(SKIP_1) | instid1(VALU_DEP_3)
	v_add_co_ci_u32_e32 v54, vcc_lo, v25, v49, vcc_lo
	v_xor_b32_e32 v55, v48, v53
	v_mul_hi_u32 v56, v52, v8
	s_delay_alu instid0(VALU_DEP_3) | instskip(NEXT) | instid1(VALU_DEP_3)
	v_mad_u64_u32 v[25:26], null, v52, v54, 0
	v_mad_u64_u32 v[48:49], null, v55, v8, 0
	;; [unrolled: 1-line block ×3, first 2 shown]
	s_delay_alu instid0(VALU_DEP_3) | instskip(NEXT) | instid1(VALU_DEP_4)
	v_add_co_u32 v8, vcc_lo, v56, v25
	v_add_co_ci_u32_e32 v25, vcc_lo, 0, v26, vcc_lo
	s_delay_alu instid0(VALU_DEP_2) | instskip(NEXT) | instid1(VALU_DEP_2)
	v_add_co_u32 v8, vcc_lo, v8, v48
	v_add_co_ci_u32_e32 v8, vcc_lo, v25, v49, vcc_lo
	v_add_co_ci_u32_e32 v25, vcc_lo, 0, v51, vcc_lo
	s_delay_alu instid0(VALU_DEP_2) | instskip(NEXT) | instid1(VALU_DEP_2)
	v_add_co_u32 v8, vcc_lo, v8, v50
	v_add_co_ci_u32_e32 v48, vcc_lo, 0, v25, vcc_lo
	s_delay_alu instid0(VALU_DEP_2) | instskip(SKIP_1) | instid1(VALU_DEP_3)
	v_mul_lo_u32 v49, s11, v8
	v_mad_u64_u32 v[25:26], null, s10, v8, 0
	v_mul_lo_u32 v50, s10, v48
	s_delay_alu instid0(VALU_DEP_2) | instskip(NEXT) | instid1(VALU_DEP_2)
	v_sub_co_u32 v25, vcc_lo, v52, v25
	v_add3_u32 v26, v26, v50, v49
	s_delay_alu instid0(VALU_DEP_1) | instskip(NEXT) | instid1(VALU_DEP_1)
	v_sub_nc_u32_e32 v49, v55, v26
	v_subrev_co_ci_u32_e64 v49, s0, s11, v49, vcc_lo
	v_add_co_u32 v50, s0, v8, 2
	s_delay_alu instid0(VALU_DEP_1) | instskip(SKIP_3) | instid1(VALU_DEP_3)
	v_add_co_ci_u32_e64 v51, s0, 0, v48, s0
	v_sub_co_u32 v52, s0, v25, s10
	v_sub_co_ci_u32_e32 v26, vcc_lo, v55, v26, vcc_lo
	v_subrev_co_ci_u32_e64 v49, s0, 0, v49, s0
	v_cmp_le_u32_e32 vcc_lo, s10, v52
	s_delay_alu instid0(VALU_DEP_3) | instskip(SKIP_1) | instid1(VALU_DEP_4)
	v_cmp_eq_u32_e64 s0, s11, v26
	v_cndmask_b32_e64 v52, 0, -1, vcc_lo
	v_cmp_le_u32_e32 vcc_lo, s11, v49
	v_cndmask_b32_e64 v54, 0, -1, vcc_lo
	v_cmp_le_u32_e32 vcc_lo, s10, v25
	;; [unrolled: 2-line block ×3, first 2 shown]
	v_cndmask_b32_e64 v55, 0, -1, vcc_lo
	v_cmp_eq_u32_e32 vcc_lo, s11, v49
	s_delay_alu instid0(VALU_DEP_2) | instskip(SKIP_3) | instid1(VALU_DEP_3)
	v_cndmask_b32_e64 v25, v55, v25, s0
	v_cndmask_b32_e32 v49, v54, v52, vcc_lo
	v_add_co_u32 v52, vcc_lo, v8, 1
	v_add_co_ci_u32_e32 v54, vcc_lo, 0, v48, vcc_lo
	v_cmp_ne_u32_e32 vcc_lo, 0, v49
	s_delay_alu instid0(VALU_DEP_2) | instskip(SKIP_2) | instid1(VALU_DEP_3)
	v_dual_cndmask_b32 v26, v54, v51 :: v_dual_cndmask_b32 v49, v52, v50
	v_cmp_ne_u32_e32 vcc_lo, 0, v25
	v_xor_b32_e32 v50, s2, v53
	v_cndmask_b32_e32 v25, v48, v26, vcc_lo
	s_delay_alu instid0(VALU_DEP_4) | instskip(NEXT) | instid1(VALU_DEP_2)
	v_cndmask_b32_e32 v8, v8, v49, vcc_lo
	v_xor_b32_e32 v26, v25, v50
	s_delay_alu instid0(VALU_DEP_2) | instskip(NEXT) | instid1(VALU_DEP_1)
	v_xor_b32_e32 v8, v8, v50
	v_sub_co_u32 v25, vcc_lo, v8, v50
	s_delay_alu instid0(VALU_DEP_3)
	v_sub_co_ci_u32_e32 v26, vcc_lo, v26, v50, vcc_lo
.LBB164_16:                             ;   in Loop: Header=BB164_14 Depth=2
	s_and_not1_saveexec_b32 s0, s28
	s_cbranch_execz .LBB164_18
; %bb.17:                               ;   in Loop: Header=BB164_14 Depth=2
	v_cvt_f32_u32_e32 v8, s12
	s_delay_alu instid0(VALU_DEP_1) | instskip(SKIP_2) | instid1(VALU_DEP_1)
	v_rcp_iflag_f32_e32 v8, v8
	s_waitcnt_depctr 0xfff
	v_mul_f32_e32 v8, 0x4f7ffffe, v8
	v_cvt_u32_f32_e32 v8, v8
	s_delay_alu instid0(VALU_DEP_1) | instskip(NEXT) | instid1(VALU_DEP_1)
	v_mul_lo_u32 v25, s25, v8
	v_mul_hi_u32 v25, v8, v25
	s_delay_alu instid0(VALU_DEP_1) | instskip(NEXT) | instid1(VALU_DEP_1)
	v_add_nc_u32_e32 v8, v8, v25
	v_mul_hi_u32 v8, v47, v8
	s_delay_alu instid0(VALU_DEP_1) | instskip(SKIP_1) | instid1(VALU_DEP_2)
	v_mul_lo_u32 v25, v8, s12
	v_add_nc_u32_e32 v26, 1, v8
	v_sub_nc_u32_e32 v25, v47, v25
	s_delay_alu instid0(VALU_DEP_1) | instskip(SKIP_1) | instid1(VALU_DEP_2)
	v_subrev_nc_u32_e32 v48, s12, v25
	v_cmp_le_u32_e32 vcc_lo, s12, v25
	v_dual_cndmask_b32 v25, v25, v48 :: v_dual_cndmask_b32 v8, v8, v26
	s_delay_alu instid0(VALU_DEP_1) | instskip(NEXT) | instid1(VALU_DEP_2)
	v_cmp_le_u32_e32 vcc_lo, s12, v25
	v_add_nc_u32_e32 v26, 1, v8
	s_delay_alu instid0(VALU_DEP_1)
	v_dual_cndmask_b32 v25, v8, v26 :: v_dual_mov_b32 v26, v7
.LBB164_18:                             ;   in Loop: Header=BB164_14 Depth=2
	s_or_b32 exec_lo, exec_lo, s0
	s_delay_alu instid0(VALU_DEP_1)
	v_cmp_eq_u64_e32 vcc_lo, v[25:26], v[20:21]
	s_mov_b32 s3, exec_lo
	v_cmpx_ne_u64_e64 v[25:26], v[20:21]
	s_xor_b32 s3, exec_lo, s3
; %bb.19:                               ;   in Loop: Header=BB164_14 Depth=2
	v_cmp_lt_i64_e64 s0, v[25:26], v[18:19]
                                        ; implicit-def: $vgpr47
                                        ; implicit-def: $vgpr6
	s_delay_alu instid0(VALU_DEP_1)
	v_cndmask_b32_e64 v19, v19, v26, s0
	v_cndmask_b32_e64 v18, v18, v25, s0
; %bb.20:                               ;   in Loop: Header=BB164_14 Depth=2
	s_or_saveexec_b32 s3, s3
	v_mov_b32_e32 v8, v22
	s_xor_b32 exec_lo, exec_lo, s3
	s_cbranch_execz .LBB164_13
; %bb.21:                               ;   in Loop: Header=BB164_14 Depth=2
	v_lshlrev_b64 v[25:26], 4, v[22:23]
	v_sub_nc_u32_e32 v8, v47, v24
	s_delay_alu instid0(VALU_DEP_1) | instskip(NEXT) | instid1(VALU_DEP_3)
	v_add_lshl_u32 v23, v30, v8, 4
	v_add_co_u32 v25, s0, s16, v25
	s_delay_alu instid0(VALU_DEP_1)
	v_add_co_ci_u32_e64 v26, s0, s17, v26, s0
	v_mov_b32_e32 v8, v6
	global_load_b128 v[48:51], v[25:26], off
	ds_store_b8 v27, v45 offset:16384
	s_waitcnt vmcnt(0)
	ds_store_2addr_b64 v23, v[48:49], v[50:51] offset1:1
	s_branch .LBB164_13
.LBB164_22:                             ;   in Loop: Header=BB164_11 Depth=1
	s_or_b32 exec_lo, exec_lo, s27
.LBB164_23:                             ;   in Loop: Header=BB164_11 Depth=1
	s_delay_alu instid0(SALU_CYCLE_1)
	s_or_b32 exec_lo, exec_lo, s26
	ds_bpermute_b32 v6, v31, v8
	s_waitcnt lgkmcnt(0)
	buffer_gl0_inv
	ds_load_u8 v20, v27 offset:16384
	s_mov_b32 s0, exec_lo
	v_mov_b32_e32 v23, 0
	v_min_i32_e32 v6, v6, v8
	ds_bpermute_b32 v8, v32, v6
	s_waitcnt lgkmcnt(0)
	v_min_i32_e32 v6, v8, v6
	ds_bpermute_b32 v8, v33, v6
	v_and_b32_e32 v6, 1, v20
	s_delay_alu instid0(VALU_DEP_1)
	v_cmpx_eq_u32_e32 1, v6
	s_cbranch_execz .LBB164_10
; %bb.24:                               ;   in Loop: Header=BB164_11 Depth=1
	v_ashrrev_i32_e32 v6, 31, v5
	v_mul_lo_u32 v22, s20, v5
	v_mad_u64_u32 v[20:21], null, s21, v5, 0
	v_add_nc_u32_e32 v23, s19, v46
	s_delay_alu instid0(VALU_DEP_4) | instskip(SKIP_1) | instid1(VALU_DEP_1)
	v_mul_lo_u32 v24, s21, v6
	v_lshlrev_b64 v[25:26], 3, v[5:6]
	v_add_co_u32 v25, vcc_lo, s4, v25
	s_delay_alu instid0(VALU_DEP_3) | instskip(NEXT) | instid1(VALU_DEP_3)
	v_add3_u32 v21, v21, v24, v22
	v_add_co_ci_u32_e32 v26, vcc_lo, s5, v26, vcc_lo
	v_ashrrev_i32_e32 v24, 31, v23
	s_delay_alu instid0(VALU_DEP_3)
	v_lshlrev_b64 v[46:47], 4, v[20:21]
	global_store_b64 v[25:26], v[23:24], off
	v_add_co_u32 v21, vcc_lo, v28, v46
	v_add_co_ci_u32_e32 v22, vcc_lo, v29, v47, vcc_lo
	v_add_co_u32 v6, vcc_lo, v34, v46
	v_add_co_ci_u32_e32 v20, vcc_lo, v35, v47, vcc_lo
	s_and_saveexec_b32 s3, s23
	s_cbranch_execz .LBB164_28
; %bb.25:                               ;   in Loop: Header=BB164_11 Depth=1
	s_and_b32 vcc_lo, exec_lo, s22
	s_cbranch_vccz .LBB164_39
; %bb.26:                               ;   in Loop: Header=BB164_11 Depth=1
	ds_load_2addr_b64 v[23:26], v37 offset1:1
	v_add_co_u32 v46, vcc_lo, v21, v10
	v_add_co_ci_u32_e32 v47, vcc_lo, v22, v11, vcc_lo
	s_waitcnt lgkmcnt(0)
	global_store_b128 v[46:47], v[23:26], off
	s_cbranch_execnz .LBB164_28
.LBB164_27:                             ;   in Loop: Header=BB164_11 Depth=1
	ds_load_2addr_b64 v[23:26], v37 offset1:1
	v_lshlrev_b32_e32 v46, 4, v9
	s_delay_alu instid0(VALU_DEP_1)
	v_add_co_u32 v46, vcc_lo, v6, v46
	v_add_co_ci_u32_e32 v47, vcc_lo, 0, v20, vcc_lo
	s_waitcnt lgkmcnt(0)
	global_store_b128 v[46:47], v[23:26], off
.LBB164_28:                             ;   in Loop: Header=BB164_11 Depth=1
	s_or_b32 exec_lo, exec_lo, s3
	s_and_saveexec_b32 s3, s24
	s_cbranch_execz .LBB164_32
; %bb.29:                               ;   in Loop: Header=BB164_11 Depth=1
	s_and_not1_b32 vcc_lo, exec_lo, s22
	s_cbranch_vccnz .LBB164_40
; %bb.30:                               ;   in Loop: Header=BB164_11 Depth=1
	ds_load_2addr_b64 v[23:26], v42 offset1:1
	v_add_co_u32 v46, vcc_lo, v21, v12
	v_add_co_ci_u32_e32 v47, vcc_lo, v22, v13, vcc_lo
	s_waitcnt lgkmcnt(0)
	global_store_b128 v[46:47], v[23:26], off
	s_cbranch_execnz .LBB164_32
.LBB164_31:                             ;   in Loop: Header=BB164_11 Depth=1
	ds_load_2addr_b64 v[23:26], v42 offset1:1
	v_lshlrev_b32_e32 v46, 4, v9
	s_delay_alu instid0(VALU_DEP_1)
	v_add_co_u32 v46, vcc_lo, v6, v46
	v_add_co_ci_u32_e32 v47, vcc_lo, 0, v20, vcc_lo
	s_waitcnt lgkmcnt(0)
	global_store_b128 v[46:47], v[23:26], off offset:64
.LBB164_32:                             ;   in Loop: Header=BB164_11 Depth=1
	s_or_b32 exec_lo, exec_lo, s3
	s_and_saveexec_b32 s3, s1
	s_cbranch_execz .LBB164_36
; %bb.33:                               ;   in Loop: Header=BB164_11 Depth=1
	s_and_not1_b32 vcc_lo, exec_lo, s22
	s_cbranch_vccnz .LBB164_41
; %bb.34:                               ;   in Loop: Header=BB164_11 Depth=1
	ds_load_2addr_b64 v[23:26], v43 offset1:1
	v_add_co_u32 v46, vcc_lo, v21, v14
	v_add_co_ci_u32_e32 v47, vcc_lo, v22, v15, vcc_lo
	s_waitcnt lgkmcnt(0)
	global_store_b128 v[46:47], v[23:26], off
	s_cbranch_execnz .LBB164_36
.LBB164_35:                             ;   in Loop: Header=BB164_11 Depth=1
	ds_load_2addr_b64 v[23:26], v43 offset1:1
	v_lshlrev_b32_e32 v46, 4, v9
	s_delay_alu instid0(VALU_DEP_1)
	v_add_co_u32 v46, vcc_lo, v6, v46
	v_add_co_ci_u32_e32 v47, vcc_lo, 0, v20, vcc_lo
	s_waitcnt lgkmcnt(0)
	global_store_b128 v[46:47], v[23:26], off offset:128
.LBB164_36:                             ;   in Loop: Header=BB164_11 Depth=1
	s_or_b32 exec_lo, exec_lo, s3
	v_mov_b32_e32 v23, 1
	s_and_saveexec_b32 s3, s9
	s_cbranch_execz .LBB164_9
; %bb.37:                               ;   in Loop: Header=BB164_11 Depth=1
	s_and_not1_b32 vcc_lo, exec_lo, s22
	s_cbranch_vccnz .LBB164_42
; %bb.38:                               ;   in Loop: Header=BB164_11 Depth=1
	ds_load_2addr_b64 v[23:26], v44 offset1:1
	v_add_co_u32 v21, vcc_lo, v21, v16
	v_add_co_ci_u32_e32 v22, vcc_lo, v22, v17, vcc_lo
	s_mov_b32 s10, 1
	s_waitcnt lgkmcnt(0)
	global_store_b128 v[21:22], v[23:26], off
	s_cbranch_execnz .LBB164_8
	s_branch .LBB164_43
.LBB164_39:                             ;   in Loop: Header=BB164_11 Depth=1
	s_branch .LBB164_27
.LBB164_40:                             ;   in Loop: Header=BB164_11 Depth=1
	s_branch .LBB164_31
.LBB164_41:                             ;   in Loop: Header=BB164_11 Depth=1
	s_branch .LBB164_35
.LBB164_42:                             ;   in Loop: Header=BB164_11 Depth=1
                                        ; implicit-def: $sgpr10
.LBB164_43:                             ;   in Loop: Header=BB164_11 Depth=1
	ds_load_2addr_b64 v[21:24], v44 offset1:1
	v_lshlrev_b32_e32 v25, 4, v9
	s_mov_b32 s10, 1
	s_delay_alu instid0(VALU_DEP_1)
	v_add_co_u32 v25, vcc_lo, v6, v25
	v_add_co_ci_u32_e32 v26, vcc_lo, 0, v20, vcc_lo
	s_waitcnt lgkmcnt(0)
	global_store_b128 v[25:26], v[21:24], off offset:192
	s_branch .LBB164_8
.LBB164_44:
	s_endpgm
	.section	.rodata,"a",@progbits
	.p2align	6, 0x0
	.amdhsa_kernel _ZN9rocsparseL42csr2bsr_wavefront_per_row_multipass_kernelILj256ELj64ELj16E21rocsparse_complex_numIdEilEEv20rocsparse_direction_T4_S4_S4_S4_S4_21rocsparse_index_base_PKT2_PKT3_PKS4_S5_PS6_PS9_PS4_
		.amdhsa_group_segment_fixed_size 16392
		.amdhsa_private_segment_fixed_size 0
		.amdhsa_kernarg_size 112
		.amdhsa_user_sgpr_count 15
		.amdhsa_user_sgpr_dispatch_ptr 0
		.amdhsa_user_sgpr_queue_ptr 0
		.amdhsa_user_sgpr_kernarg_segment_ptr 1
		.amdhsa_user_sgpr_dispatch_id 0
		.amdhsa_user_sgpr_private_segment_size 0
		.amdhsa_wavefront_size32 1
		.amdhsa_uses_dynamic_stack 0
		.amdhsa_enable_private_segment 0
		.amdhsa_system_sgpr_workgroup_id_x 1
		.amdhsa_system_sgpr_workgroup_id_y 0
		.amdhsa_system_sgpr_workgroup_id_z 0
		.amdhsa_system_sgpr_workgroup_info 0
		.amdhsa_system_vgpr_workitem_id 0
		.amdhsa_next_free_vgpr 57
		.amdhsa_next_free_sgpr 29
		.amdhsa_reserve_vcc 1
		.amdhsa_float_round_mode_32 0
		.amdhsa_float_round_mode_16_64 0
		.amdhsa_float_denorm_mode_32 3
		.amdhsa_float_denorm_mode_16_64 3
		.amdhsa_dx10_clamp 1
		.amdhsa_ieee_mode 1
		.amdhsa_fp16_overflow 0
		.amdhsa_workgroup_processor_mode 1
		.amdhsa_memory_ordered 1
		.amdhsa_forward_progress 0
		.amdhsa_shared_vgpr_count 0
		.amdhsa_exception_fp_ieee_invalid_op 0
		.amdhsa_exception_fp_denorm_src 0
		.amdhsa_exception_fp_ieee_div_zero 0
		.amdhsa_exception_fp_ieee_overflow 0
		.amdhsa_exception_fp_ieee_underflow 0
		.amdhsa_exception_fp_ieee_inexact 0
		.amdhsa_exception_int_div_zero 0
	.end_amdhsa_kernel
	.section	.text._ZN9rocsparseL42csr2bsr_wavefront_per_row_multipass_kernelILj256ELj64ELj16E21rocsparse_complex_numIdEilEEv20rocsparse_direction_T4_S4_S4_S4_S4_21rocsparse_index_base_PKT2_PKT3_PKS4_S5_PS6_PS9_PS4_,"axG",@progbits,_ZN9rocsparseL42csr2bsr_wavefront_per_row_multipass_kernelILj256ELj64ELj16E21rocsparse_complex_numIdEilEEv20rocsparse_direction_T4_S4_S4_S4_S4_21rocsparse_index_base_PKT2_PKT3_PKS4_S5_PS6_PS9_PS4_,comdat
.Lfunc_end164:
	.size	_ZN9rocsparseL42csr2bsr_wavefront_per_row_multipass_kernelILj256ELj64ELj16E21rocsparse_complex_numIdEilEEv20rocsparse_direction_T4_S4_S4_S4_S4_21rocsparse_index_base_PKT2_PKT3_PKS4_S5_PS6_PS9_PS4_, .Lfunc_end164-_ZN9rocsparseL42csr2bsr_wavefront_per_row_multipass_kernelILj256ELj64ELj16E21rocsparse_complex_numIdEilEEv20rocsparse_direction_T4_S4_S4_S4_S4_21rocsparse_index_base_PKT2_PKT3_PKS4_S5_PS6_PS9_PS4_
                                        ; -- End function
	.section	.AMDGPU.csdata,"",@progbits
; Kernel info:
; codeLenInByte = 3196
; NumSgprs: 31
; NumVgprs: 57
; ScratchSize: 0
; MemoryBound: 0
; FloatMode: 240
; IeeeMode: 1
; LDSByteSize: 16392 bytes/workgroup (compile time only)
; SGPRBlocks: 3
; VGPRBlocks: 7
; NumSGPRsForWavesPerEU: 31
; NumVGPRsForWavesPerEU: 57
; Occupancy: 14
; WaveLimiterHint : 0
; COMPUTE_PGM_RSRC2:SCRATCH_EN: 0
; COMPUTE_PGM_RSRC2:USER_SGPR: 15
; COMPUTE_PGM_RSRC2:TRAP_HANDLER: 0
; COMPUTE_PGM_RSRC2:TGID_X_EN: 1
; COMPUTE_PGM_RSRC2:TGID_Y_EN: 0
; COMPUTE_PGM_RSRC2:TGID_Z_EN: 0
; COMPUTE_PGM_RSRC2:TIDIG_COMP_CNT: 0
	.section	.text._ZN9rocsparseL42csr2bsr_wavefront_per_row_multipass_kernelILj256ELj32ELj16E21rocsparse_complex_numIdEilEEv20rocsparse_direction_T4_S4_S4_S4_S4_21rocsparse_index_base_PKT2_PKT3_PKS4_S5_PS6_PS9_PS4_,"axG",@progbits,_ZN9rocsparseL42csr2bsr_wavefront_per_row_multipass_kernelILj256ELj32ELj16E21rocsparse_complex_numIdEilEEv20rocsparse_direction_T4_S4_S4_S4_S4_21rocsparse_index_base_PKT2_PKT3_PKS4_S5_PS6_PS9_PS4_,comdat
	.globl	_ZN9rocsparseL42csr2bsr_wavefront_per_row_multipass_kernelILj256ELj32ELj16E21rocsparse_complex_numIdEilEEv20rocsparse_direction_T4_S4_S4_S4_S4_21rocsparse_index_base_PKT2_PKT3_PKS4_S5_PS6_PS9_PS4_ ; -- Begin function _ZN9rocsparseL42csr2bsr_wavefront_per_row_multipass_kernelILj256ELj32ELj16E21rocsparse_complex_numIdEilEEv20rocsparse_direction_T4_S4_S4_S4_S4_21rocsparse_index_base_PKT2_PKT3_PKS4_S5_PS6_PS9_PS4_
	.p2align	8
	.type	_ZN9rocsparseL42csr2bsr_wavefront_per_row_multipass_kernelILj256ELj32ELj16E21rocsparse_complex_numIdEilEEv20rocsparse_direction_T4_S4_S4_S4_S4_21rocsparse_index_base_PKT2_PKT3_PKS4_S5_PS6_PS9_PS4_,@function
_ZN9rocsparseL42csr2bsr_wavefront_per_row_multipass_kernelILj256ELj32ELj16E21rocsparse_complex_numIdEilEEv20rocsparse_direction_T4_S4_S4_S4_S4_21rocsparse_index_base_PKT2_PKT3_PKS4_S5_PS6_PS9_PS4_: ; @_ZN9rocsparseL42csr2bsr_wavefront_per_row_multipass_kernelILj256ELj32ELj16E21rocsparse_complex_numIdEilEEv20rocsparse_direction_T4_S4_S4_S4_S4_21rocsparse_index_base_PKT2_PKT3_PKS4_S5_PS6_PS9_PS4_
; %bb.0:
	s_load_b64 s[16:17], s[0:1], 0x28
	v_lshrrev_b32_e32 v35, 5, v0
	s_mov_b32 s4, s15
	s_ashr_i32 s5, s15, 31
	s_clause 0x1
	s_load_b64 s[12:13], s[0:1], 0x8
	s_load_b128 s[8:11], s[0:1], 0x18
	s_lshl_b64 s[2:3], s[4:5], 3
	v_mov_b32_e32 v4, 0
	v_or_b32_e32 v5, s2, v35
	v_bfe_u32 v3, v0, 1, 4
	s_clause 0x1
	s_load_b32 s22, s[0:1], 0x30
	s_load_b64 s[6:7], s[0:1], 0x40
	v_mov_b32_e32 v8, v4
	s_waitcnt lgkmcnt(0)
	v_mul_lo_u32 v6, v5, s17
	v_mad_u64_u32 v[1:2], null, v5, s16, v[3:4]
	s_mul_i32 s2, s3, s16
	s_delay_alu instid0(VALU_DEP_1) | instid1(SALU_CYCLE_1)
	v_add3_u32 v2, s2, v2, v6
	v_cmp_gt_i64_e64 s2, s[16:17], v[3:4]
	s_delay_alu instid0(VALU_DEP_2) | instskip(NEXT) | instid1(VALU_DEP_2)
	v_cmp_gt_i64_e32 vcc_lo, s[12:13], v[1:2]
	s_and_b32 s3, s2, vcc_lo
	s_delay_alu instid0(SALU_CYCLE_1)
	s_and_saveexec_b32 s5, s3
	s_cbranch_execz .LBB165_2
; %bb.1:
	v_lshlrev_b64 v[5:6], 2, v[1:2]
	s_delay_alu instid0(VALU_DEP_1) | instskip(NEXT) | instid1(VALU_DEP_2)
	v_add_co_u32 v5, vcc_lo, s6, v5
	v_add_co_ci_u32_e32 v6, vcc_lo, s7, v6, vcc_lo
	global_load_b32 v5, v[5:6], off
	s_waitcnt vmcnt(0)
	v_subrev_nc_u32_e32 v8, s22, v5
.LBB165_2:
	s_or_b32 exec_lo, exec_lo, s5
	s_and_saveexec_b32 s5, s3
	s_cbranch_execz .LBB165_4
; %bb.3:
	v_lshlrev_b64 v[1:2], 2, v[1:2]
	s_delay_alu instid0(VALU_DEP_1) | instskip(NEXT) | instid1(VALU_DEP_2)
	v_add_co_u32 v1, vcc_lo, s6, v1
	v_add_co_ci_u32_e32 v2, vcc_lo, s7, v2, vcc_lo
	global_load_b32 v1, v[1:2], off offset:4
	s_waitcnt vmcnt(0)
	v_subrev_nc_u32_e32 v4, s22, v1
.LBB165_4:
	s_or_b32 exec_lo, exec_lo, s5
	s_load_b32 s23, s[0:1], 0x50
	v_mov_b32_e32 v2, 0
	v_lshl_or_b32 v1, s4, 3, v35
	s_mov_b32 s3, exec_lo
	s_delay_alu instid0(VALU_DEP_2) | instskip(NEXT) | instid1(VALU_DEP_2)
	v_mov_b32_e32 v5, v2
	v_cmpx_gt_i64_e64 s[8:9], v[1:2]
	s_cbranch_execz .LBB165_6
; %bb.5:
	s_load_b64 s[4:5], s[0:1], 0x60
	v_lshlrev_b64 v[1:2], 2, v[1:2]
	s_waitcnt lgkmcnt(0)
	s_delay_alu instid0(VALU_DEP_1) | instskip(NEXT) | instid1(VALU_DEP_2)
	v_add_co_u32 v1, vcc_lo, s4, v1
	v_add_co_ci_u32_e32 v2, vcc_lo, s5, v2, vcc_lo
	global_load_b32 v1, v[1:2], off
	s_waitcnt vmcnt(0)
	v_subrev_nc_u32_e32 v5, s23, v1
.LBB165_6:
	s_or_b32 exec_lo, exec_lo, s3
	v_cmp_lt_i64_e64 s3, s[10:11], 1
	s_delay_alu instid0(VALU_DEP_1)
	s_and_b32 vcc_lo, exec_lo, s3
	s_cbranch_vccnz .LBB165_64
; %bb.7:
	v_mad_u64_u32 v[1:2], null, v3, s16, 0
	v_mbcnt_lo_u32_b32 v10, -1, 0
	s_clause 0x1
	s_load_b64 s[4:5], s[0:1], 0x58
	s_load_b64 s[8:9], s[0:1], 0x68
	v_dual_mov_b32 v48, 0x7c :: v_dual_and_b32 v9, 1, v0
	s_clause 0x2
	s_load_b64 s[18:19], s[0:1], 0x48
	s_load_b64 s[20:21], s[0:1], 0x38
	s_load_b32 s0, s[0:1], 0x0
	v_mad_u64_u32 v[6:7], null, v3, s17, v[2:3]
	v_xor_b32_e32 v2, 1, v10
	v_lshlrev_b32_e32 v3, 4, v3
	v_or_b32_e32 v19, 8, v9
	s_mul_i32 s3, s16, s17
	s_mul_hi_u32 s6, s16, s16
	v_cmp_gt_i32_e32 vcc_lo, 32, v2
	v_or_b32_e32 v28, 14, v9
	s_add_i32 s6, s6, s3
	s_mov_b32 s12, 0
	s_add_i32 s24, s6, s3
	v_cndmask_b32_e32 v11, v10, v2, vcc_lo
	v_mov_b32_e32 v2, v6
	v_lshl_or_b32 v38, v35, 8, v3
	s_waitcnt lgkmcnt(0)
	v_add_co_u32 v36, s1, s4, v3
	v_xor_b32_e32 v3, 2, v10
	v_lshlrev_b64 v[0:1], 4, v[1:2]
	v_xor_b32_e32 v2, 16, v10
	v_or_b32_e32 v6, v38, v9
	s_cmp_lg_u32 s0, 0
	v_mad_u64_u32 v[32:33], null, v28, s16, 0
	s_delay_alu instid0(VALU_DEP_4)
	v_add_co_u32 v41, vcc_lo, s4, v0
	v_add_co_ci_u32_e32 v42, vcc_lo, s5, v1, vcc_lo
	v_xor_b32_e32 v0, 8, v10
	v_cmp_gt_i32_e32 vcc_lo, 32, v2
	v_mov_b32_e32 v7, 0
	v_xor_b32_e32 v1, 4, v10
	v_add_co_ci_u32_e64 v37, null, s5, 0, s1
	v_cndmask_b32_e32 v2, v10, v2, vcc_lo
	v_cmp_gt_i32_e32 vcc_lo, 32, v0
	v_dual_mov_b32 v18, v7 :: v_dual_lshlrev_b32 v45, 4, v6
	s_mov_b32 s13, s12
	s_delay_alu instid0(VALU_DEP_3)
	v_dual_cndmask_b32 v0, v10, v0 :: v_dual_lshlrev_b32 v43, 2, v2
	v_or_b32_e32 v2, 4, v9
	v_cmp_gt_i32_e32 vcc_lo, 32, v1
	s_mov_b32 s14, s12
	s_mov_b32 s15, s12
	v_lshlrev_b32_e32 v44, 2, v0
	v_or_b32_e32 v0, 2, v9
	v_mad_u64_u32 v[14:15], null, v2, s16, 0
	v_cndmask_b32_e32 v1, v10, v1, vcc_lo
	v_cmp_gt_i32_e32 vcc_lo, 32, v3
	s_delay_alu instid0(VALU_DEP_4) | instskip(SKIP_4) | instid1(VALU_DEP_3)
	v_mad_u64_u32 v[12:13], null, v0, s16, 0
	v_mov_b32_e32 v20, v7
	s_cselect_b32 s26, -1, 0
	v_dual_mov_b32 v6, v15 :: v_dual_cndmask_b32 v3, v10, v3
	v_dual_mov_b32 v1, v7 :: v_dual_lshlrev_b32 v46, 2, v1
	v_cmp_gt_u64_e64 s4, s[16:17], v[19:20]
	s_delay_alu instid0(VALU_DEP_3) | instskip(NEXT) | instid1(VALU_DEP_4)
	v_mad_u64_u32 v[23:24], null, v2, s17, v[6:7]
	v_lshlrev_b32_e32 v47, 2, v3
	v_mov_b32_e32 v3, v13
	v_mad_u64_u32 v[24:25], null, v19, s16, 0
	v_cmp_gt_u64_e64 s0, s[16:17], v[0:1]
	v_cvt_f32_u32_e32 v6, s16
	s_delay_alu instid0(VALU_DEP_4)
	v_mad_u64_u32 v[16:17], null, v0, s17, v[3:4]
	v_or_b32_e32 v17, 6, v9
	v_mov_b32_e32 v3, v7
	v_mov_b32_e32 v1, v25
	s_and_b32 s28, s2, s0
	s_sub_i32 s0, 0, s16
	v_mad_u64_u32 v[21:22], null, v17, s16, 0
	v_cmp_gt_u64_e64 s1, s[16:17], v[2:3]
	v_cmp_gt_u64_e64 s3, s[16:17], v[17:18]
	v_lshlrev_b32_e32 v39, 2, v11
	v_lshl_or_b32 v40, v10, 2, 4
	v_mov_b32_e32 v10, v7
	v_mul_lo_u32 v11, v9, s17
	v_dual_mov_b32 v0, v22 :: v_dual_mov_b32 v29, v7
	v_lshlrev_b32_e32 v58, 4, v9
	s_delay_alu instid0(VALU_DEP_4) | instskip(SKIP_1) | instid1(VALU_DEP_4)
	v_cmp_gt_u64_e32 vcc_lo, s[16:17], v[9:10]
	v_mul_lo_u32 v10, v9, s16
	v_mad_u64_u32 v[2:3], null, v17, s17, v[0:1]
	v_or_b32_e32 v0, 10, v9
	v_cmp_gt_u64_e64 s7, s[16:17], v[28:29]
	v_or_b32_e32 v49, 32, v45
	v_or_b32_e32 v50, 64, v45
	;; [unrolled: 1-line block ×3, first 2 shown]
	v_mad_u64_u32 v[26:27], null, v0, s16, 0
	v_mov_b32_e32 v13, v16
	v_mad_u64_u32 v[16:17], null, v19, s17, v[1:2]
	v_or_b32_e32 v17, 12, v9
	v_dual_mov_b32 v22, v2 :: v_dual_mov_b32 v1, v7
	v_mov_b32_e32 v2, v27
	v_lshlrev_b64 v[10:11], 4, v[10:11]
	s_delay_alu instid0(VALU_DEP_4) | instskip(NEXT) | instid1(VALU_DEP_4)
	v_mad_u64_u32 v[30:31], null, v17, s16, 0
	v_cmp_gt_u64_e64 s5, s[16:17], v[0:1]
	v_mov_b32_e32 v25, v16
	v_cmp_gt_u64_e64 s6, s[16:17], v[17:18]
	v_lshlrev_b64 v[12:13], 4, v[12:13]
	v_or_b32_e32 v52, 0x80, v45
	v_or_b32_e32 v53, 0xa0, v45
	v_mov_b32_e32 v3, v31
	v_or_b32_e32 v54, 0xc0, v45
	v_or_b32_e32 v55, 0xe0, v45
	v_mov_b32_e32 v59, 0
	s_mul_i32 s25, s16, s16
	v_mad_u64_u32 v[19:20], null, v0, s17, v[2:3]
	v_mov_b32_e32 v2, v33
	v_mad_u64_u32 v[33:34], null, v17, s17, v[3:4]
	v_rcp_iflag_f32_e32 v3, v6
	v_mov_b32_e32 v15, v23
	s_and_b32 s27, s2, vcc_lo
	s_delay_alu instid0(VALU_DEP_4) | instskip(SKIP_2) | instid1(VALU_DEP_3)
	v_mov_b32_e32 v27, v19
	s_and_b32 s1, s2, s1
	s_and_b32 s29, s2, s3
	v_mov_b32_e32 v31, v33
	s_and_b32 s30, s2, s4
	s_and_b32 s31, s2, s5
	;; [unrolled: 1-line block ×3, first 2 shown]
	s_waitcnt_depctr 0xfff
	v_mul_f32_e32 v0, 0x4f7ffffe, v3
	v_mad_u64_u32 v[56:57], null, v28, s17, v[2:3]
	v_mov_b32_e32 v28, 0
	v_lshlrev_b64 v[14:15], 4, v[14:15]
	s_delay_alu instid0(VALU_DEP_4)
	v_cvt_u32_f32_e32 v6, v0
	v_mov_b32_e32 v0, s12
	v_lshlrev_b64 v[18:19], 4, v[24:25]
	v_mov_b32_e32 v29, 0
	v_mov_b32_e32 v33, v56
	v_mul_lo_u32 v16, s0, v6
	v_dual_mov_b32 v1, s13 :: v_dual_mov_b32 v2, s14
	v_mov_b32_e32 v3, s15
	s_delay_alu instid0(VALU_DEP_4)
	v_lshlrev_b64 v[24:25], 4, v[32:33]
	v_mov_b32_e32 v57, 1
	s_and_b32 s7, s2, s7
	s_ashr_i32 s2, s17, 31
	v_mul_hi_u32 v34, v6, v16
	v_lshlrev_b64 v[16:17], 4, v[21:22]
	v_lshlrev_b64 v[20:21], 4, v[26:27]
	;; [unrolled: 1-line block ×3, first 2 shown]
	s_delay_alu instid0(VALU_DEP_4)
	v_add_nc_u32_e32 v56, v6, v34
	s_branch .LBB165_11
.LBB165_8:                              ;   in Loop: Header=BB165_11 Depth=1
	v_mov_b32_e32 v31, s4
.LBB165_9:                              ;   in Loop: Header=BB165_11 Depth=1
	s_or_b32 exec_lo, exec_lo, s3
.LBB165_10:                             ;   in Loop: Header=BB165_11 Depth=1
	s_delay_alu instid0(SALU_CYCLE_1)
	s_or_b32 exec_lo, exec_lo, s0
	ds_bpermute_b32 v28, v43, v26
	ds_bpermute_b32 v29, v43, v27
	s_waitcnt lgkmcnt(0)
	s_waitcnt_vscnt null, 0x0
	buffer_gl0_inv
	buffer_gl0_inv
	v_add_nc_u32_e32 v5, v31, v5
	v_cmp_lt_i64_e32 vcc_lo, v[28:29], v[26:27]
	v_dual_cndmask_b32 v27, v27, v29 :: v_dual_cndmask_b32 v26, v26, v28
	ds_bpermute_b32 v29, v44, v27
	ds_bpermute_b32 v28, v44, v26
	s_waitcnt lgkmcnt(0)
	v_cmp_lt_i64_e32 vcc_lo, v[28:29], v[26:27]
	v_dual_cndmask_b32 v27, v27, v29 :: v_dual_cndmask_b32 v26, v26, v28
	ds_bpermute_b32 v29, v46, v27
	ds_bpermute_b32 v28, v46, v26
	s_waitcnt lgkmcnt(0)
	;; [unrolled: 5-line block ×4, first 2 shown]
	v_cmp_lt_i64_e32 vcc_lo, v[28:29], v[26:27]
	v_cndmask_b32_e32 v6, v26, v28, vcc_lo
	ds_bpermute_b32 v28, v48, v6
	s_waitcnt lgkmcnt(0)
	v_ashrrev_i32_e32 v29, 31, v28
	v_mov_b32_e32 v59, v28
	s_delay_alu instid0(VALU_DEP_2) | instskip(SKIP_1) | instid1(SALU_CYCLE_1)
	v_cmp_le_i64_e32 vcc_lo, s[10:11], v[28:29]
	s_or_b32 s12, vcc_lo, s12
	s_and_not1_b32 exec_lo, exec_lo, s12
	s_cbranch_execz .LBB165_64
.LBB165_11:                             ; =>This Loop Header: Depth=1
                                        ;     Child Loop BB165_14 Depth 2
	v_dual_mov_b32 v27, s11 :: v_dual_add_nc_u32 v30, v8, v9
	v_mov_b32_e32 v26, s10
	v_mov_b32_e32 v8, v4
	s_mov_b32 s13, exec_lo
	ds_store_b8 v35, v7 offset:32768
	ds_store_b128 v45, v[0:3]
	ds_store_b128 v45, v[0:3] offset:32
	ds_store_b128 v45, v[0:3] offset:64
	;; [unrolled: 1-line block ×7, first 2 shown]
	s_waitcnt lgkmcnt(0)
	buffer_gl0_inv
	v_cmpx_lt_i32_e64 v30, v4
	s_cbranch_execz .LBB165_23
; %bb.12:                               ;   in Loop: Header=BB165_11 Depth=1
	v_mad_u64_u32 v[32:33], null, v28, s16, 0
	v_dual_mov_b32 v27, s11 :: v_dual_mov_b32 v26, s10
	v_mov_b32_e32 v6, v4
	s_mov_b32 s14, 0
	s_branch .LBB165_14
.LBB165_13:                             ;   in Loop: Header=BB165_14 Depth=2
	s_or_b32 exec_lo, exec_lo, s3
	v_add_nc_u32_e32 v30, 2, v30
	s_xor_b32 s3, vcc_lo, -1
	v_mov_b32_e32 v6, v8
	s_delay_alu instid0(VALU_DEP_2) | instskip(NEXT) | instid1(VALU_DEP_1)
	v_cmp_ge_i32_e64 s0, v30, v4
	s_or_b32 s0, s3, s0
	s_delay_alu instid0(SALU_CYCLE_1) | instskip(NEXT) | instid1(SALU_CYCLE_1)
	s_and_b32 s0, exec_lo, s0
	s_or_b32 s14, s0, s14
	s_delay_alu instid0(SALU_CYCLE_1)
	s_and_not1_b32 exec_lo, exec_lo, s14
	s_cbranch_execz .LBB165_22
.LBB165_14:                             ;   Parent Loop BB165_11 Depth=1
                                        ; =>  This Inner Loop Header: Depth=2
	v_ashrrev_i32_e32 v31, 31, v30
	s_mov_b32 s0, exec_lo
	s_delay_alu instid0(VALU_DEP_1) | instskip(NEXT) | instid1(VALU_DEP_1)
	v_lshlrev_b64 v[33:34], 3, v[30:31]
	v_add_co_u32 v33, vcc_lo, s18, v33
	s_delay_alu instid0(VALU_DEP_2) | instskip(SKIP_4) | instid1(VALU_DEP_1)
	v_add_co_ci_u32_e32 v34, vcc_lo, s19, v34, vcc_lo
	global_load_b64 v[33:34], v[33:34], off
	s_waitcnt vmcnt(0)
	v_sub_co_u32 v60, vcc_lo, v33, s22
	v_subrev_co_ci_u32_e32 v61, vcc_lo, 0, v34, vcc_lo
                                        ; implicit-def: $vgpr33_vgpr34
	v_or_b32_e32 v8, s17, v61
	s_delay_alu instid0(VALU_DEP_1)
	v_cmpx_ne_u64_e32 0, v[7:8]
	s_xor_b32 s15, exec_lo, s0
	s_cbranch_execz .LBB165_16
; %bb.15:                               ;   in Loop: Header=BB165_14 Depth=2
	s_add_u32 s4, s16, s2
	s_mov_b32 s3, s2
	s_addc_u32 s5, s17, s2
	s_delay_alu instid0(SALU_CYCLE_1) | instskip(NEXT) | instid1(SALU_CYCLE_1)
	s_xor_b64 s[4:5], s[4:5], s[2:3]
	v_cvt_f32_u32_e32 v8, s4
	v_cvt_f32_u32_e32 v33, s5
	s_sub_u32 s0, 0, s4
	s_subb_u32 s3, 0, s5
	s_delay_alu instid0(VALU_DEP_1) | instskip(NEXT) | instid1(VALU_DEP_1)
	v_fmac_f32_e32 v8, 0x4f800000, v33
	v_rcp_f32_e32 v8, v8
	s_waitcnt_depctr 0xfff
	v_mul_f32_e32 v8, 0x5f7ffffc, v8
	s_delay_alu instid0(VALU_DEP_1) | instskip(NEXT) | instid1(VALU_DEP_1)
	v_mul_f32_e32 v33, 0x2f800000, v8
	v_trunc_f32_e32 v33, v33
	s_delay_alu instid0(VALU_DEP_1) | instskip(SKIP_1) | instid1(VALU_DEP_2)
	v_fmac_f32_e32 v8, 0xcf800000, v33
	v_cvt_u32_f32_e32 v33, v33
	v_cvt_u32_f32_e32 v8, v8
	s_delay_alu instid0(VALU_DEP_2) | instskip(NEXT) | instid1(VALU_DEP_2)
	v_mul_lo_u32 v34, s0, v33
	v_mul_hi_u32 v62, s0, v8
	v_mul_lo_u32 v63, s3, v8
	s_delay_alu instid0(VALU_DEP_2) | instskip(SKIP_1) | instid1(VALU_DEP_2)
	v_add_nc_u32_e32 v34, v62, v34
	v_mul_lo_u32 v62, s0, v8
	v_add_nc_u32_e32 v34, v34, v63
	s_delay_alu instid0(VALU_DEP_2) | instskip(NEXT) | instid1(VALU_DEP_2)
	v_mul_hi_u32 v63, v8, v62
	v_mul_lo_u32 v64, v8, v34
	v_mul_hi_u32 v65, v8, v34
	v_mul_hi_u32 v66, v33, v62
	v_mul_lo_u32 v62, v33, v62
	v_mul_hi_u32 v67, v33, v34
	v_mul_lo_u32 v34, v33, v34
	v_add_co_u32 v63, vcc_lo, v63, v64
	v_add_co_ci_u32_e32 v64, vcc_lo, 0, v65, vcc_lo
	s_delay_alu instid0(VALU_DEP_2) | instskip(NEXT) | instid1(VALU_DEP_2)
	v_add_co_u32 v62, vcc_lo, v63, v62
	v_add_co_ci_u32_e32 v62, vcc_lo, v64, v66, vcc_lo
	v_add_co_ci_u32_e32 v63, vcc_lo, 0, v67, vcc_lo
	v_ashrrev_i32_e32 v66, 31, v61
	s_delay_alu instid0(VALU_DEP_3) | instskip(NEXT) | instid1(VALU_DEP_3)
	v_add_co_u32 v34, vcc_lo, v62, v34
	v_add_co_ci_u32_e32 v62, vcc_lo, 0, v63, vcc_lo
	s_delay_alu instid0(VALU_DEP_2) | instskip(NEXT) | instid1(VALU_DEP_2)
	v_add_co_u32 v8, vcc_lo, v8, v34
	v_add_co_ci_u32_e32 v33, vcc_lo, v33, v62, vcc_lo
	s_delay_alu instid0(VALU_DEP_2) | instskip(SKIP_1) | instid1(VALU_DEP_3)
	v_mul_hi_u32 v34, s0, v8
	v_mul_lo_u32 v63, s3, v8
	v_mul_lo_u32 v62, s0, v33
	s_delay_alu instid0(VALU_DEP_1) | instskip(SKIP_1) | instid1(VALU_DEP_2)
	v_add_nc_u32_e32 v34, v34, v62
	v_mul_lo_u32 v62, s0, v8
	v_add_nc_u32_e32 v34, v34, v63
	s_delay_alu instid0(VALU_DEP_2) | instskip(NEXT) | instid1(VALU_DEP_2)
	v_mul_hi_u32 v63, v8, v62
	v_mul_lo_u32 v64, v8, v34
	v_mul_hi_u32 v65, v8, v34
	v_mul_hi_u32 v67, v33, v62
	v_mul_lo_u32 v62, v33, v62
	v_mul_hi_u32 v68, v33, v34
	v_mul_lo_u32 v34, v33, v34
	v_add_co_u32 v63, vcc_lo, v63, v64
	v_add_co_ci_u32_e32 v64, vcc_lo, 0, v65, vcc_lo
	s_delay_alu instid0(VALU_DEP_2) | instskip(NEXT) | instid1(VALU_DEP_2)
	v_add_co_u32 v62, vcc_lo, v63, v62
	v_add_co_ci_u32_e32 v62, vcc_lo, v64, v67, vcc_lo
	v_add_co_ci_u32_e32 v63, vcc_lo, 0, v68, vcc_lo
	v_add_co_u32 v64, vcc_lo, v60, v66
	v_add_co_ci_u32_e32 v61, vcc_lo, v61, v66, vcc_lo
	s_delay_alu instid0(VALU_DEP_4) | instskip(NEXT) | instid1(VALU_DEP_4)
	v_add_co_u32 v34, vcc_lo, v62, v34
	v_add_co_ci_u32_e32 v62, vcc_lo, 0, v63, vcc_lo
	s_delay_alu instid0(VALU_DEP_4) | instskip(NEXT) | instid1(VALU_DEP_3)
	v_xor_b32_e32 v65, v64, v66
	v_add_co_u32 v8, vcc_lo, v8, v34
	s_delay_alu instid0(VALU_DEP_3) | instskip(SKIP_1) | instid1(VALU_DEP_3)
	v_add_co_ci_u32_e32 v67, vcc_lo, v33, v62, vcc_lo
	v_xor_b32_e32 v68, v61, v66
	v_mul_hi_u32 v69, v65, v8
	s_delay_alu instid0(VALU_DEP_3) | instskip(NEXT) | instid1(VALU_DEP_3)
	v_mad_u64_u32 v[33:34], null, v65, v67, 0
	v_mad_u64_u32 v[61:62], null, v68, v8, 0
	;; [unrolled: 1-line block ×3, first 2 shown]
	s_delay_alu instid0(VALU_DEP_3) | instskip(NEXT) | instid1(VALU_DEP_4)
	v_add_co_u32 v8, vcc_lo, v69, v33
	v_add_co_ci_u32_e32 v33, vcc_lo, 0, v34, vcc_lo
	s_delay_alu instid0(VALU_DEP_2) | instskip(NEXT) | instid1(VALU_DEP_2)
	v_add_co_u32 v8, vcc_lo, v8, v61
	v_add_co_ci_u32_e32 v8, vcc_lo, v33, v62, vcc_lo
	v_add_co_ci_u32_e32 v33, vcc_lo, 0, v64, vcc_lo
	s_delay_alu instid0(VALU_DEP_2) | instskip(NEXT) | instid1(VALU_DEP_2)
	v_add_co_u32 v8, vcc_lo, v8, v63
	v_add_co_ci_u32_e32 v61, vcc_lo, 0, v33, vcc_lo
	s_delay_alu instid0(VALU_DEP_2) | instskip(SKIP_1) | instid1(VALU_DEP_3)
	v_mul_lo_u32 v62, s5, v8
	v_mad_u64_u32 v[33:34], null, s4, v8, 0
	v_mul_lo_u32 v63, s4, v61
	s_delay_alu instid0(VALU_DEP_2) | instskip(NEXT) | instid1(VALU_DEP_2)
	v_sub_co_u32 v33, vcc_lo, v65, v33
	v_add3_u32 v34, v34, v63, v62
	s_delay_alu instid0(VALU_DEP_1) | instskip(NEXT) | instid1(VALU_DEP_1)
	v_sub_nc_u32_e32 v62, v68, v34
	v_subrev_co_ci_u32_e64 v62, s0, s5, v62, vcc_lo
	v_add_co_u32 v63, s0, v8, 2
	s_delay_alu instid0(VALU_DEP_1) | instskip(SKIP_3) | instid1(VALU_DEP_3)
	v_add_co_ci_u32_e64 v64, s0, 0, v61, s0
	v_sub_co_u32 v65, s0, v33, s4
	v_sub_co_ci_u32_e32 v34, vcc_lo, v68, v34, vcc_lo
	v_subrev_co_ci_u32_e64 v62, s0, 0, v62, s0
	v_cmp_le_u32_e32 vcc_lo, s4, v65
	s_delay_alu instid0(VALU_DEP_3) | instskip(SKIP_1) | instid1(VALU_DEP_4)
	v_cmp_eq_u32_e64 s0, s5, v34
	v_cndmask_b32_e64 v65, 0, -1, vcc_lo
	v_cmp_le_u32_e32 vcc_lo, s5, v62
	v_cndmask_b32_e64 v67, 0, -1, vcc_lo
	v_cmp_le_u32_e32 vcc_lo, s4, v33
	;; [unrolled: 2-line block ×3, first 2 shown]
	v_cndmask_b32_e64 v68, 0, -1, vcc_lo
	v_cmp_eq_u32_e32 vcc_lo, s5, v62
	s_delay_alu instid0(VALU_DEP_2) | instskip(SKIP_3) | instid1(VALU_DEP_3)
	v_cndmask_b32_e64 v33, v68, v33, s0
	v_cndmask_b32_e32 v62, v67, v65, vcc_lo
	v_add_co_u32 v65, vcc_lo, v8, 1
	v_add_co_ci_u32_e32 v67, vcc_lo, 0, v61, vcc_lo
	v_cmp_ne_u32_e32 vcc_lo, 0, v62
	s_delay_alu instid0(VALU_DEP_2) | instskip(NEXT) | instid1(VALU_DEP_4)
	v_cndmask_b32_e32 v34, v67, v64, vcc_lo
	v_cndmask_b32_e32 v62, v65, v63, vcc_lo
	v_cmp_ne_u32_e32 vcc_lo, 0, v33
	v_xor_b32_e32 v63, s2, v66
	s_delay_alu instid0(VALU_DEP_3) | instskip(SKIP_1) | instid1(VALU_DEP_2)
	v_cndmask_b32_e32 v8, v8, v62, vcc_lo
	v_cndmask_b32_e32 v33, v61, v34, vcc_lo
	v_xor_b32_e32 v8, v8, v63
	s_delay_alu instid0(VALU_DEP_2) | instskip(NEXT) | instid1(VALU_DEP_2)
	v_xor_b32_e32 v34, v33, v63
	v_sub_co_u32 v33, vcc_lo, v8, v63
	s_delay_alu instid0(VALU_DEP_2)
	v_sub_co_ci_u32_e32 v34, vcc_lo, v34, v63, vcc_lo
.LBB165_16:                             ;   in Loop: Header=BB165_14 Depth=2
	s_and_not1_saveexec_b32 s0, s15
; %bb.17:                               ;   in Loop: Header=BB165_14 Depth=2
	v_mul_hi_u32 v8, v60, v56
	s_delay_alu instid0(VALU_DEP_1) | instskip(NEXT) | instid1(VALU_DEP_1)
	v_mul_lo_u32 v33, v8, s16
	v_sub_nc_u32_e32 v33, v60, v33
	s_delay_alu instid0(VALU_DEP_1) | instskip(SKIP_1) | instid1(VALU_DEP_2)
	v_subrev_nc_u32_e32 v61, s16, v33
	v_cmp_le_u32_e32 vcc_lo, s16, v33
	v_dual_cndmask_b32 v33, v33, v61 :: v_dual_add_nc_u32 v34, 1, v8
	s_delay_alu instid0(VALU_DEP_1) | instskip(NEXT) | instid1(VALU_DEP_2)
	v_cndmask_b32_e32 v8, v8, v34, vcc_lo
	v_cmp_le_u32_e32 vcc_lo, s16, v33
	s_delay_alu instid0(VALU_DEP_2) | instskip(NEXT) | instid1(VALU_DEP_1)
	v_add_nc_u32_e32 v34, 1, v8
	v_dual_cndmask_b32 v33, v8, v34 :: v_dual_mov_b32 v34, v7
; %bb.18:                               ;   in Loop: Header=BB165_14 Depth=2
	s_or_b32 exec_lo, exec_lo, s0
	s_delay_alu instid0(VALU_DEP_1)
	v_cmp_eq_u64_e32 vcc_lo, v[33:34], v[28:29]
	s_mov_b32 s3, exec_lo
	v_cmpx_ne_u64_e64 v[33:34], v[28:29]
	s_xor_b32 s3, exec_lo, s3
; %bb.19:                               ;   in Loop: Header=BB165_14 Depth=2
	v_cmp_lt_i64_e64 s0, v[33:34], v[26:27]
                                        ; implicit-def: $vgpr60
                                        ; implicit-def: $vgpr6
	s_delay_alu instid0(VALU_DEP_1)
	v_cndmask_b32_e64 v27, v27, v34, s0
	v_cndmask_b32_e64 v26, v26, v33, s0
; %bb.20:                               ;   in Loop: Header=BB165_14 Depth=2
	s_or_saveexec_b32 s3, s3
	v_mov_b32_e32 v8, v30
	s_xor_b32 exec_lo, exec_lo, s3
	s_cbranch_execz .LBB165_13
; %bb.21:                               ;   in Loop: Header=BB165_14 Depth=2
	v_lshlrev_b64 v[33:34], 4, v[30:31]
	v_sub_nc_u32_e32 v8, v60, v32
	s_delay_alu instid0(VALU_DEP_1) | instskip(NEXT) | instid1(VALU_DEP_3)
	v_add_lshl_u32 v31, v38, v8, 4
	v_add_co_u32 v33, s0, s20, v33
	s_delay_alu instid0(VALU_DEP_1)
	v_add_co_ci_u32_e64 v34, s0, s21, v34, s0
	v_mov_b32_e32 v8, v6
	global_load_b128 v[61:64], v[33:34], off
	ds_store_b8 v35, v57 offset:32768
	s_waitcnt vmcnt(0)
	ds_store_2addr_b64 v31, v[61:62], v[63:64] offset1:1
	s_branch .LBB165_13
.LBB165_22:                             ;   in Loop: Header=BB165_11 Depth=1
	s_or_b32 exec_lo, exec_lo, s14
.LBB165_23:                             ;   in Loop: Header=BB165_11 Depth=1
	s_delay_alu instid0(SALU_CYCLE_1)
	s_or_b32 exec_lo, exec_lo, s13
	ds_bpermute_b32 v6, v39, v8
	s_waitcnt lgkmcnt(0)
	buffer_gl0_inv
	ds_load_u8 v28, v35 offset:32768
	s_mov_b32 s0, exec_lo
	v_mov_b32_e32 v31, 0
	v_min_i32_e32 v6, v6, v8
	ds_bpermute_b32 v8, v40, v6
	s_waitcnt lgkmcnt(1)
	v_and_b32_e32 v6, 1, v28
	s_delay_alu instid0(VALU_DEP_1)
	v_cmpx_eq_u32_e32 1, v6
	s_cbranch_execz .LBB165_10
; %bb.24:                               ;   in Loop: Header=BB165_11 Depth=1
	v_ashrrev_i32_e32 v6, 31, v5
	v_mul_lo_u32 v30, s24, v5
	v_mad_u64_u32 v[28:29], null, s25, v5, 0
	v_add_nc_u32_e32 v31, s23, v59
	s_delay_alu instid0(VALU_DEP_4) | instskip(SKIP_1) | instid1(VALU_DEP_1)
	v_mul_lo_u32 v32, s25, v6
	v_lshlrev_b64 v[33:34], 3, v[5:6]
	v_add_co_u32 v33, vcc_lo, s8, v33
	s_delay_alu instid0(VALU_DEP_3) | instskip(NEXT) | instid1(VALU_DEP_3)
	v_add3_u32 v29, v29, v32, v30
	v_add_co_ci_u32_e32 v34, vcc_lo, s9, v34, vcc_lo
	v_ashrrev_i32_e32 v32, 31, v31
	s_delay_alu instid0(VALU_DEP_3)
	v_lshlrev_b64 v[59:60], 4, v[28:29]
	global_store_b64 v[33:34], v[31:32], off
	v_add_co_u32 v29, vcc_lo, v36, v59
	v_add_co_ci_u32_e32 v30, vcc_lo, v37, v60, vcc_lo
	v_add_co_u32 v6, vcc_lo, v41, v59
	v_add_co_ci_u32_e32 v28, vcc_lo, v42, v60, vcc_lo
	s_and_saveexec_b32 s3, s27
	s_cbranch_execz .LBB165_28
; %bb.25:                               ;   in Loop: Header=BB165_11 Depth=1
	s_and_b32 vcc_lo, exec_lo, s26
	s_cbranch_vccz .LBB165_55
; %bb.26:                               ;   in Loop: Header=BB165_11 Depth=1
	ds_load_2addr_b64 v[31:34], v45 offset1:1
	v_add_co_u32 v59, vcc_lo, v29, v10
	v_add_co_ci_u32_e32 v60, vcc_lo, v30, v11, vcc_lo
	s_waitcnt lgkmcnt(0)
	global_store_b128 v[59:60], v[31:34], off
	s_cbranch_execnz .LBB165_28
.LBB165_27:                             ;   in Loop: Header=BB165_11 Depth=1
	ds_load_2addr_b64 v[31:34], v45 offset1:1
	v_add_co_u32 v59, vcc_lo, v6, v58
	v_add_co_ci_u32_e32 v60, vcc_lo, 0, v28, vcc_lo
	s_waitcnt lgkmcnt(0)
	global_store_b128 v[59:60], v[31:34], off
.LBB165_28:                             ;   in Loop: Header=BB165_11 Depth=1
	s_or_b32 exec_lo, exec_lo, s3
	s_and_saveexec_b32 s3, s28
	s_cbranch_execz .LBB165_32
; %bb.29:                               ;   in Loop: Header=BB165_11 Depth=1
	s_and_not1_b32 vcc_lo, exec_lo, s26
	s_cbranch_vccnz .LBB165_56
; %bb.30:                               ;   in Loop: Header=BB165_11 Depth=1
	ds_load_2addr_b64 v[31:34], v49 offset1:1
	v_add_co_u32 v59, vcc_lo, v29, v12
	v_add_co_ci_u32_e32 v60, vcc_lo, v30, v13, vcc_lo
	s_waitcnt lgkmcnt(0)
	global_store_b128 v[59:60], v[31:34], off
	s_cbranch_execnz .LBB165_32
.LBB165_31:                             ;   in Loop: Header=BB165_11 Depth=1
	ds_load_2addr_b64 v[31:34], v49 offset1:1
	v_add_co_u32 v59, vcc_lo, v6, v58
	v_add_co_ci_u32_e32 v60, vcc_lo, 0, v28, vcc_lo
	s_waitcnt lgkmcnt(0)
	global_store_b128 v[59:60], v[31:34], off offset:32
.LBB165_32:                             ;   in Loop: Header=BB165_11 Depth=1
	s_or_b32 exec_lo, exec_lo, s3
	s_and_saveexec_b32 s3, s1
	s_cbranch_execz .LBB165_36
; %bb.33:                               ;   in Loop: Header=BB165_11 Depth=1
	s_and_not1_b32 vcc_lo, exec_lo, s26
	s_cbranch_vccnz .LBB165_57
; %bb.34:                               ;   in Loop: Header=BB165_11 Depth=1
	ds_load_2addr_b64 v[31:34], v50 offset1:1
	v_add_co_u32 v59, vcc_lo, v29, v14
	v_add_co_ci_u32_e32 v60, vcc_lo, v30, v15, vcc_lo
	s_waitcnt lgkmcnt(0)
	global_store_b128 v[59:60], v[31:34], off
	s_cbranch_execnz .LBB165_36
.LBB165_35:                             ;   in Loop: Header=BB165_11 Depth=1
	ds_load_2addr_b64 v[31:34], v50 offset1:1
	v_add_co_u32 v59, vcc_lo, v6, v58
	v_add_co_ci_u32_e32 v60, vcc_lo, 0, v28, vcc_lo
	s_waitcnt lgkmcnt(0)
	global_store_b128 v[59:60], v[31:34], off offset:64
.LBB165_36:                             ;   in Loop: Header=BB165_11 Depth=1
	s_or_b32 exec_lo, exec_lo, s3
	s_and_saveexec_b32 s3, s29
	s_cbranch_execz .LBB165_40
; %bb.37:                               ;   in Loop: Header=BB165_11 Depth=1
	s_and_not1_b32 vcc_lo, exec_lo, s26
	s_cbranch_vccnz .LBB165_58
; %bb.38:                               ;   in Loop: Header=BB165_11 Depth=1
	ds_load_2addr_b64 v[31:34], v51 offset1:1
	v_add_co_u32 v59, vcc_lo, v29, v16
	v_add_co_ci_u32_e32 v60, vcc_lo, v30, v17, vcc_lo
	s_waitcnt lgkmcnt(0)
	global_store_b128 v[59:60], v[31:34], off
	s_cbranch_execnz .LBB165_40
.LBB165_39:                             ;   in Loop: Header=BB165_11 Depth=1
	ds_load_2addr_b64 v[31:34], v51 offset1:1
	v_add_co_u32 v59, vcc_lo, v6, v58
	v_add_co_ci_u32_e32 v60, vcc_lo, 0, v28, vcc_lo
	s_waitcnt lgkmcnt(0)
	global_store_b128 v[59:60], v[31:34], off offset:96
.LBB165_40:                             ;   in Loop: Header=BB165_11 Depth=1
	s_or_b32 exec_lo, exec_lo, s3
	s_and_saveexec_b32 s3, s30
	s_cbranch_execz .LBB165_44
; %bb.41:                               ;   in Loop: Header=BB165_11 Depth=1
	s_and_not1_b32 vcc_lo, exec_lo, s26
	s_cbranch_vccnz .LBB165_59
; %bb.42:                               ;   in Loop: Header=BB165_11 Depth=1
	ds_load_2addr_b64 v[31:34], v52 offset1:1
	v_add_co_u32 v59, vcc_lo, v29, v18
	v_add_co_ci_u32_e32 v60, vcc_lo, v30, v19, vcc_lo
	s_waitcnt lgkmcnt(0)
	global_store_b128 v[59:60], v[31:34], off
	s_cbranch_execnz .LBB165_44
.LBB165_43:                             ;   in Loop: Header=BB165_11 Depth=1
	ds_load_2addr_b64 v[31:34], v52 offset1:1
	v_add_co_u32 v59, vcc_lo, v6, v58
	v_add_co_ci_u32_e32 v60, vcc_lo, 0, v28, vcc_lo
	s_waitcnt lgkmcnt(0)
	global_store_b128 v[59:60], v[31:34], off offset:128
.LBB165_44:                             ;   in Loop: Header=BB165_11 Depth=1
	s_or_b32 exec_lo, exec_lo, s3
	s_and_saveexec_b32 s3, s31
	s_cbranch_execz .LBB165_48
; %bb.45:                               ;   in Loop: Header=BB165_11 Depth=1
	s_and_not1_b32 vcc_lo, exec_lo, s26
	s_cbranch_vccnz .LBB165_60
; %bb.46:                               ;   in Loop: Header=BB165_11 Depth=1
	ds_load_2addr_b64 v[31:34], v53 offset1:1
	v_add_co_u32 v59, vcc_lo, v29, v20
	v_add_co_ci_u32_e32 v60, vcc_lo, v30, v21, vcc_lo
	s_waitcnt lgkmcnt(0)
	global_store_b128 v[59:60], v[31:34], off
	s_cbranch_execnz .LBB165_48
.LBB165_47:                             ;   in Loop: Header=BB165_11 Depth=1
	ds_load_2addr_b64 v[31:34], v53 offset1:1
	v_add_co_u32 v59, vcc_lo, v6, v58
	v_add_co_ci_u32_e32 v60, vcc_lo, 0, v28, vcc_lo
	s_waitcnt lgkmcnt(0)
	global_store_b128 v[59:60], v[31:34], off offset:160
.LBB165_48:                             ;   in Loop: Header=BB165_11 Depth=1
	s_or_b32 exec_lo, exec_lo, s3
	s_and_saveexec_b32 s3, s6
	s_cbranch_execz .LBB165_52
; %bb.49:                               ;   in Loop: Header=BB165_11 Depth=1
	s_and_not1_b32 vcc_lo, exec_lo, s26
	s_cbranch_vccnz .LBB165_61
; %bb.50:                               ;   in Loop: Header=BB165_11 Depth=1
	ds_load_2addr_b64 v[31:34], v54 offset1:1
	v_add_co_u32 v59, vcc_lo, v29, v22
	v_add_co_ci_u32_e32 v60, vcc_lo, v30, v23, vcc_lo
	s_waitcnt lgkmcnt(0)
	global_store_b128 v[59:60], v[31:34], off
	s_cbranch_execnz .LBB165_52
.LBB165_51:                             ;   in Loop: Header=BB165_11 Depth=1
	ds_load_2addr_b64 v[31:34], v54 offset1:1
	v_add_co_u32 v59, vcc_lo, v6, v58
	v_add_co_ci_u32_e32 v60, vcc_lo, 0, v28, vcc_lo
	s_waitcnt lgkmcnt(0)
	global_store_b128 v[59:60], v[31:34], off offset:192
.LBB165_52:                             ;   in Loop: Header=BB165_11 Depth=1
	s_or_b32 exec_lo, exec_lo, s3
	v_mov_b32_e32 v31, 1
	s_and_saveexec_b32 s3, s7
	s_cbranch_execz .LBB165_9
; %bb.53:                               ;   in Loop: Header=BB165_11 Depth=1
	s_and_not1_b32 vcc_lo, exec_lo, s26
	s_cbranch_vccnz .LBB165_62
; %bb.54:                               ;   in Loop: Header=BB165_11 Depth=1
	ds_load_2addr_b64 v[31:34], v55 offset1:1
	v_add_co_u32 v29, vcc_lo, v29, v24
	v_add_co_ci_u32_e32 v30, vcc_lo, v30, v25, vcc_lo
	s_mov_b32 s4, 1
	s_waitcnt lgkmcnt(0)
	global_store_b128 v[29:30], v[31:34], off
	s_cbranch_execnz .LBB165_8
	s_branch .LBB165_63
.LBB165_55:                             ;   in Loop: Header=BB165_11 Depth=1
	s_branch .LBB165_27
.LBB165_56:                             ;   in Loop: Header=BB165_11 Depth=1
	s_branch .LBB165_31
.LBB165_57:                             ;   in Loop: Header=BB165_11 Depth=1
	s_branch .LBB165_35
.LBB165_58:                             ;   in Loop: Header=BB165_11 Depth=1
	s_branch .LBB165_39
.LBB165_59:                             ;   in Loop: Header=BB165_11 Depth=1
	s_branch .LBB165_43
.LBB165_60:                             ;   in Loop: Header=BB165_11 Depth=1
	s_branch .LBB165_47
.LBB165_61:                             ;   in Loop: Header=BB165_11 Depth=1
	s_branch .LBB165_51
.LBB165_62:                             ;   in Loop: Header=BB165_11 Depth=1
                                        ; implicit-def: $sgpr4
.LBB165_63:                             ;   in Loop: Header=BB165_11 Depth=1
	ds_load_2addr_b64 v[29:32], v55 offset1:1
	v_add_co_u32 v33, vcc_lo, v6, v58
	v_add_co_ci_u32_e32 v34, vcc_lo, 0, v28, vcc_lo
	s_mov_b32 s4, 1
	s_waitcnt lgkmcnt(0)
	global_store_b128 v[33:34], v[29:32], off offset:224
	s_branch .LBB165_8
.LBB165_64:
	s_endpgm
	.section	.rodata,"a",@progbits
	.p2align	6, 0x0
	.amdhsa_kernel _ZN9rocsparseL42csr2bsr_wavefront_per_row_multipass_kernelILj256ELj32ELj16E21rocsparse_complex_numIdEilEEv20rocsparse_direction_T4_S4_S4_S4_S4_21rocsparse_index_base_PKT2_PKT3_PKS4_S5_PS6_PS9_PS4_
		.amdhsa_group_segment_fixed_size 32776
		.amdhsa_private_segment_fixed_size 0
		.amdhsa_kernarg_size 112
		.amdhsa_user_sgpr_count 15
		.amdhsa_user_sgpr_dispatch_ptr 0
		.amdhsa_user_sgpr_queue_ptr 0
		.amdhsa_user_sgpr_kernarg_segment_ptr 1
		.amdhsa_user_sgpr_dispatch_id 0
		.amdhsa_user_sgpr_private_segment_size 0
		.amdhsa_wavefront_size32 1
		.amdhsa_uses_dynamic_stack 0
		.amdhsa_enable_private_segment 0
		.amdhsa_system_sgpr_workgroup_id_x 1
		.amdhsa_system_sgpr_workgroup_id_y 0
		.amdhsa_system_sgpr_workgroup_id_z 0
		.amdhsa_system_sgpr_workgroup_info 0
		.amdhsa_system_vgpr_workitem_id 0
		.amdhsa_next_free_vgpr 70
		.amdhsa_next_free_sgpr 32
		.amdhsa_reserve_vcc 1
		.amdhsa_float_round_mode_32 0
		.amdhsa_float_round_mode_16_64 0
		.amdhsa_float_denorm_mode_32 3
		.amdhsa_float_denorm_mode_16_64 3
		.amdhsa_dx10_clamp 1
		.amdhsa_ieee_mode 1
		.amdhsa_fp16_overflow 0
		.amdhsa_workgroup_processor_mode 1
		.amdhsa_memory_ordered 1
		.amdhsa_forward_progress 0
		.amdhsa_shared_vgpr_count 0
		.amdhsa_exception_fp_ieee_invalid_op 0
		.amdhsa_exception_fp_denorm_src 0
		.amdhsa_exception_fp_ieee_div_zero 0
		.amdhsa_exception_fp_ieee_overflow 0
		.amdhsa_exception_fp_ieee_underflow 0
		.amdhsa_exception_fp_ieee_inexact 0
		.amdhsa_exception_int_div_zero 0
	.end_amdhsa_kernel
	.section	.text._ZN9rocsparseL42csr2bsr_wavefront_per_row_multipass_kernelILj256ELj32ELj16E21rocsparse_complex_numIdEilEEv20rocsparse_direction_T4_S4_S4_S4_S4_21rocsparse_index_base_PKT2_PKT3_PKS4_S5_PS6_PS9_PS4_,"axG",@progbits,_ZN9rocsparseL42csr2bsr_wavefront_per_row_multipass_kernelILj256ELj32ELj16E21rocsparse_complex_numIdEilEEv20rocsparse_direction_T4_S4_S4_S4_S4_21rocsparse_index_base_PKT2_PKT3_PKS4_S5_PS6_PS9_PS4_,comdat
.Lfunc_end165:
	.size	_ZN9rocsparseL42csr2bsr_wavefront_per_row_multipass_kernelILj256ELj32ELj16E21rocsparse_complex_numIdEilEEv20rocsparse_direction_T4_S4_S4_S4_S4_21rocsparse_index_base_PKT2_PKT3_PKS4_S5_PS6_PS9_PS4_, .Lfunc_end165-_ZN9rocsparseL42csr2bsr_wavefront_per_row_multipass_kernelILj256ELj32ELj16E21rocsparse_complex_numIdEilEEv20rocsparse_direction_T4_S4_S4_S4_S4_21rocsparse_index_base_PKT2_PKT3_PKS4_S5_PS6_PS9_PS4_
                                        ; -- End function
	.section	.AMDGPU.csdata,"",@progbits
; Kernel info:
; codeLenInByte = 3744
; NumSgprs: 34
; NumVgprs: 70
; ScratchSize: 0
; MemoryBound: 0
; FloatMode: 240
; IeeeMode: 1
; LDSByteSize: 32776 bytes/workgroup (compile time only)
; SGPRBlocks: 4
; VGPRBlocks: 8
; NumSGPRsForWavesPerEU: 34
; NumVGPRsForWavesPerEU: 70
; Occupancy: 6
; WaveLimiterHint : 0
; COMPUTE_PGM_RSRC2:SCRATCH_EN: 0
; COMPUTE_PGM_RSRC2:USER_SGPR: 15
; COMPUTE_PGM_RSRC2:TRAP_HANDLER: 0
; COMPUTE_PGM_RSRC2:TGID_X_EN: 1
; COMPUTE_PGM_RSRC2:TGID_Y_EN: 0
; COMPUTE_PGM_RSRC2:TGID_Z_EN: 0
; COMPUTE_PGM_RSRC2:TIDIG_COMP_CNT: 0
	.section	.text._ZN9rocsparseL38csr2bsr_block_per_row_multipass_kernelILj256ELj32E21rocsparse_complex_numIdEilEEv20rocsparse_direction_T3_S4_S4_S4_S4_21rocsparse_index_base_PKT1_PKT2_PKS4_S5_PS6_PS9_PS4_,"axG",@progbits,_ZN9rocsparseL38csr2bsr_block_per_row_multipass_kernelILj256ELj32E21rocsparse_complex_numIdEilEEv20rocsparse_direction_T3_S4_S4_S4_S4_21rocsparse_index_base_PKT1_PKT2_PKS4_S5_PS6_PS9_PS4_,comdat
	.globl	_ZN9rocsparseL38csr2bsr_block_per_row_multipass_kernelILj256ELj32E21rocsparse_complex_numIdEilEEv20rocsparse_direction_T3_S4_S4_S4_S4_21rocsparse_index_base_PKT1_PKT2_PKS4_S5_PS6_PS9_PS4_ ; -- Begin function _ZN9rocsparseL38csr2bsr_block_per_row_multipass_kernelILj256ELj32E21rocsparse_complex_numIdEilEEv20rocsparse_direction_T3_S4_S4_S4_S4_21rocsparse_index_base_PKT1_PKT2_PKS4_S5_PS6_PS9_PS4_
	.p2align	8
	.type	_ZN9rocsparseL38csr2bsr_block_per_row_multipass_kernelILj256ELj32E21rocsparse_complex_numIdEilEEv20rocsparse_direction_T3_S4_S4_S4_S4_21rocsparse_index_base_PKT1_PKT2_PKS4_S5_PS6_PS9_PS4_,@function
_ZN9rocsparseL38csr2bsr_block_per_row_multipass_kernelILj256ELj32E21rocsparse_complex_numIdEilEEv20rocsparse_direction_T3_S4_S4_S4_S4_21rocsparse_index_base_PKT1_PKT2_PKS4_S5_PS6_PS9_PS4_: ; @_ZN9rocsparseL38csr2bsr_block_per_row_multipass_kernelILj256ELj32E21rocsparse_complex_numIdEilEEv20rocsparse_direction_T3_S4_S4_S4_S4_21rocsparse_index_base_PKT1_PKT2_PKS4_S5_PS6_PS9_PS4_
; %bb.0:
	s_mov_b32 s2, s15
	s_clause 0x1
	s_load_b128 s[12:15], s[0:1], 0x20
	s_load_b64 s[6:7], s[0:1], 0x8
	v_mov_b32_e32 v4, 0
	v_lshrrev_b32_e32 v3, 3, v0
	s_clause 0x1
	s_load_b32 s28, s[0:1], 0x30
	s_load_b64 s[4:5], s[0:1], 0x40
	s_ashr_i32 s3, s2, 31
	v_mov_b32_e32 v6, v4
	s_waitcnt lgkmcnt(0)
	v_mad_u64_u32 v[1:2], null, s2, s14, v[3:4]
	s_mul_i32 s8, s2, s15
	s_mul_i32 s9, s3, s14
	s_delay_alu instid0(VALU_DEP_1) | instid1(SALU_CYCLE_1)
	v_add3_u32 v2, s8, s9, v2
	v_cmp_gt_i64_e64 s9, s[14:15], v[3:4]
	s_delay_alu instid0(VALU_DEP_2) | instskip(NEXT) | instid1(VALU_DEP_2)
	v_cmp_gt_i64_e32 vcc_lo, s[6:7], v[1:2]
	s_and_b32 s6, s9, vcc_lo
	s_delay_alu instid0(SALU_CYCLE_1)
	s_and_saveexec_b32 s7, s6
	s_cbranch_execnz .LBB166_3
; %bb.1:
	s_or_b32 exec_lo, exec_lo, s7
	s_and_saveexec_b32 s7, s6
	s_cbranch_execnz .LBB166_4
.LBB166_2:
	s_or_b32 exec_lo, exec_lo, s7
	v_cmp_lt_i64_e64 s4, s[12:13], 1
	s_delay_alu instid0(VALU_DEP_1)
	s_and_b32 vcc_lo, exec_lo, s4
	s_cbranch_vccz .LBB166_5
	s_branch .LBB166_45
.LBB166_3:
	v_lshlrev_b64 v[5:6], 2, v[1:2]
	s_delay_alu instid0(VALU_DEP_1) | instskip(NEXT) | instid1(VALU_DEP_2)
	v_add_co_u32 v5, vcc_lo, s4, v5
	v_add_co_ci_u32_e32 v6, vcc_lo, s5, v6, vcc_lo
	global_load_b32 v5, v[5:6], off
	s_waitcnt vmcnt(0)
	v_subrev_nc_u32_e32 v6, s28, v5
	s_or_b32 exec_lo, exec_lo, s7
	s_and_saveexec_b32 s7, s6
	s_cbranch_execz .LBB166_2
.LBB166_4:
	v_lshlrev_b64 v[1:2], 2, v[1:2]
	s_delay_alu instid0(VALU_DEP_1) | instskip(NEXT) | instid1(VALU_DEP_2)
	v_add_co_u32 v1, vcc_lo, s4, v1
	v_add_co_ci_u32_e32 v2, vcc_lo, s5, v2, vcc_lo
	global_load_b32 v1, v[1:2], off offset:4
	s_waitcnt vmcnt(0)
	v_subrev_nc_u32_e32 v4, s28, v1
	s_or_b32 exec_lo, exec_lo, s7
	v_cmp_lt_i64_e64 s4, s[12:13], 1
	s_delay_alu instid0(VALU_DEP_1)
	s_and_b32 vcc_lo, exec_lo, s4
	s_cbranch_vccnz .LBB166_45
.LBB166_5:
	v_mbcnt_lo_u32_b32 v11, -1, 0
	v_mad_u64_u32 v[1:2], null, v3, s14, 0
	s_clause 0x1
	s_load_b128 s[4:7], s[0:1], 0x58
	s_load_b64 s[20:21], s[0:1], 0x68
	s_mul_i32 s8, s14, s15
	v_xor_b32_e32 v7, 4, v11
	v_xor_b32_e32 v8, 2, v11
	;; [unrolled: 1-line block ×3, first 2 shown]
	s_mul_hi_u32 s10, s14, s14
	s_clause 0x3
	s_load_b32 s30, s[0:1], 0x50
	s_load_b64 s[22:23], s[0:1], 0x48
	s_load_b64 s[24:25], s[0:1], 0x38
	s_load_b32 s11, s[0:1], 0x0
	v_cmp_gt_i32_e32 vcc_lo, 32, v7
	s_lshl_b64 s[0:1], s[2:3], 2
	s_add_i32 s2, s10, s8
	v_dual_mov_b32 v5, 0 :: v_dual_lshlrev_b32 v10, 4, v3
	v_cndmask_b32_e32 v13, v11, v7, vcc_lo
	v_cmp_gt_i32_e32 vcc_lo, 32, v8
	s_add_i32 s31, s2, s8
	v_lshlrev_b32_e32 v32, 3, v0
	v_cmp_gt_u32_e64 s2, 64, v0
	v_dual_cndmask_b32 v14, v11, v8 :: v_dual_lshlrev_b32 v23, 5, v3
	v_cmp_gt_i32_e32 vcc_lo, 32, v12
	v_mad_u64_u32 v[8:9], null, v3, s15, v[2:3]
	v_and_b32_e32 v7, 7, v0
	s_delay_alu instid0(VALU_DEP_4)
	v_dual_cndmask_b32 v2, v11, v12 :: v_dual_lshlrev_b32 v25, 2, v14
	s_waitcnt lgkmcnt(0)
	s_add_u32 s0, s6, s0
	s_addc_u32 s1, s7, s1
	v_cmp_gt_u32_e64 s3, 32, v0
	s_load_b32 s0, s[0:1], 0x0
	v_lshlrev_b32_e32 v26, 2, v2
	v_dual_mov_b32 v2, v8 :: v_dual_lshlrev_b32 v3, 4, v7
	v_mov_b32_e32 v8, v5
	v_add_co_u32 v27, s1, s4, v10
	s_delay_alu instid0(VALU_DEP_3) | instskip(SKIP_3) | instid1(VALU_DEP_4)
	v_lshlrev_b64 v[1:2], 4, v[1:2]
	v_mad_u64_u32 v[9:10], null, v7, s14, 0
	v_add_co_ci_u32_e64 v28, null, s5, 0, s1
	v_cmp_gt_u32_e64 s1, 0x80, v0
	v_add_co_u32 v1, vcc_lo, s4, v1
	v_add_co_ci_u32_e32 v2, vcc_lo, s5, v2, vcc_lo
	v_cmp_gt_u32_e64 s4, 16, v0
	s_delay_alu instid0(VALU_DEP_3)
	v_add_co_u32 v30, vcc_lo, v1, v3
	v_or_b32_e32 v1, v23, v7
	v_cmp_gt_u32_e64 s5, 8, v0
	v_cmp_gt_u32_e64 s6, 4, v0
	;; [unrolled: 1-line block ×3, first 2 shown]
	v_cmp_eq_u32_e64 s8, 0, v0
	v_dual_mov_b32 v0, v10 :: v_dual_lshlrev_b32 v33, 4, v1
	v_or_b32_e32 v1, 8, v7
	v_lshl_or_b32 v29, v11, 2, 28
	v_lshlrev_b32_e32 v24, 2, v13
	s_mov_b32 s16, 0
	v_add_co_ci_u32_e32 v31, vcc_lo, 0, v2, vcc_lo
	v_mad_u64_u32 v[10:11], null, v7, s15, v[0:1]
	v_or_b32_e32 v11, 16, v7
	v_mad_u64_u32 v[13:14], null, v1, s14, 0
	v_or_b32_e32 v0, 24, v7
	v_cmp_gt_i64_e32 vcc_lo, s[14:15], v[7:8]
	s_delay_alu instid0(VALU_DEP_4) | instskip(SKIP_2) | instid1(VALU_DEP_4)
	v_mad_u64_u32 v[15:16], null, v11, s14, 0
	s_mov_b32 s17, s16
	s_mov_b32 s18, s16
	v_mov_b32_e32 v3, v14
	s_mov_b32 s19, s16
	v_mov_b32_e32 v2, v5
	s_waitcnt lgkmcnt(0)
	s_sub_i32 s26, s0, s30
	v_mad_u64_u32 v[17:18], null, v0, s14, 0
	s_cmp_eq_u32 s11, 0
	v_mad_u64_u32 v[19:20], null, v1, s15, v[3:4]
	s_cselect_b32 s0, -1, 0
	s_and_b32 s33, s9, vcc_lo
	v_cmp_gt_i64_e32 vcc_lo, s[14:15], v[1:2]
	v_mov_b32_e32 v2, v16
	v_dual_mov_b32 v12, v5 :: v_dual_mov_b32 v37, 1
	s_delay_alu instid0(VALU_DEP_4) | instskip(NEXT) | instid1(VALU_DEP_3)
	v_dual_mov_b32 v1, v5 :: v_dual_mov_b32 v14, v19
	v_mad_u64_u32 v[20:21], null, v11, s15, v[2:3]
	v_mov_b32_e32 v2, v18
	s_delay_alu instid0(VALU_DEP_4)
	v_cmp_gt_i64_e64 s10, s[14:15], v[11:12]
	s_and_b32 s34, s9, vcc_lo
	v_cmp_gt_i64_e32 vcc_lo, s[14:15], v[0:1]
	v_lshlrev_b64 v[8:9], 4, v[9:10]
	v_mad_u64_u32 v[11:12], null, v0, s15, v[2:3]
	v_mov_b32_e32 v16, v20
	v_mov_b32_e32 v0, s16
	v_or_b32_e32 v34, 0x80, v33
	v_or_b32_e32 v35, 0x100, v33
	;; [unrolled: 1-line block ×3, first 2 shown]
	v_dual_mov_b32 v1, s17 :: v_dual_mov_b32 v18, v11
	v_lshlrev_b64 v[10:11], 4, v[13:14]
	v_lshlrev_b64 v[12:13], 4, v[15:16]
	v_dual_mov_b32 v2, s18 :: v_dual_mov_b32 v3, s19
	s_delay_alu instid0(VALU_DEP_4)
	v_lshlrev_b64 v[14:15], 4, v[17:18]
	v_mov_b32_e32 v18, 0
	s_mul_i32 s29, s14, s14
	s_and_b32 s35, s9, s10
	s_and_b32 s36, s9, vcc_lo
	s_mov_b64 s[16:17], 0
	s_ashr_i32 s10, s15, 31
	s_branch .LBB166_7
.LBB166_6:                              ;   in Loop: Header=BB166_7 Depth=1
	s_or_b32 exec_lo, exec_lo, s11
	s_waitcnt lgkmcnt(0)
	s_barrier
	buffer_gl0_inv
	ds_load_b64 v[18:19], v5
	s_add_i32 s26, s9, s26
	s_waitcnt lgkmcnt(0)
	s_barrier
	buffer_gl0_inv
	v_readfirstlane_b32 s16, v18
	v_readfirstlane_b32 s17, v19
	s_delay_alu instid0(VALU_DEP_1) | instskip(NEXT) | instid1(SALU_CYCLE_1)
	s_bfe_i64 s[16:17], s[16:17], 0x200000
	v_cmp_lt_i64_e64 s11, s[16:17], s[12:13]
	s_delay_alu instid0(VALU_DEP_1)
	s_and_b32 vcc_lo, exec_lo, s11
	s_cbranch_vccz .LBB166_45
.LBB166_7:                              ; =>This Loop Header: Depth=1
                                        ;     Child Loop BB166_10 Depth 2
	v_mov_b32_e32 v17, s13
	v_dual_mov_b32 v16, s12 :: v_dual_add_nc_u32 v19, v6, v7
	v_mov_b32_e32 v6, v4
	s_mov_b32 s27, exec_lo
	ds_store_b8 v5, v5 offset:16384
	ds_store_b128 v33, v[0:3]
	ds_store_b128 v33, v[0:3] offset:128
	ds_store_b128 v33, v[0:3] offset:256
	;; [unrolled: 1-line block ×3, first 2 shown]
	s_waitcnt lgkmcnt(0)
	s_barrier
	buffer_gl0_inv
	v_cmpx_lt_i32_e64 v19, v4
	s_cbranch_execz .LBB166_19
; %bb.8:                                ;   in Loop: Header=BB166_7 Depth=1
	v_dual_mov_b32 v17, s13 :: v_dual_mov_b32 v16, s12
	v_mov_b32_e32 v38, v4
	s_mul_i32 s38, s16, s14
	s_mov_b32 s37, 0
	s_branch .LBB166_10
.LBB166_9:                              ;   in Loop: Header=BB166_10 Depth=2
	s_or_b32 exec_lo, exec_lo, s11
	s_delay_alu instid0(VALU_DEP_1) | instskip(SKIP_1) | instid1(VALU_DEP_1)
	v_dual_mov_b32 v38, v6 :: v_dual_add_nc_u32 v19, 8, v19
	s_xor_b32 s11, vcc_lo, -1
	v_cmp_ge_i32_e64 s9, v19, v4
	s_delay_alu instid0(VALU_DEP_1) | instskip(NEXT) | instid1(SALU_CYCLE_1)
	s_or_b32 s9, s11, s9
	s_and_b32 s9, exec_lo, s9
	s_delay_alu instid0(SALU_CYCLE_1) | instskip(NEXT) | instid1(SALU_CYCLE_1)
	s_or_b32 s37, s9, s37
	s_and_not1_b32 exec_lo, exec_lo, s37
	s_cbranch_execz .LBB166_18
.LBB166_10:                             ;   Parent Loop BB166_7 Depth=1
                                        ; =>  This Inner Loop Header: Depth=2
	v_ashrrev_i32_e32 v20, 31, v19
	s_mov_b32 s9, exec_lo
	s_delay_alu instid0(VALU_DEP_1) | instskip(NEXT) | instid1(VALU_DEP_1)
	v_lshlrev_b64 v[21:22], 3, v[19:20]
	v_add_co_u32 v21, vcc_lo, s22, v21
	s_delay_alu instid0(VALU_DEP_2) | instskip(SKIP_4) | instid1(VALU_DEP_1)
	v_add_co_ci_u32_e32 v22, vcc_lo, s23, v22, vcc_lo
	global_load_b64 v[21:22], v[21:22], off
	s_waitcnt vmcnt(0)
	v_sub_co_u32 v39, vcc_lo, v21, s28
	v_subrev_co_ci_u32_e32 v40, vcc_lo, 0, v22, vcc_lo
                                        ; implicit-def: $vgpr21_vgpr22
	v_or_b32_e32 v6, s15, v40
	s_delay_alu instid0(VALU_DEP_1)
	v_cmpx_ne_u64_e32 0, v[5:6]
	s_xor_b32 s39, exec_lo, s9
	s_cbranch_execz .LBB166_12
; %bb.11:                               ;   in Loop: Header=BB166_10 Depth=2
	s_add_u32 s18, s14, s10
	s_mov_b32 s11, s10
	s_addc_u32 s19, s15, s10
	s_delay_alu instid0(SALU_CYCLE_1) | instskip(NEXT) | instid1(SALU_CYCLE_1)
	s_xor_b64 s[18:19], s[18:19], s[10:11]
	v_cvt_f32_u32_e32 v6, s18
	v_cvt_f32_u32_e32 v21, s19
	s_sub_u32 s9, 0, s18
	s_subb_u32 s11, 0, s19
	s_delay_alu instid0(VALU_DEP_1) | instskip(NEXT) | instid1(VALU_DEP_1)
	v_fmac_f32_e32 v6, 0x4f800000, v21
	v_rcp_f32_e32 v6, v6
	s_waitcnt_depctr 0xfff
	v_mul_f32_e32 v6, 0x5f7ffffc, v6
	s_delay_alu instid0(VALU_DEP_1) | instskip(NEXT) | instid1(VALU_DEP_1)
	v_mul_f32_e32 v21, 0x2f800000, v6
	v_trunc_f32_e32 v21, v21
	s_delay_alu instid0(VALU_DEP_1) | instskip(SKIP_1) | instid1(VALU_DEP_2)
	v_fmac_f32_e32 v6, 0xcf800000, v21
	v_cvt_u32_f32_e32 v21, v21
	v_cvt_u32_f32_e32 v6, v6
	s_delay_alu instid0(VALU_DEP_2) | instskip(NEXT) | instid1(VALU_DEP_2)
	v_mul_lo_u32 v22, s9, v21
	v_mul_hi_u32 v41, s9, v6
	v_mul_lo_u32 v42, s11, v6
	s_delay_alu instid0(VALU_DEP_2) | instskip(SKIP_1) | instid1(VALU_DEP_2)
	v_add_nc_u32_e32 v22, v41, v22
	v_mul_lo_u32 v41, s9, v6
	v_add_nc_u32_e32 v22, v22, v42
	s_delay_alu instid0(VALU_DEP_2) | instskip(NEXT) | instid1(VALU_DEP_2)
	v_mul_hi_u32 v42, v6, v41
	v_mul_lo_u32 v43, v6, v22
	v_mul_hi_u32 v44, v6, v22
	v_mul_hi_u32 v45, v21, v41
	v_mul_lo_u32 v41, v21, v41
	v_mul_hi_u32 v46, v21, v22
	v_mul_lo_u32 v22, v21, v22
	v_add_co_u32 v42, vcc_lo, v42, v43
	v_add_co_ci_u32_e32 v43, vcc_lo, 0, v44, vcc_lo
	s_delay_alu instid0(VALU_DEP_2) | instskip(NEXT) | instid1(VALU_DEP_2)
	v_add_co_u32 v41, vcc_lo, v42, v41
	v_add_co_ci_u32_e32 v41, vcc_lo, v43, v45, vcc_lo
	v_add_co_ci_u32_e32 v42, vcc_lo, 0, v46, vcc_lo
	v_ashrrev_i32_e32 v45, 31, v40
	s_delay_alu instid0(VALU_DEP_3) | instskip(NEXT) | instid1(VALU_DEP_3)
	v_add_co_u32 v22, vcc_lo, v41, v22
	v_add_co_ci_u32_e32 v41, vcc_lo, 0, v42, vcc_lo
	s_delay_alu instid0(VALU_DEP_2) | instskip(NEXT) | instid1(VALU_DEP_2)
	v_add_co_u32 v6, vcc_lo, v6, v22
	v_add_co_ci_u32_e32 v21, vcc_lo, v21, v41, vcc_lo
	s_delay_alu instid0(VALU_DEP_2) | instskip(SKIP_1) | instid1(VALU_DEP_3)
	v_mul_hi_u32 v22, s9, v6
	v_mul_lo_u32 v42, s11, v6
	v_mul_lo_u32 v41, s9, v21
	s_delay_alu instid0(VALU_DEP_1) | instskip(SKIP_1) | instid1(VALU_DEP_2)
	v_add_nc_u32_e32 v22, v22, v41
	v_mul_lo_u32 v41, s9, v6
	v_add_nc_u32_e32 v22, v22, v42
	s_delay_alu instid0(VALU_DEP_2) | instskip(NEXT) | instid1(VALU_DEP_2)
	v_mul_hi_u32 v42, v6, v41
	v_mul_lo_u32 v43, v6, v22
	v_mul_hi_u32 v44, v6, v22
	v_mul_hi_u32 v46, v21, v41
	v_mul_lo_u32 v41, v21, v41
	v_mul_hi_u32 v47, v21, v22
	v_mul_lo_u32 v22, v21, v22
	v_add_co_u32 v42, vcc_lo, v42, v43
	v_add_co_ci_u32_e32 v43, vcc_lo, 0, v44, vcc_lo
	s_delay_alu instid0(VALU_DEP_2) | instskip(NEXT) | instid1(VALU_DEP_2)
	v_add_co_u32 v41, vcc_lo, v42, v41
	v_add_co_ci_u32_e32 v41, vcc_lo, v43, v46, vcc_lo
	v_add_co_ci_u32_e32 v42, vcc_lo, 0, v47, vcc_lo
	v_add_co_u32 v43, vcc_lo, v39, v45
	v_add_co_ci_u32_e32 v40, vcc_lo, v40, v45, vcc_lo
	s_delay_alu instid0(VALU_DEP_4) | instskip(NEXT) | instid1(VALU_DEP_4)
	v_add_co_u32 v22, vcc_lo, v41, v22
	v_add_co_ci_u32_e32 v41, vcc_lo, 0, v42, vcc_lo
	s_delay_alu instid0(VALU_DEP_4) | instskip(NEXT) | instid1(VALU_DEP_3)
	v_xor_b32_e32 v44, v43, v45
	v_add_co_u32 v6, vcc_lo, v6, v22
	s_delay_alu instid0(VALU_DEP_3) | instskip(SKIP_1) | instid1(VALU_DEP_3)
	v_add_co_ci_u32_e32 v46, vcc_lo, v21, v41, vcc_lo
	v_xor_b32_e32 v47, v40, v45
	v_mul_hi_u32 v48, v44, v6
	s_delay_alu instid0(VALU_DEP_3) | instskip(NEXT) | instid1(VALU_DEP_3)
	v_mad_u64_u32 v[21:22], null, v44, v46, 0
	v_mad_u64_u32 v[40:41], null, v47, v6, 0
	;; [unrolled: 1-line block ×3, first 2 shown]
	s_delay_alu instid0(VALU_DEP_3) | instskip(NEXT) | instid1(VALU_DEP_4)
	v_add_co_u32 v6, vcc_lo, v48, v21
	v_add_co_ci_u32_e32 v21, vcc_lo, 0, v22, vcc_lo
	s_delay_alu instid0(VALU_DEP_2) | instskip(NEXT) | instid1(VALU_DEP_2)
	v_add_co_u32 v6, vcc_lo, v6, v40
	v_add_co_ci_u32_e32 v6, vcc_lo, v21, v41, vcc_lo
	v_add_co_ci_u32_e32 v21, vcc_lo, 0, v43, vcc_lo
	s_delay_alu instid0(VALU_DEP_2) | instskip(NEXT) | instid1(VALU_DEP_2)
	v_add_co_u32 v6, vcc_lo, v6, v42
	v_add_co_ci_u32_e32 v40, vcc_lo, 0, v21, vcc_lo
	s_delay_alu instid0(VALU_DEP_2) | instskip(SKIP_1) | instid1(VALU_DEP_3)
	v_mul_lo_u32 v41, s19, v6
	v_mad_u64_u32 v[21:22], null, s18, v6, 0
	v_mul_lo_u32 v42, s18, v40
	s_delay_alu instid0(VALU_DEP_2) | instskip(NEXT) | instid1(VALU_DEP_2)
	v_sub_co_u32 v21, vcc_lo, v44, v21
	v_add3_u32 v22, v22, v42, v41
	s_delay_alu instid0(VALU_DEP_1) | instskip(NEXT) | instid1(VALU_DEP_1)
	v_sub_nc_u32_e32 v41, v47, v22
	v_subrev_co_ci_u32_e64 v41, s9, s19, v41, vcc_lo
	v_add_co_u32 v42, s9, v6, 2
	s_delay_alu instid0(VALU_DEP_1) | instskip(SKIP_3) | instid1(VALU_DEP_3)
	v_add_co_ci_u32_e64 v43, s9, 0, v40, s9
	v_sub_co_u32 v44, s9, v21, s18
	v_sub_co_ci_u32_e32 v22, vcc_lo, v47, v22, vcc_lo
	v_subrev_co_ci_u32_e64 v41, s9, 0, v41, s9
	v_cmp_le_u32_e32 vcc_lo, s18, v44
	s_delay_alu instid0(VALU_DEP_3) | instskip(SKIP_1) | instid1(VALU_DEP_4)
	v_cmp_eq_u32_e64 s9, s19, v22
	v_cndmask_b32_e64 v44, 0, -1, vcc_lo
	v_cmp_le_u32_e32 vcc_lo, s19, v41
	v_cndmask_b32_e64 v46, 0, -1, vcc_lo
	v_cmp_le_u32_e32 vcc_lo, s18, v21
	;; [unrolled: 2-line block ×3, first 2 shown]
	v_cndmask_b32_e64 v47, 0, -1, vcc_lo
	v_cmp_eq_u32_e32 vcc_lo, s19, v41
	s_delay_alu instid0(VALU_DEP_2) | instskip(SKIP_3) | instid1(VALU_DEP_3)
	v_cndmask_b32_e64 v21, v47, v21, s9
	v_cndmask_b32_e32 v41, v46, v44, vcc_lo
	v_add_co_u32 v44, vcc_lo, v6, 1
	v_add_co_ci_u32_e32 v46, vcc_lo, 0, v40, vcc_lo
	v_cmp_ne_u32_e32 vcc_lo, 0, v41
	s_delay_alu instid0(VALU_DEP_2) | instskip(SKIP_2) | instid1(VALU_DEP_3)
	v_dual_cndmask_b32 v41, v44, v42 :: v_dual_cndmask_b32 v22, v46, v43
	v_cmp_ne_u32_e32 vcc_lo, 0, v21
	v_xor_b32_e32 v42, s10, v45
	v_dual_cndmask_b32 v21, v40, v22 :: v_dual_cndmask_b32 v6, v6, v41
	s_delay_alu instid0(VALU_DEP_1) | instskip(NEXT) | instid1(VALU_DEP_2)
	v_xor_b32_e32 v22, v21, v42
	v_xor_b32_e32 v6, v6, v42
	s_delay_alu instid0(VALU_DEP_1) | instskip(NEXT) | instid1(VALU_DEP_3)
	v_sub_co_u32 v21, vcc_lo, v6, v42
	v_sub_co_ci_u32_e32 v22, vcc_lo, v22, v42, vcc_lo
.LBB166_12:                             ;   in Loop: Header=BB166_10 Depth=2
	s_and_not1_saveexec_b32 s9, s39
	s_cbranch_execz .LBB166_14
; %bb.13:                               ;   in Loop: Header=BB166_10 Depth=2
	v_cvt_f32_u32_e32 v6, s14
	s_sub_i32 s11, 0, s14
	s_delay_alu instid0(VALU_DEP_1) | instskip(SKIP_2) | instid1(VALU_DEP_1)
	v_rcp_iflag_f32_e32 v6, v6
	s_waitcnt_depctr 0xfff
	v_mul_f32_e32 v6, 0x4f7ffffe, v6
	v_cvt_u32_f32_e32 v6, v6
	s_delay_alu instid0(VALU_DEP_1) | instskip(NEXT) | instid1(VALU_DEP_1)
	v_mul_lo_u32 v21, s11, v6
	v_mul_hi_u32 v21, v6, v21
	s_delay_alu instid0(VALU_DEP_1) | instskip(NEXT) | instid1(VALU_DEP_1)
	v_add_nc_u32_e32 v6, v6, v21
	v_mul_hi_u32 v6, v39, v6
	s_delay_alu instid0(VALU_DEP_1) | instskip(SKIP_1) | instid1(VALU_DEP_2)
	v_mul_lo_u32 v21, v6, s14
	v_add_nc_u32_e32 v22, 1, v6
	v_sub_nc_u32_e32 v21, v39, v21
	s_delay_alu instid0(VALU_DEP_1) | instskip(SKIP_1) | instid1(VALU_DEP_2)
	v_subrev_nc_u32_e32 v40, s14, v21
	v_cmp_le_u32_e32 vcc_lo, s14, v21
	v_dual_cndmask_b32 v21, v21, v40 :: v_dual_cndmask_b32 v6, v6, v22
	s_delay_alu instid0(VALU_DEP_1) | instskip(NEXT) | instid1(VALU_DEP_2)
	v_cmp_le_u32_e32 vcc_lo, s14, v21
	v_add_nc_u32_e32 v22, 1, v6
	s_delay_alu instid0(VALU_DEP_1)
	v_dual_cndmask_b32 v21, v6, v22 :: v_dual_mov_b32 v22, v5
.LBB166_14:                             ;   in Loop: Header=BB166_10 Depth=2
	s_or_b32 exec_lo, exec_lo, s9
	s_delay_alu instid0(VALU_DEP_1)
	v_cmp_eq_u64_e32 vcc_lo, s[16:17], v[21:22]
	s_mov_b32 s11, exec_lo
	v_cmpx_ne_u64_e64 s[16:17], v[21:22]
	s_xor_b32 s11, exec_lo, s11
; %bb.15:                               ;   in Loop: Header=BB166_10 Depth=2
	v_cmp_lt_i64_e64 s9, v[21:22], v[16:17]
                                        ; implicit-def: $vgpr39
                                        ; implicit-def: $vgpr38
	s_delay_alu instid0(VALU_DEP_1)
	v_cndmask_b32_e64 v17, v17, v22, s9
	v_cndmask_b32_e64 v16, v16, v21, s9
; %bb.16:                               ;   in Loop: Header=BB166_10 Depth=2
	s_or_saveexec_b32 s11, s11
	v_mov_b32_e32 v6, v19
	s_xor_b32 exec_lo, exec_lo, s11
	s_cbranch_execz .LBB166_9
; %bb.17:                               ;   in Loop: Header=BB166_10 Depth=2
	v_lshlrev_b64 v[20:21], 4, v[19:20]
	v_subrev_nc_u32_e32 v6, s38, v39
	s_delay_alu instid0(VALU_DEP_2) | instskip(NEXT) | instid1(VALU_DEP_1)
	v_add_co_u32 v20, s9, s24, v20
	v_add_co_ci_u32_e64 v21, s9, s25, v21, s9
	global_load_b128 v[40:43], v[20:21], off
	v_add_lshl_u32 v20, v23, v6, 4
	v_mov_b32_e32 v6, v38
	ds_store_b8 v5, v37 offset:16384
	s_waitcnt vmcnt(0)
	ds_store_2addr_b64 v20, v[40:41], v[42:43] offset1:1
	s_branch .LBB166_9
.LBB166_18:                             ;   in Loop: Header=BB166_7 Depth=1
	s_or_b32 exec_lo, exec_lo, s37
.LBB166_19:                             ;   in Loop: Header=BB166_7 Depth=1
	s_delay_alu instid0(SALU_CYCLE_1)
	s_or_b32 exec_lo, exec_lo, s27
	ds_bpermute_b32 v19, v24, v6
	s_waitcnt lgkmcnt(0)
	s_barrier
	buffer_gl0_inv
	ds_load_u8 v20, v5 offset:16384
	s_mov_b32 s9, 0
	v_min_i32_e32 v6, v19, v6
	s_waitcnt lgkmcnt(0)
	v_cmp_eq_u32_e32 vcc_lo, 0, v20
	ds_bpermute_b32 v19, v25, v6
	s_and_b32 vcc_lo, exec_lo, vcc_lo
	s_waitcnt lgkmcnt(0)
	v_min_i32_e32 v6, v19, v6
	ds_bpermute_b32 v19, v26, v6
	s_waitcnt lgkmcnt(0)
	v_min_i32_e32 v6, v19, v6
	ds_bpermute_b32 v6, v29, v6
	s_cbranch_vccnz .LBB166_26
; %bb.20:                               ;   in Loop: Header=BB166_7 Depth=1
	s_ashr_i32 s27, s26, 31
	s_mul_hi_u32 s9, s29, s26
	s_lshl_b64 s[16:17], s[26:27], 3
	s_mul_i32 s11, s29, s27
	s_add_u32 s16, s20, s16
	s_addc_u32 s17, s21, s17
	s_add_i32 s9, s9, s11
	s_mul_i32 s11, s31, s26
	s_mul_i32 s18, s29, s26
	s_add_i32 s19, s9, s11
	v_add_nc_u32_e32 v38, s30, v18
	s_lshl_b64 s[18:19], s[18:19], 4
	s_delay_alu instid0(SALU_CYCLE_1)
	v_add_co_u32 v18, vcc_lo, v27, s18
	v_add_co_ci_u32_e32 v19, vcc_lo, s19, v28, vcc_lo
	v_add_co_u32 v20, vcc_lo, v30, s18
	v_ashrrev_i32_e32 v39, 31, v38
	v_add_co_ci_u32_e32 v21, vcc_lo, s19, v31, vcc_lo
	global_store_b64 v5, v[38:39], s[16:17]
	s_and_saveexec_b32 s9, s33
	s_cbranch_execnz .LBB166_42
; %bb.21:                               ;   in Loop: Header=BB166_7 Depth=1
	s_or_b32 exec_lo, exec_lo, s9
	s_and_saveexec_b32 s9, s34
	s_cbranch_execnz .LBB166_43
.LBB166_22:                             ;   in Loop: Header=BB166_7 Depth=1
	s_or_b32 exec_lo, exec_lo, s9
	s_and_saveexec_b32 s9, s35
	s_cbranch_execnz .LBB166_44
.LBB166_23:                             ;   in Loop: Header=BB166_7 Depth=1
	s_or_b32 exec_lo, exec_lo, s9
	s_and_saveexec_b32 s9, s36
	s_cbranch_execz .LBB166_25
.LBB166_24:                             ;   in Loop: Header=BB166_7 Depth=1
	ds_load_2addr_b64 v[38:41], v36 offset1:1
	v_add_co_u32 v20, vcc_lo, 0x180, v20
	v_add_co_ci_u32_e32 v21, vcc_lo, 0, v21, vcc_lo
	v_add_co_u32 v18, vcc_lo, v18, v14
	v_add_co_ci_u32_e32 v19, vcc_lo, v19, v15, vcc_lo
	s_delay_alu instid0(VALU_DEP_2) | instskip(NEXT) | instid1(VALU_DEP_2)
	v_cndmask_b32_e64 v18, v18, v20, s0
	v_cndmask_b32_e64 v19, v19, v21, s0
	s_waitcnt lgkmcnt(0)
	global_store_b128 v[18:19], v[38:41], off
.LBB166_25:                             ;   in Loop: Header=BB166_7 Depth=1
	s_or_b32 exec_lo, exec_lo, s9
	s_mov_b32 s9, 1
.LBB166_26:                             ;   in Loop: Header=BB166_7 Depth=1
	s_waitcnt lgkmcnt(0)
	s_waitcnt_vscnt null, 0x0
	s_barrier
	buffer_gl0_inv
	ds_store_b64 v32, v[16:17]
	s_waitcnt lgkmcnt(0)
	s_barrier
	buffer_gl0_inv
	s_and_saveexec_b32 s11, s1
	s_cbranch_execz .LBB166_28
; %bb.27:                               ;   in Loop: Header=BB166_7 Depth=1
	ds_load_2addr_stride64_b64 v[16:19], v32 offset1:2
	s_waitcnt lgkmcnt(0)
	v_cmp_lt_i64_e32 vcc_lo, v[18:19], v[16:17]
	v_dual_cndmask_b32 v17, v17, v19 :: v_dual_cndmask_b32 v16, v16, v18
	ds_store_b64 v32, v[16:17]
.LBB166_28:                             ;   in Loop: Header=BB166_7 Depth=1
	s_or_b32 exec_lo, exec_lo, s11
	s_waitcnt lgkmcnt(0)
	s_barrier
	buffer_gl0_inv
	s_and_saveexec_b32 s11, s2
	s_cbranch_execz .LBB166_30
; %bb.29:                               ;   in Loop: Header=BB166_7 Depth=1
	ds_load_2addr_stride64_b64 v[16:19], v32 offset1:1
	s_waitcnt lgkmcnt(0)
	v_cmp_lt_i64_e32 vcc_lo, v[18:19], v[16:17]
	v_dual_cndmask_b32 v17, v17, v19 :: v_dual_cndmask_b32 v16, v16, v18
	ds_store_b64 v32, v[16:17]
.LBB166_30:                             ;   in Loop: Header=BB166_7 Depth=1
	s_or_b32 exec_lo, exec_lo, s11
	s_waitcnt lgkmcnt(0)
	s_barrier
	buffer_gl0_inv
	s_and_saveexec_b32 s11, s3
	s_cbranch_execz .LBB166_32
; %bb.31:                               ;   in Loop: Header=BB166_7 Depth=1
	ds_load_2addr_b64 v[16:19], v32 offset1:32
	s_waitcnt lgkmcnt(0)
	v_cmp_lt_i64_e32 vcc_lo, v[18:19], v[16:17]
	v_dual_cndmask_b32 v17, v17, v19 :: v_dual_cndmask_b32 v16, v16, v18
	ds_store_b64 v32, v[16:17]
.LBB166_32:                             ;   in Loop: Header=BB166_7 Depth=1
	s_or_b32 exec_lo, exec_lo, s11
	s_waitcnt lgkmcnt(0)
	s_barrier
	buffer_gl0_inv
	s_and_saveexec_b32 s11, s4
	s_cbranch_execz .LBB166_34
; %bb.33:                               ;   in Loop: Header=BB166_7 Depth=1
	ds_load_2addr_b64 v[16:19], v32 offset1:16
	s_waitcnt lgkmcnt(0)
	v_cmp_lt_i64_e32 vcc_lo, v[18:19], v[16:17]
	v_dual_cndmask_b32 v17, v17, v19 :: v_dual_cndmask_b32 v16, v16, v18
	ds_store_b64 v32, v[16:17]
.LBB166_34:                             ;   in Loop: Header=BB166_7 Depth=1
	s_or_b32 exec_lo, exec_lo, s11
	s_waitcnt lgkmcnt(0)
	s_barrier
	buffer_gl0_inv
	s_and_saveexec_b32 s11, s5
	s_cbranch_execz .LBB166_36
; %bb.35:                               ;   in Loop: Header=BB166_7 Depth=1
	ds_load_2addr_b64 v[16:19], v32 offset1:8
	s_waitcnt lgkmcnt(0)
	v_cmp_lt_i64_e32 vcc_lo, v[18:19], v[16:17]
	v_dual_cndmask_b32 v17, v17, v19 :: v_dual_cndmask_b32 v16, v16, v18
	ds_store_b64 v32, v[16:17]
.LBB166_36:                             ;   in Loop: Header=BB166_7 Depth=1
	s_or_b32 exec_lo, exec_lo, s11
	s_waitcnt lgkmcnt(0)
	s_barrier
	buffer_gl0_inv
	s_and_saveexec_b32 s11, s6
	s_cbranch_execz .LBB166_38
; %bb.37:                               ;   in Loop: Header=BB166_7 Depth=1
	ds_load_2addr_b64 v[16:19], v32 offset1:4
	s_waitcnt lgkmcnt(0)
	v_cmp_lt_i64_e32 vcc_lo, v[18:19], v[16:17]
	v_dual_cndmask_b32 v17, v17, v19 :: v_dual_cndmask_b32 v16, v16, v18
	ds_store_b64 v32, v[16:17]
.LBB166_38:                             ;   in Loop: Header=BB166_7 Depth=1
	s_or_b32 exec_lo, exec_lo, s11
	s_waitcnt lgkmcnt(0)
	s_barrier
	buffer_gl0_inv
	s_and_saveexec_b32 s11, s7
	s_cbranch_execz .LBB166_40
; %bb.39:                               ;   in Loop: Header=BB166_7 Depth=1
	ds_load_2addr_b64 v[16:19], v32 offset1:2
	s_waitcnt lgkmcnt(0)
	v_cmp_lt_i64_e32 vcc_lo, v[18:19], v[16:17]
	v_dual_cndmask_b32 v17, v17, v19 :: v_dual_cndmask_b32 v16, v16, v18
	ds_store_b64 v32, v[16:17]
.LBB166_40:                             ;   in Loop: Header=BB166_7 Depth=1
	s_or_b32 exec_lo, exec_lo, s11
	s_waitcnt lgkmcnt(0)
	s_barrier
	buffer_gl0_inv
	s_and_saveexec_b32 s11, s8
	s_cbranch_execz .LBB166_6
; %bb.41:                               ;   in Loop: Header=BB166_7 Depth=1
	ds_load_b128 v[16:19], v5
	s_waitcnt lgkmcnt(0)
	v_cmp_lt_i64_e32 vcc_lo, v[18:19], v[16:17]
	v_dual_cndmask_b32 v17, v17, v19 :: v_dual_cndmask_b32 v16, v16, v18
	ds_store_b64 v5, v[16:17]
	s_branch .LBB166_6
.LBB166_42:                             ;   in Loop: Header=BB166_7 Depth=1
	ds_load_2addr_b64 v[38:41], v33 offset1:1
	v_add_co_u32 v22, vcc_lo, v18, v8
	v_add_co_ci_u32_e32 v42, vcc_lo, v19, v9, vcc_lo
	s_delay_alu instid0(VALU_DEP_1) | instskip(NEXT) | instid1(VALU_DEP_3)
	v_cndmask_b32_e64 v43, v42, v21, s0
	v_cndmask_b32_e64 v42, v22, v20, s0
	s_waitcnt lgkmcnt(0)
	global_store_b128 v[42:43], v[38:41], off
	s_or_b32 exec_lo, exec_lo, s9
	s_and_saveexec_b32 s9, s34
	s_cbranch_execz .LBB166_22
.LBB166_43:                             ;   in Loop: Header=BB166_7 Depth=1
	ds_load_2addr_b64 v[38:41], v34 offset1:1
	v_add_co_u32 v22, vcc_lo, 0x80, v20
	v_add_co_ci_u32_e32 v42, vcc_lo, 0, v21, vcc_lo
	v_add_co_u32 v44, vcc_lo, v18, v10
	v_add_co_ci_u32_e32 v43, vcc_lo, v19, v11, vcc_lo
	s_delay_alu instid0(VALU_DEP_1) | instskip(NEXT) | instid1(VALU_DEP_3)
	v_cndmask_b32_e64 v43, v43, v42, s0
	v_cndmask_b32_e64 v42, v44, v22, s0
	s_waitcnt lgkmcnt(0)
	global_store_b128 v[42:43], v[38:41], off
	s_or_b32 exec_lo, exec_lo, s9
	s_and_saveexec_b32 s9, s35
	s_cbranch_execz .LBB166_23
.LBB166_44:                             ;   in Loop: Header=BB166_7 Depth=1
	ds_load_2addr_b64 v[38:41], v35 offset1:1
	v_add_co_u32 v22, vcc_lo, 0x100, v20
	v_add_co_ci_u32_e32 v42, vcc_lo, 0, v21, vcc_lo
	v_add_co_u32 v44, vcc_lo, v18, v12
	v_add_co_ci_u32_e32 v43, vcc_lo, v19, v13, vcc_lo
	s_delay_alu instid0(VALU_DEP_1) | instskip(NEXT) | instid1(VALU_DEP_3)
	v_cndmask_b32_e64 v43, v43, v42, s0
	v_cndmask_b32_e64 v42, v44, v22, s0
	s_waitcnt lgkmcnt(0)
	global_store_b128 v[42:43], v[38:41], off
	s_or_b32 exec_lo, exec_lo, s9
	s_and_saveexec_b32 s9, s36
	s_cbranch_execnz .LBB166_24
	s_branch .LBB166_25
.LBB166_45:
	s_endpgm
	.section	.rodata,"a",@progbits
	.p2align	6, 0x0
	.amdhsa_kernel _ZN9rocsparseL38csr2bsr_block_per_row_multipass_kernelILj256ELj32E21rocsparse_complex_numIdEilEEv20rocsparse_direction_T3_S4_S4_S4_S4_21rocsparse_index_base_PKT1_PKT2_PKS4_S5_PS6_PS9_PS4_
		.amdhsa_group_segment_fixed_size 16392
		.amdhsa_private_segment_fixed_size 0
		.amdhsa_kernarg_size 112
		.amdhsa_user_sgpr_count 15
		.amdhsa_user_sgpr_dispatch_ptr 0
		.amdhsa_user_sgpr_queue_ptr 0
		.amdhsa_user_sgpr_kernarg_segment_ptr 1
		.amdhsa_user_sgpr_dispatch_id 0
		.amdhsa_user_sgpr_private_segment_size 0
		.amdhsa_wavefront_size32 1
		.amdhsa_uses_dynamic_stack 0
		.amdhsa_enable_private_segment 0
		.amdhsa_system_sgpr_workgroup_id_x 1
		.amdhsa_system_sgpr_workgroup_id_y 0
		.amdhsa_system_sgpr_workgroup_id_z 0
		.amdhsa_system_sgpr_workgroup_info 0
		.amdhsa_system_vgpr_workitem_id 0
		.amdhsa_next_free_vgpr 49
		.amdhsa_next_free_sgpr 40
		.amdhsa_reserve_vcc 1
		.amdhsa_float_round_mode_32 0
		.amdhsa_float_round_mode_16_64 0
		.amdhsa_float_denorm_mode_32 3
		.amdhsa_float_denorm_mode_16_64 3
		.amdhsa_dx10_clamp 1
		.amdhsa_ieee_mode 1
		.amdhsa_fp16_overflow 0
		.amdhsa_workgroup_processor_mode 1
		.amdhsa_memory_ordered 1
		.amdhsa_forward_progress 0
		.amdhsa_shared_vgpr_count 0
		.amdhsa_exception_fp_ieee_invalid_op 0
		.amdhsa_exception_fp_denorm_src 0
		.amdhsa_exception_fp_ieee_div_zero 0
		.amdhsa_exception_fp_ieee_overflow 0
		.amdhsa_exception_fp_ieee_underflow 0
		.amdhsa_exception_fp_ieee_inexact 0
		.amdhsa_exception_int_div_zero 0
	.end_amdhsa_kernel
	.section	.text._ZN9rocsparseL38csr2bsr_block_per_row_multipass_kernelILj256ELj32E21rocsparse_complex_numIdEilEEv20rocsparse_direction_T3_S4_S4_S4_S4_21rocsparse_index_base_PKT1_PKT2_PKS4_S5_PS6_PS9_PS4_,"axG",@progbits,_ZN9rocsparseL38csr2bsr_block_per_row_multipass_kernelILj256ELj32E21rocsparse_complex_numIdEilEEv20rocsparse_direction_T3_S4_S4_S4_S4_21rocsparse_index_base_PKT1_PKT2_PKS4_S5_PS6_PS9_PS4_,comdat
.Lfunc_end166:
	.size	_ZN9rocsparseL38csr2bsr_block_per_row_multipass_kernelILj256ELj32E21rocsparse_complex_numIdEilEEv20rocsparse_direction_T3_S4_S4_S4_S4_21rocsparse_index_base_PKT1_PKT2_PKS4_S5_PS6_PS9_PS4_, .Lfunc_end166-_ZN9rocsparseL38csr2bsr_block_per_row_multipass_kernelILj256ELj32E21rocsparse_complex_numIdEilEEv20rocsparse_direction_T3_S4_S4_S4_S4_21rocsparse_index_base_PKT1_PKT2_PKS4_S5_PS6_PS9_PS4_
                                        ; -- End function
	.section	.AMDGPU.csdata,"",@progbits
; Kernel info:
; codeLenInByte = 3416
; NumSgprs: 42
; NumVgprs: 49
; ScratchSize: 0
; MemoryBound: 0
; FloatMode: 240
; IeeeMode: 1
; LDSByteSize: 16392 bytes/workgroup (compile time only)
; SGPRBlocks: 5
; VGPRBlocks: 6
; NumSGPRsForWavesPerEU: 42
; NumVGPRsForWavesPerEU: 49
; Occupancy: 14
; WaveLimiterHint : 1
; COMPUTE_PGM_RSRC2:SCRATCH_EN: 0
; COMPUTE_PGM_RSRC2:USER_SGPR: 15
; COMPUTE_PGM_RSRC2:TRAP_HANDLER: 0
; COMPUTE_PGM_RSRC2:TGID_X_EN: 1
; COMPUTE_PGM_RSRC2:TGID_Y_EN: 0
; COMPUTE_PGM_RSRC2:TGID_Z_EN: 0
; COMPUTE_PGM_RSRC2:TIDIG_COMP_CNT: 0
	.section	.text._ZN9rocsparseL21csr2bsr_65_inf_kernelILj32E21rocsparse_complex_numIdEilEEv20rocsparse_direction_T2_S4_S4_S4_S4_S4_21rocsparse_index_base_PKT0_PKT1_PKS4_S5_PS6_PS9_PS4_SF_SG_SE_,"axG",@progbits,_ZN9rocsparseL21csr2bsr_65_inf_kernelILj32E21rocsparse_complex_numIdEilEEv20rocsparse_direction_T2_S4_S4_S4_S4_S4_21rocsparse_index_base_PKT0_PKT1_PKS4_S5_PS6_PS9_PS4_SF_SG_SE_,comdat
	.globl	_ZN9rocsparseL21csr2bsr_65_inf_kernelILj32E21rocsparse_complex_numIdEilEEv20rocsparse_direction_T2_S4_S4_S4_S4_S4_21rocsparse_index_base_PKT0_PKT1_PKS4_S5_PS6_PS9_PS4_SF_SG_SE_ ; -- Begin function _ZN9rocsparseL21csr2bsr_65_inf_kernelILj32E21rocsparse_complex_numIdEilEEv20rocsparse_direction_T2_S4_S4_S4_S4_S4_21rocsparse_index_base_PKT0_PKT1_PKS4_S5_PS6_PS9_PS4_SF_SG_SE_
	.p2align	8
	.type	_ZN9rocsparseL21csr2bsr_65_inf_kernelILj32E21rocsparse_complex_numIdEilEEv20rocsparse_direction_T2_S4_S4_S4_S4_S4_21rocsparse_index_base_PKT0_PKT1_PKS4_S5_PS6_PS9_PS4_SF_SG_SE_,@function
_ZN9rocsparseL21csr2bsr_65_inf_kernelILj32E21rocsparse_complex_numIdEilEEv20rocsparse_direction_T2_S4_S4_S4_S4_S4_21rocsparse_index_base_PKT0_PKT1_PKS4_S5_PS6_PS9_PS4_SF_SG_SE_: ; @_ZN9rocsparseL21csr2bsr_65_inf_kernelILj32E21rocsparse_complex_numIdEilEEv20rocsparse_direction_T2_S4_S4_S4_S4_S4_21rocsparse_index_base_PKT0_PKT1_PKS4_S5_PS6_PS9_PS4_SF_SG_SE_
; %bb.0:
	s_clause 0x3
	s_load_b64 s[8:9], s[0:1], 0x18
	s_load_b128 s[4:7], s[0:1], 0x8
	s_load_b64 s[2:3], s[0:1], 0x78
	s_load_b32 s24, s[0:1], 0x58
	s_mov_b32 s12, s15
	s_mov_b32 s13, 0
	s_mov_b64 s[14:15], 0
	s_waitcnt lgkmcnt(0)
	v_cmp_ge_i64_e64 s8, s[12:13], s[8:9]
	s_delay_alu instid0(VALU_DEP_1)
	s_and_b32 vcc_lo, exec_lo, s8
	s_cbranch_vccnz .LBB167_2
; %bb.1:
	s_load_b64 s[8:9], s[0:1], 0x68
	s_lshl_b64 s[10:11], s[12:13], 2
	s_waitcnt lgkmcnt(0)
	s_add_u32 s8, s8, s10
	s_addc_u32 s9, s9, s11
	s_load_b32 s8, s[8:9], 0x0
	s_waitcnt lgkmcnt(0)
	s_sub_i32 s14, s8, s24
	s_delay_alu instid0(SALU_CYCLE_1)
	s_ashr_i32 s15, s14, 31
.LBB167_2:
	s_clause 0x1
	s_load_b128 s[8:11], s[0:1], 0x28
	s_load_b32 s25, s[0:1], 0x38
	s_waitcnt lgkmcnt(0)
	v_mad_u64_u32 v[2:3], null, v0, s10, 0
	s_mul_i32 s13, s12, s11
	s_mul_hi_u32 s17, s12, s10
	s_mul_i32 s16, s12, s10
	s_add_i32 s17, s17, s13
	v_cmp_gt_i64_e64 s26, s[10:11], 0
	s_lshl_b64 s[16:17], s[16:17], 8
	s_delay_alu instid0(VALU_DEP_2)
	v_mov_b32_e32 v1, v3
	s_add_u32 s13, s2, s16
	s_addc_u32 s16, s3, s17
	s_lshl_b64 s[2:3], s[10:11], 7
	v_cmp_lt_i64_e64 s17, s[10:11], 1
	v_mad_u64_u32 v[3:4], null, v0, s11, v[1:2]
	s_add_u32 s2, s13, s2
	s_addc_u32 s3, s16, s3
	v_mov_b32_e32 v1, 0
	s_delay_alu instid0(VALU_DEP_2) | instskip(NEXT) | instid1(VALU_DEP_1)
	v_lshlrev_b64 v[4:5], 2, v[2:3]
	v_add_co_u32 v6, vcc_lo, s13, v4
	s_delay_alu instid0(VALU_DEP_2)
	v_add_co_ci_u32_e32 v7, vcc_lo, s16, v5, vcc_lo
	v_add_co_u32 v8, vcc_lo, s2, v4
	v_add_co_ci_u32_e32 v9, vcc_lo, s3, v5, vcc_lo
	s_and_b32 vcc_lo, exec_lo, s17
	s_cbranch_vccnz .LBB167_7
; %bb.3:
	s_load_b64 s[16:17], s[0:1], 0x48
	s_mul_i32 s2, s12, s9
	s_mul_hi_u32 s13, s12, s8
	s_mul_i32 s3, s12, s8
	s_add_i32 s13, s13, s2
	v_add_co_u32 v4, s2, s3, v0
	s_delay_alu instid0(VALU_DEP_1) | instskip(SKIP_1) | instid1(VALU_DEP_2)
	v_add_co_ci_u32_e64 v5, null, s13, 0, s2
	v_dual_mov_b32 v15, v1 :: v_dual_mov_b32 v14, v0
	v_lshlrev_b64 v[10:11], 2, v[4:5]
	v_dual_mov_b32 v4, v8 :: v_dual_mov_b32 v5, v9
	s_waitcnt lgkmcnt(0)
	s_delay_alu instid0(VALU_DEP_2) | instskip(NEXT) | instid1(VALU_DEP_3)
	v_add_co_u32 v12, vcc_lo, v10, s16
	v_add_co_ci_u32_e32 v13, vcc_lo, s17, v11, vcc_lo
	v_dual_mov_b32 v11, v7 :: v_dual_mov_b32 v10, v6
	s_delay_alu instid0(VALU_DEP_3) | instskip(NEXT) | instid1(VALU_DEP_3)
	v_add_co_u32 v12, vcc_lo, v12, 4
	v_add_co_ci_u32_e32 v13, vcc_lo, 0, v13, vcc_lo
	s_mov_b64 s[16:17], s[10:11]
	s_set_inst_prefetch_distance 0x1
	s_branch .LBB167_5
	.p2align	6
.LBB167_4:                              ;   in Loop: Header=BB167_5 Depth=1
	s_or_b32 exec_lo, exec_lo, s2
	v_add_co_u32 v14, vcc_lo, v14, 32
	v_add_co_ci_u32_e32 v15, vcc_lo, 0, v15, vcc_lo
	v_add_co_u32 v10, vcc_lo, v10, 4
	v_add_co_ci_u32_e32 v11, vcc_lo, 0, v11, vcc_lo
	;; [unrolled: 2-line block ×3, first 2 shown]
	v_add_co_u32 v4, vcc_lo, v4, 4
	s_add_u32 s16, s16, -1
	v_add_co_ci_u32_e32 v5, vcc_lo, 0, v5, vcc_lo
	s_addc_u32 s17, s17, -1
	s_delay_alu instid0(SALU_CYCLE_1)
	s_cmp_eq_u64 s[16:17], 0
	s_cbranch_scc1 .LBB167_7
.LBB167_5:                              ; =>This Inner Loop Header: Depth=1
	v_add_co_u32 v16, vcc_lo, s3, v14
	v_add_co_ci_u32_e32 v17, vcc_lo, s13, v15, vcc_lo
	v_cmp_gt_i64_e64 s2, s[8:9], v[14:15]
	global_store_b32 v[10:11], v1, off
	global_store_b32 v[4:5], v1, off
	v_cmp_gt_i64_e32 vcc_lo, s[4:5], v[16:17]
	s_and_b32 s18, vcc_lo, s2
	s_delay_alu instid0(SALU_CYCLE_1)
	s_and_saveexec_b32 s2, s18
	s_cbranch_execz .LBB167_4
; %bb.6:                                ;   in Loop: Header=BB167_5 Depth=1
	global_load_b64 v[16:17], v[12:13], off offset:-4
	s_waitcnt vmcnt(0)
	v_subrev_nc_u32_e32 v16, s25, v16
	v_subrev_nc_u32_e32 v17, s25, v17
	global_store_b32 v[10:11], v16, off
	global_store_b32 v[4:5], v17, off
	s_branch .LBB167_4
.LBB167_7:
	s_set_inst_prefetch_distance 0x2
	v_cmp_lt_i64_e64 s2, s[6:7], 1
	s_delay_alu instid0(VALU_DEP_1)
	s_and_b32 vcc_lo, exec_lo, s2
	s_cbranch_vccnz .LBB167_52
; %bb.8:
	s_clause 0x1
	s_load_b128 s[16:19], s[0:1], 0x80
	s_load_b64 s[20:21], s[0:1], 0x70
	s_lshl_b64 s[2:3], s[10:11], 5
	v_lshlrev_b64 v[4:5], 3, v[2:3]
	s_mul_i32 s3, s3, s12
	s_mul_hi_u32 s4, s2, s12
	s_mul_i32 s2, s2, s12
	s_add_i32 s3, s4, s3
	v_mbcnt_lo_u32_b32 v14, -1, 0
	s_lshl_b64 s[4:5], s[2:3], 3
	v_lshlrev_b64 v[2:3], 4, v[2:3]
	v_mov_b32_e32 v20, 0
	s_mov_b32 s27, 0
	v_xor_b32_e32 v15, 16, v14
	v_dual_mov_b32 v40, 0x7c :: v_dual_mov_b32 v21, 0
	s_delay_alu instid0(VALU_DEP_3)
	v_mov_b32_e32 v18, v20
	v_mov_b32_e32 v16, v20
	s_waitcnt lgkmcnt(0)
	s_add_u32 s4, s16, s4
	s_addc_u32 s5, s17, s5
	s_lshl_b64 s[2:3], s[2:3], 4
	v_add_co_u32 v10, vcc_lo, s4, v4
	s_add_u32 s2, s18, s2
	v_add_co_ci_u32_e32 v11, vcc_lo, s5, v5, vcc_lo
	s_addc_u32 s3, s19, s3
	v_add_co_u32 v12, vcc_lo, s2, v2
	v_add_co_ci_u32_e32 v13, vcc_lo, s3, v3, vcc_lo
	v_xor_b32_e32 v2, 8, v14
	v_cmp_gt_i32_e32 vcc_lo, 32, v15
	v_xor_b32_e32 v4, 4, v14
	s_clause 0x3
	s_load_b64 s[2:3], s[0:1], 0x60
	s_load_b64 s[4:5], s[0:1], 0x50
	;; [unrolled: 1-line block ×3, first 2 shown]
	s_load_b32 s1, s[0:1], 0x0
	v_xor_b32_e32 v5, 2, v14
	s_lshl_b64 s[16:17], s[14:15], 3
	v_cndmask_b32_e32 v3, v14, v15, vcc_lo
	v_cmp_gt_i32_e32 vcc_lo, 32, v2
	v_xor_b32_e32 v15, 1, v14
	s_add_u32 s28, s20, s16
	s_addc_u32 s29, s21, s17
	v_cmp_eq_u32_e64 s0, 31, v0
	v_cndmask_b32_e32 v2, v14, v2, vcc_lo
	v_cmp_gt_i32_e32 vcc_lo, 32, v4
	v_mov_b32_e32 v19, v21
	s_delay_alu instid0(VALU_DEP_3)
	v_dual_mov_b32 v17, v21 :: v_dual_lshlrev_b32 v36, 2, v2
	v_dual_cndmask_b32 v4, v14, v4 :: v_dual_lshlrev_b32 v35, 2, v3
	v_cmp_gt_i32_e32 vcc_lo, 32, v5
	v_lshlrev_b32_e32 v2, 4, v0
	s_waitcnt lgkmcnt(0)
	s_cmp_lg_u32 s1, 0
	v_cndmask_b32_e32 v5, v14, v5, vcc_lo
	v_cmp_gt_i32_e32 vcc_lo, 32, v15
	s_cselect_b32 s30, -1, 0
	s_add_u32 s31, s14, -1
	s_addc_u32 s33, s15, -1
	v_lshlrev_b32_e32 v38, 2, v5
	v_cndmask_b32_e32 v14, v14, v15, vcc_lo
	s_lshl_b64 s[14:15], s[8:9], 4
	s_lshl_b64 s[16:17], s[8:9], 9
	s_ashr_i32 s18, s9, 31
	s_delay_alu instid0(VALU_DEP_1) | instskip(SKIP_2) | instid1(VALU_DEP_1)
	v_lshlrev_b32_e32 v39, 2, v14
	v_lshlrev_b32_e32 v37, 2, v4
	v_add_co_u32 v14, s1, s2, v2
	v_add_co_ci_u32_e64 v15, null, s3, 0, s1
	v_mov_b32_e32 v2, 0
	s_branch .LBB167_10
.LBB167_9:                              ;   in Loop: Header=BB167_10 Depth=1
	s_waitcnt lgkmcnt(3)
	v_add_co_u32 v20, vcc_lo, v34, 1
	s_waitcnt lgkmcnt(2)
	v_add_co_ci_u32_e32 v21, vcc_lo, 0, v41, vcc_lo
	s_delay_alu instid0(VALU_DEP_1) | instskip(SKIP_1) | instid1(SALU_CYCLE_1)
	v_cmp_le_i64_e32 vcc_lo, s[6:7], v[20:21]
	s_or_b32 s27, vcc_lo, s27
	s_and_not1_b32 exec_lo, exec_lo, s27
	s_cbranch_execz .LBB167_52
.LBB167_10:                             ; =>This Loop Header: Depth=1
                                        ;     Child Loop BB167_14 Depth 2
                                        ;       Child Loop BB167_17 Depth 3
                                        ;     Child Loop BB167_33 Depth 2
	v_dual_mov_b32 v23, s7 :: v_dual_mov_b32 v22, s6
	s_and_not1_b32 vcc_lo, exec_lo, s26
	s_cbranch_vccnz .LBB167_23
; %bb.11:                               ;   in Loop: Header=BB167_10 Depth=1
	v_dual_mov_b32 v23, s7 :: v_dual_mov_b32 v22, s6
	s_mov_b64 s[20:21], 0
	s_branch .LBB167_14
.LBB167_12:                             ;   in Loop: Header=BB167_14 Depth=2
	s_or_b32 exec_lo, exec_lo, s1
.LBB167_13:                             ;   in Loop: Header=BB167_14 Depth=2
	s_delay_alu instid0(SALU_CYCLE_1) | instskip(SKIP_2) | instid1(SALU_CYCLE_1)
	s_or_b32 exec_lo, exec_lo, s19
	s_add_u32 s20, s20, 1
	s_addc_u32 s21, s21, 0
	s_cmp_eq_u64 s[20:21], s[10:11]
	s_cbranch_scc1 .LBB167_23
.LBB167_14:                             ;   Parent Loop BB167_10 Depth=1
                                        ; =>  This Loop Header: Depth=2
                                        ;       Child Loop BB167_17 Depth 3
	s_lshl_b64 s[22:23], s[20:21], 2
	v_mov_b32_e32 v5, v2
	v_add_co_u32 v24, vcc_lo, v6, s22
	v_add_co_ci_u32_e32 v25, vcc_lo, s23, v7, vcc_lo
	v_add_co_u32 v3, vcc_lo, v8, s22
	v_add_co_ci_u32_e32 v4, vcc_lo, s23, v9, vcc_lo
	s_lshl_b64 s[22:23], s[20:21], 4
	s_clause 0x1
	global_load_b32 v30, v[24:25], off
	global_load_b32 v41, v[3:4], off
	v_add_co_u32 v28, vcc_lo, v12, s22
	v_add_co_ci_u32_e32 v29, vcc_lo, s23, v13, vcc_lo
	s_lshl_b64 s[22:23], s[20:21], 3
	v_dual_mov_b32 v3, v2 :: v_dual_mov_b32 v32, s7
	v_add_co_u32 v26, vcc_lo, v10, s22
	v_dual_mov_b32 v4, v2 :: v_dual_mov_b32 v31, s6
	v_add_co_ci_u32_e32 v27, vcc_lo, s23, v11, vcc_lo
	s_mov_b32 s19, exec_lo
	global_store_b128 v[28:29], v[2:5], off
	global_store_b64 v[26:27], v[31:32], off
	s_waitcnt vmcnt(0)
	v_cmpx_lt_i32_e64 v30, v41
	s_cbranch_execz .LBB167_13
; %bb.15:                               ;   in Loop: Header=BB167_14 Depth=2
	v_ashrrev_i32_e32 v31, 31, v30
	s_mov_b32 s22, 0
                                        ; implicit-def: $sgpr23
                                        ; implicit-def: $sgpr35
                                        ; implicit-def: $sgpr34
	s_delay_alu instid0(VALU_DEP_1) | instskip(SKIP_1) | instid1(VALU_DEP_2)
	v_lshlrev_b64 v[3:4], 4, v[30:31]
	v_lshlrev_b64 v[33:34], 3, v[30:31]
	v_add_co_u32 v31, vcc_lo, s12, v3
	s_delay_alu instid0(VALU_DEP_3) | instskip(NEXT) | instid1(VALU_DEP_3)
	v_add_co_ci_u32_e32 v32, vcc_lo, s13, v4, vcc_lo
	v_add_co_u32 v33, vcc_lo, s4, v33
	s_delay_alu instid0(VALU_DEP_4)
	v_add_co_ci_u32_e32 v34, vcc_lo, s5, v34, vcc_lo
	s_set_inst_prefetch_distance 0x1
	s_branch .LBB167_17
	.p2align	6
.LBB167_16:                             ;   in Loop: Header=BB167_17 Depth=3
	s_or_b32 exec_lo, exec_lo, s36
	s_delay_alu instid0(SALU_CYCLE_1) | instskip(NEXT) | instid1(SALU_CYCLE_1)
	s_and_b32 s1, exec_lo, s35
	s_or_b32 s22, s1, s22
	s_and_not1_b32 s1, s23, exec_lo
	s_and_b32 s23, s34, exec_lo
	s_delay_alu instid0(SALU_CYCLE_1)
	s_or_b32 s23, s1, s23
	s_and_not1_b32 exec_lo, exec_lo, s22
	s_cbranch_execz .LBB167_19
.LBB167_17:                             ;   Parent Loop BB167_10 Depth=1
                                        ;     Parent Loop BB167_14 Depth=2
                                        ; =>    This Inner Loop Header: Depth=3
	global_load_b128 v[42:45], v[31:32], off
	v_mov_b32_e32 v5, v30
	s_or_b32 s34, s34, exec_lo
	s_or_b32 s35, s35, exec_lo
	s_mov_b32 s36, exec_lo
                                        ; implicit-def: $vgpr30
	s_waitcnt vmcnt(0)
	global_store_b128 v[28:29], v[42:45], off
	global_load_b64 v[3:4], v[33:34], off
	s_waitcnt vmcnt(0)
	v_sub_co_u32 v3, vcc_lo, v3, s25
	v_subrev_co_ci_u32_e32 v4, vcc_lo, 0, v4, vcc_lo
	s_delay_alu instid0(VALU_DEP_1)
	v_cmpx_lt_i64_e64 v[3:4], v[20:21]
	s_cbranch_execz .LBB167_16
; %bb.18:                               ;   in Loop: Header=BB167_17 Depth=3
	v_add_nc_u32_e32 v30, 1, v5
	v_add_co_u32 v31, vcc_lo, v31, 16
	v_add_co_ci_u32_e32 v32, vcc_lo, 0, v32, vcc_lo
	s_delay_alu instid0(VALU_DEP_3) | instskip(SKIP_1) | instid1(VALU_DEP_1)
	v_cmp_ge_i32_e32 vcc_lo, v30, v41
	v_add_co_u32 v33, s1, v33, 8
	v_add_co_ci_u32_e64 v34, s1, 0, v34, s1
	s_and_not1_b32 s1, s35, exec_lo
	s_and_b32 s35, vcc_lo, exec_lo
	s_and_not1_b32 s34, s34, exec_lo
	s_or_b32 s35, s1, s35
	s_branch .LBB167_16
.LBB167_19:                             ;   in Loop: Header=BB167_14 Depth=2
	s_set_inst_prefetch_distance 0x2
	s_or_b32 exec_lo, exec_lo, s22
	s_xor_b32 s1, s23, -1
	s_delay_alu instid0(SALU_CYCLE_1) | instskip(NEXT) | instid1(SALU_CYCLE_1)
	s_and_saveexec_b32 s22, s1
	s_xor_b32 s1, exec_lo, s22
	s_cbranch_execz .LBB167_21
; %bb.20:                               ;   in Loop: Header=BB167_14 Depth=2
	global_store_b64 v[26:27], v[3:4], off
                                        ; implicit-def: $vgpr26_vgpr27
                                        ; implicit-def: $vgpr24_vgpr25
.LBB167_21:                             ;   in Loop: Header=BB167_14 Depth=2
	s_and_not1_saveexec_b32 s1, s1
	s_cbranch_execz .LBB167_12
; %bb.22:                               ;   in Loop: Header=BB167_14 Depth=2
	v_cmp_lt_i64_e32 vcc_lo, v[3:4], v[22:23]
	global_store_b64 v[26:27], v[3:4], off
	global_store_b32 v[24:25], v5, off
	v_dual_cndmask_b32 v23, v23, v4 :: v_dual_cndmask_b32 v22, v22, v3
	s_branch .LBB167_12
.LBB167_23:                             ;   in Loop: Header=BB167_10 Depth=1
	ds_bpermute_b32 v3, v35, v22
	ds_bpermute_b32 v4, v35, v23
	s_waitcnt lgkmcnt(0)
	v_cmp_lt_i64_e32 vcc_lo, v[3:4], v[22:23]
	v_dual_cndmask_b32 v4, v23, v4 :: v_dual_cndmask_b32 v3, v22, v3
	ds_bpermute_b32 v21, v36, v4
	ds_bpermute_b32 v20, v36, v3
	s_waitcnt lgkmcnt(0)
	v_cmp_lt_i64_e32 vcc_lo, v[20:21], v[3:4]
	v_dual_cndmask_b32 v4, v4, v21 :: v_dual_cndmask_b32 v3, v3, v20
	;; [unrolled: 5-line block ×5, first 2 shown]
	s_delay_alu instid0(VALU_DEP_1) | instskip(SKIP_1) | instid1(SALU_CYCLE_1)
	v_cmp_gt_i64_e32 vcc_lo, s[6:7], v[4:5]
	s_and_b32 s1, s0, vcc_lo
	s_and_saveexec_b32 s22, s1
	s_cbranch_execz .LBB167_29
; %bb.24:                               ;   in Loop: Header=BB167_10 Depth=1
	v_or_b32_e32 v3, s9, v5
                                        ; implicit-def: $vgpr20_vgpr21
	s_mov_b32 s1, exec_lo
	s_delay_alu instid0(VALU_DEP_1)
	v_cmpx_ne_u64_e32 0, v[2:3]
	s_xor_b32 s23, exec_lo, s1
	s_cbranch_execnz .LBB167_50
; %bb.25:                               ;   in Loop: Header=BB167_10 Depth=1
	s_and_not1_saveexec_b32 s1, s23
	s_cbranch_execnz .LBB167_51
.LBB167_26:                             ;   in Loop: Header=BB167_10 Depth=1
	s_or_b32 exec_lo, exec_lo, s1
	s_delay_alu instid0(SALU_CYCLE_1)
	s_mov_b32 s1, exec_lo
	v_cmpx_ge_i64_e64 v[20:21], v[18:19]
	s_cbranch_execz .LBB167_28
.LBB167_27:                             ;   in Loop: Header=BB167_10 Depth=1
	v_lshlrev_b64 v[18:19], 3, v[16:17]
	v_add_co_u32 v22, vcc_lo, v20, s24
	v_add_co_ci_u32_e32 v23, vcc_lo, 0, v21, vcc_lo
	s_delay_alu instid0(VALU_DEP_3) | instskip(NEXT) | instid1(VALU_DEP_4)
	v_add_co_u32 v24, vcc_lo, s28, v18
	v_add_co_ci_u32_e32 v25, vcc_lo, s29, v19, vcc_lo
	v_add_co_u32 v16, vcc_lo, v16, 1
	v_add_co_ci_u32_e32 v17, vcc_lo, 0, v17, vcc_lo
	;; [unrolled: 2-line block ×3, first 2 shown]
	global_store_b64 v[24:25], v[22:23], off
.LBB167_28:                             ;   in Loop: Header=BB167_10 Depth=1
	s_or_b32 exec_lo, exec_lo, s1
.LBB167_29:                             ;   in Loop: Header=BB167_10 Depth=1
	s_delay_alu instid0(SALU_CYCLE_1)
	s_or_b32 exec_lo, exec_lo, s22
	ds_bpermute_b32 v34, v40, v4
	ds_bpermute_b32 v41, v40, v5
	;; [unrolled: 1-line block ×4, first 2 shown]
	s_and_not1_b32 vcc_lo, exec_lo, s26
	s_cbranch_vccnz .LBB167_9
; %bb.30:                               ;   in Loop: Header=BB167_10 Depth=1
	v_add_co_u32 v3, vcc_lo, s31, 0
	s_waitcnt lgkmcnt(0)
	v_add_co_ci_u32_e32 v4, vcc_lo, s33, v17, vcc_lo
	v_dual_mov_b32 v25, v13 :: v_dual_mov_b32 v24, v12
	s_delay_alu instid0(VALU_DEP_3) | instskip(NEXT) | instid1(VALU_DEP_3)
	v_add_co_u32 v5, vcc_lo, v3, v16
	v_add_co_ci_u32_e32 v3, vcc_lo, 0, v4, vcc_lo
	v_add_co_u32 v22, vcc_lo, s31, v16
	s_delay_alu instid0(VALU_DEP_3) | instskip(NEXT) | instid1(VALU_DEP_3)
	v_mul_lo_u32 v21, s9, v5
	v_mul_lo_u32 v20, s8, v3
	v_mad_u64_u32 v[3:4], null, s8, v5, v[0:1]
	v_add_co_ci_u32_e32 v5, vcc_lo, s33, v17, vcc_lo
	v_mul_lo_u32 v27, v22, s9
	s_mov_b64 s[20:21], s[10:11]
	s_delay_alu instid0(VALU_DEP_2) | instskip(NEXT) | instid1(VALU_DEP_4)
	v_mul_lo_u32 v26, v5, s8
	v_add3_u32 v23, v21, v4, v20
	v_mad_u64_u32 v[4:5], null, v22, s8, 0
	v_mul_lo_u32 v28, s15, v3
	v_mad_u64_u32 v[20:21], null, s14, v3, s[2:3]
	s_delay_alu instid0(VALU_DEP_4) | instskip(SKIP_3) | instid1(VALU_DEP_4)
	v_mul_lo_u32 v3, s14, v23
	v_dual_mov_b32 v23, v11 :: v_dual_mov_b32 v22, v10
	v_add3_u32 v5, v5, v27, v26
	v_dual_mov_b32 v27, v15 :: v_dual_mov_b32 v26, v14
	v_add3_u32 v21, v28, v21, v3
	s_branch .LBB167_33
.LBB167_31:                             ;   in Loop: Header=BB167_33 Depth=2
	s_or_b32 exec_lo, exec_lo, s1
	global_load_b128 v[42:45], v[24:25], off
	v_lshlrev_b64 v[28:29], 4, v[30:31]
	s_delay_alu instid0(VALU_DEP_1) | instskip(NEXT) | instid1(VALU_DEP_2)
	v_add_co_u32 v28, vcc_lo, v20, v28
	v_add_co_ci_u32_e32 v29, vcc_lo, v21, v29, vcc_lo
	s_waitcnt vmcnt(0)
	global_store_b128 v[28:29], v[42:45], off
.LBB167_32:                             ;   in Loop: Header=BB167_33 Depth=2
	s_or_b32 exec_lo, exec_lo, s34
	v_add_co_u32 v20, vcc_lo, v20, s16
	v_add_co_ci_u32_e32 v21, vcc_lo, s17, v21, vcc_lo
	v_add_co_u32 v26, vcc_lo, 0x200, v26
	v_add_co_ci_u32_e32 v27, vcc_lo, 0, v27, vcc_lo
	;; [unrolled: 2-line block ×3, first 2 shown]
	v_add_co_u32 v22, vcc_lo, v22, 8
	s_add_u32 s20, s20, -1
	v_add_co_ci_u32_e32 v23, vcc_lo, 0, v23, vcc_lo
	s_addc_u32 s21, s21, -1
	s_delay_alu instid0(SALU_CYCLE_1)
	s_cmp_eq_u64 s[20:21], 0
	s_cbranch_scc1 .LBB167_9
.LBB167_33:                             ;   Parent Loop BB167_10 Depth=1
                                        ; =>  This Inner Loop Header: Depth=2
	global_load_b64 v[28:29], v[22:23], off
	s_mov_b32 s34, exec_lo
	s_waitcnt vmcnt(0)
	v_cmpx_gt_i64_e64 s[6:7], v[28:29]
	s_cbranch_execz .LBB167_32
; %bb.34:                               ;   in Loop: Header=BB167_33 Depth=2
	v_or_b32_e32 v42, s9, v29
                                        ; implicit-def: $vgpr30_vgpr31
	s_mov_b32 s1, exec_lo
	s_delay_alu instid0(VALU_DEP_1) | instskip(NEXT) | instid1(VALU_DEP_1)
	v_mov_b32_e32 v3, v42
	v_cmpx_ne_u64_e32 0, v[2:3]
	s_xor_b32 s35, exec_lo, s1
	s_cbranch_execz .LBB167_36
; %bb.35:                               ;   in Loop: Header=BB167_33 Depth=2
	s_add_u32 s22, s8, s18
	s_mov_b32 s19, s18
	s_addc_u32 s23, s9, s18
	s_delay_alu instid0(SALU_CYCLE_1) | instskip(NEXT) | instid1(SALU_CYCLE_1)
	s_xor_b64 s[22:23], s[22:23], s[18:19]
	v_cvt_f32_u32_e32 v3, s22
	v_cvt_f32_u32_e32 v30, s23
	s_sub_u32 s1, 0, s22
	s_subb_u32 s19, 0, s23
	s_delay_alu instid0(VALU_DEP_1) | instskip(NEXT) | instid1(VALU_DEP_1)
	v_fmac_f32_e32 v3, 0x4f800000, v30
	v_rcp_f32_e32 v3, v3
	s_waitcnt_depctr 0xfff
	v_mul_f32_e32 v3, 0x5f7ffffc, v3
	s_delay_alu instid0(VALU_DEP_1) | instskip(NEXT) | instid1(VALU_DEP_1)
	v_mul_f32_e32 v30, 0x2f800000, v3
	v_trunc_f32_e32 v30, v30
	s_delay_alu instid0(VALU_DEP_1) | instskip(SKIP_1) | instid1(VALU_DEP_2)
	v_fmac_f32_e32 v3, 0xcf800000, v30
	v_cvt_u32_f32_e32 v30, v30
	v_cvt_u32_f32_e32 v3, v3
	s_delay_alu instid0(VALU_DEP_2) | instskip(NEXT) | instid1(VALU_DEP_2)
	v_mul_lo_u32 v31, s1, v30
	v_mul_hi_u32 v32, s1, v3
	v_mul_lo_u32 v33, s19, v3
	s_delay_alu instid0(VALU_DEP_2) | instskip(SKIP_1) | instid1(VALU_DEP_2)
	v_add_nc_u32_e32 v31, v32, v31
	v_mul_lo_u32 v32, s1, v3
	v_add_nc_u32_e32 v31, v31, v33
	s_delay_alu instid0(VALU_DEP_2) | instskip(NEXT) | instid1(VALU_DEP_2)
	v_mul_hi_u32 v33, v3, v32
	v_mul_lo_u32 v43, v3, v31
	v_mul_hi_u32 v44, v3, v31
	v_mul_hi_u32 v45, v30, v32
	v_mul_lo_u32 v32, v30, v32
	v_mul_hi_u32 v46, v30, v31
	v_mul_lo_u32 v31, v30, v31
	v_add_co_u32 v33, vcc_lo, v33, v43
	v_add_co_ci_u32_e32 v43, vcc_lo, 0, v44, vcc_lo
	s_delay_alu instid0(VALU_DEP_2) | instskip(NEXT) | instid1(VALU_DEP_2)
	v_add_co_u32 v32, vcc_lo, v33, v32
	v_add_co_ci_u32_e32 v32, vcc_lo, v43, v45, vcc_lo
	v_add_co_ci_u32_e32 v33, vcc_lo, 0, v46, vcc_lo
	v_ashrrev_i32_e32 v45, 31, v29
	s_delay_alu instid0(VALU_DEP_3) | instskip(NEXT) | instid1(VALU_DEP_3)
	v_add_co_u32 v31, vcc_lo, v32, v31
	v_add_co_ci_u32_e32 v32, vcc_lo, 0, v33, vcc_lo
	s_delay_alu instid0(VALU_DEP_2) | instskip(NEXT) | instid1(VALU_DEP_2)
	v_add_co_u32 v3, vcc_lo, v3, v31
	v_add_co_ci_u32_e32 v30, vcc_lo, v30, v32, vcc_lo
	s_delay_alu instid0(VALU_DEP_2) | instskip(SKIP_1) | instid1(VALU_DEP_3)
	v_mul_hi_u32 v31, s1, v3
	v_mul_lo_u32 v33, s19, v3
	v_mul_lo_u32 v32, s1, v30
	s_delay_alu instid0(VALU_DEP_1) | instskip(SKIP_1) | instid1(VALU_DEP_2)
	v_add_nc_u32_e32 v31, v31, v32
	v_mul_lo_u32 v32, s1, v3
	v_add_nc_u32_e32 v31, v31, v33
	s_delay_alu instid0(VALU_DEP_2) | instskip(NEXT) | instid1(VALU_DEP_2)
	v_mul_hi_u32 v33, v3, v32
	v_mul_lo_u32 v43, v3, v31
	v_mul_hi_u32 v44, v3, v31
	v_mul_hi_u32 v46, v30, v32
	v_mul_lo_u32 v32, v30, v32
	v_mul_hi_u32 v47, v30, v31
	v_mul_lo_u32 v31, v30, v31
	v_add_co_u32 v33, vcc_lo, v33, v43
	v_add_co_ci_u32_e32 v43, vcc_lo, 0, v44, vcc_lo
	s_delay_alu instid0(VALU_DEP_2) | instskip(NEXT) | instid1(VALU_DEP_2)
	v_add_co_u32 v32, vcc_lo, v33, v32
	v_add_co_ci_u32_e32 v32, vcc_lo, v43, v46, vcc_lo
	v_add_co_ci_u32_e32 v33, vcc_lo, 0, v47, vcc_lo
	v_add_co_u32 v43, vcc_lo, v28, v45
	v_add_co_ci_u32_e32 v44, vcc_lo, v29, v45, vcc_lo
	s_delay_alu instid0(VALU_DEP_4) | instskip(NEXT) | instid1(VALU_DEP_4)
	v_add_co_u32 v31, vcc_lo, v32, v31
	v_add_co_ci_u32_e32 v32, vcc_lo, 0, v33, vcc_lo
	s_delay_alu instid0(VALU_DEP_4) | instskip(NEXT) | instid1(VALU_DEP_3)
	v_xor_b32_e32 v46, v43, v45
	v_add_co_u32 v3, vcc_lo, v3, v31
	s_delay_alu instid0(VALU_DEP_3) | instskip(SKIP_1) | instid1(VALU_DEP_3)
	v_add_co_ci_u32_e32 v47, vcc_lo, v30, v32, vcc_lo
	v_xor_b32_e32 v48, v44, v45
	v_mul_hi_u32 v49, v46, v3
	s_delay_alu instid0(VALU_DEP_3) | instskip(NEXT) | instid1(VALU_DEP_3)
	v_mad_u64_u32 v[30:31], null, v46, v47, 0
	v_mad_u64_u32 v[32:33], null, v48, v3, 0
	;; [unrolled: 1-line block ×3, first 2 shown]
	s_delay_alu instid0(VALU_DEP_3) | instskip(NEXT) | instid1(VALU_DEP_4)
	v_add_co_u32 v3, vcc_lo, v49, v30
	v_add_co_ci_u32_e32 v30, vcc_lo, 0, v31, vcc_lo
	s_delay_alu instid0(VALU_DEP_2) | instskip(NEXT) | instid1(VALU_DEP_2)
	v_add_co_u32 v3, vcc_lo, v3, v32
	v_add_co_ci_u32_e32 v3, vcc_lo, v30, v33, vcc_lo
	v_add_co_ci_u32_e32 v30, vcc_lo, 0, v44, vcc_lo
	s_delay_alu instid0(VALU_DEP_2) | instskip(NEXT) | instid1(VALU_DEP_2)
	v_add_co_u32 v3, vcc_lo, v3, v43
	v_add_co_ci_u32_e32 v32, vcc_lo, 0, v30, vcc_lo
	s_delay_alu instid0(VALU_DEP_2) | instskip(SKIP_1) | instid1(VALU_DEP_3)
	v_mul_lo_u32 v33, s23, v3
	v_mad_u64_u32 v[30:31], null, s22, v3, 0
	v_mul_lo_u32 v43, s22, v32
	s_delay_alu instid0(VALU_DEP_2) | instskip(NEXT) | instid1(VALU_DEP_2)
	v_sub_co_u32 v30, vcc_lo, v46, v30
	v_add3_u32 v31, v31, v43, v33
	s_delay_alu instid0(VALU_DEP_1) | instskip(NEXT) | instid1(VALU_DEP_1)
	v_sub_nc_u32_e32 v33, v48, v31
	v_subrev_co_ci_u32_e64 v33, s1, s23, v33, vcc_lo
	v_add_co_u32 v43, s1, v3, 2
	s_delay_alu instid0(VALU_DEP_1) | instskip(SKIP_3) | instid1(VALU_DEP_3)
	v_add_co_ci_u32_e64 v44, s1, 0, v32, s1
	v_sub_co_u32 v46, s1, v30, s22
	v_sub_co_ci_u32_e32 v31, vcc_lo, v48, v31, vcc_lo
	v_subrev_co_ci_u32_e64 v33, s1, 0, v33, s1
	v_cmp_le_u32_e32 vcc_lo, s22, v46
	s_delay_alu instid0(VALU_DEP_3) | instskip(SKIP_1) | instid1(VALU_DEP_4)
	v_cmp_eq_u32_e64 s1, s23, v31
	v_cndmask_b32_e64 v46, 0, -1, vcc_lo
	v_cmp_le_u32_e32 vcc_lo, s23, v33
	v_cndmask_b32_e64 v47, 0, -1, vcc_lo
	v_cmp_le_u32_e32 vcc_lo, s22, v30
	;; [unrolled: 2-line block ×3, first 2 shown]
	v_cndmask_b32_e64 v48, 0, -1, vcc_lo
	v_cmp_eq_u32_e32 vcc_lo, s23, v33
	s_delay_alu instid0(VALU_DEP_2) | instskip(SKIP_3) | instid1(VALU_DEP_3)
	v_cndmask_b32_e64 v30, v48, v30, s1
	v_cndmask_b32_e32 v33, v47, v46, vcc_lo
	v_add_co_u32 v46, vcc_lo, v3, 1
	v_add_co_ci_u32_e32 v47, vcc_lo, 0, v32, vcc_lo
	v_cmp_ne_u32_e32 vcc_lo, 0, v33
	s_delay_alu instid0(VALU_DEP_2) | instskip(NEXT) | instid1(VALU_DEP_4)
	v_cndmask_b32_e32 v31, v47, v44, vcc_lo
	v_cndmask_b32_e32 v33, v46, v43, vcc_lo
	v_cmp_ne_u32_e32 vcc_lo, 0, v30
	v_xor_b32_e32 v43, s18, v45
	s_delay_alu instid0(VALU_DEP_3) | instskip(NEXT) | instid1(VALU_DEP_1)
	v_dual_cndmask_b32 v3, v3, v33 :: v_dual_cndmask_b32 v30, v32, v31
	v_xor_b32_e32 v3, v3, v43
	s_delay_alu instid0(VALU_DEP_2) | instskip(NEXT) | instid1(VALU_DEP_2)
	v_xor_b32_e32 v31, v30, v43
	v_sub_co_u32 v30, vcc_lo, v3, v43
	s_delay_alu instid0(VALU_DEP_2)
	v_sub_co_ci_u32_e32 v31, vcc_lo, v31, v43, vcc_lo
.LBB167_36:                             ;   in Loop: Header=BB167_33 Depth=2
	s_and_not1_saveexec_b32 s1, s35
	s_cbranch_execz .LBB167_38
; %bb.37:                               ;   in Loop: Header=BB167_33 Depth=2
	v_cvt_f32_u32_e32 v3, s8
	s_sub_i32 s19, 0, s8
	s_delay_alu instid0(VALU_DEP_1) | instskip(SKIP_2) | instid1(VALU_DEP_1)
	v_rcp_iflag_f32_e32 v3, v3
	s_waitcnt_depctr 0xfff
	v_mul_f32_e32 v3, 0x4f7ffffe, v3
	v_cvt_u32_f32_e32 v3, v3
	s_delay_alu instid0(VALU_DEP_1) | instskip(NEXT) | instid1(VALU_DEP_1)
	v_mul_lo_u32 v30, s19, v3
	v_mul_hi_u32 v30, v3, v30
	s_delay_alu instid0(VALU_DEP_1) | instskip(NEXT) | instid1(VALU_DEP_1)
	v_add_nc_u32_e32 v3, v3, v30
	v_mul_hi_u32 v3, v28, v3
	s_delay_alu instid0(VALU_DEP_1) | instskip(SKIP_1) | instid1(VALU_DEP_2)
	v_mul_lo_u32 v30, v3, s8
	v_add_nc_u32_e32 v31, 1, v3
	v_sub_nc_u32_e32 v30, v28, v30
	s_delay_alu instid0(VALU_DEP_1) | instskip(SKIP_1) | instid1(VALU_DEP_2)
	v_subrev_nc_u32_e32 v32, s8, v30
	v_cmp_le_u32_e32 vcc_lo, s8, v30
	v_dual_cndmask_b32 v30, v30, v32 :: v_dual_cndmask_b32 v3, v3, v31
	s_delay_alu instid0(VALU_DEP_1) | instskip(NEXT) | instid1(VALU_DEP_2)
	v_cmp_le_u32_e32 vcc_lo, s8, v30
	v_add_nc_u32_e32 v31, 1, v3
	s_delay_alu instid0(VALU_DEP_1)
	v_dual_cndmask_b32 v30, v3, v31 :: v_dual_mov_b32 v31, v2
.LBB167_38:                             ;   in Loop: Header=BB167_33 Depth=2
	s_or_b32 exec_lo, exec_lo, s1
	v_or_b32_e32 v3, s9, v41
                                        ; implicit-def: $vgpr32_vgpr33
	s_mov_b32 s1, exec_lo
	s_delay_alu instid0(VALU_DEP_1)
	v_cmpx_ne_u64_e32 0, v[2:3]
	s_xor_b32 s35, exec_lo, s1
	s_cbranch_execnz .LBB167_41
; %bb.39:                               ;   in Loop: Header=BB167_33 Depth=2
	s_and_not1_saveexec_b32 s1, s35
	s_cbranch_execnz .LBB167_42
.LBB167_40:                             ;   in Loop: Header=BB167_33 Depth=2
	s_or_b32 exec_lo, exec_lo, s1
	s_delay_alu instid0(VALU_DEP_1)
	v_cmp_eq_u64_e32 vcc_lo, v[30:31], v[32:33]
	s_and_b32 exec_lo, exec_lo, vcc_lo
	s_cbranch_execz .LBB167_32
	s_branch .LBB167_43
.LBB167_41:                             ;   in Loop: Header=BB167_33 Depth=2
	s_add_u32 s22, s8, s18
	s_mov_b32 s19, s18
	s_addc_u32 s23, s9, s18
	s_delay_alu instid0(SALU_CYCLE_1) | instskip(NEXT) | instid1(SALU_CYCLE_1)
	s_xor_b64 s[22:23], s[22:23], s[18:19]
	v_cvt_f32_u32_e32 v3, s22
	v_cvt_f32_u32_e32 v32, s23
	s_sub_u32 s1, 0, s22
	s_subb_u32 s19, 0, s23
	s_delay_alu instid0(VALU_DEP_1) | instskip(NEXT) | instid1(VALU_DEP_1)
	v_fmac_f32_e32 v3, 0x4f800000, v32
	v_rcp_f32_e32 v3, v3
	s_waitcnt_depctr 0xfff
	v_mul_f32_e32 v3, 0x5f7ffffc, v3
	s_delay_alu instid0(VALU_DEP_1) | instskip(NEXT) | instid1(VALU_DEP_1)
	v_mul_f32_e32 v32, 0x2f800000, v3
	v_trunc_f32_e32 v32, v32
	s_delay_alu instid0(VALU_DEP_1) | instskip(SKIP_1) | instid1(VALU_DEP_2)
	v_fmac_f32_e32 v3, 0xcf800000, v32
	v_cvt_u32_f32_e32 v32, v32
	v_cvt_u32_f32_e32 v3, v3
	s_delay_alu instid0(VALU_DEP_2) | instskip(NEXT) | instid1(VALU_DEP_2)
	v_mul_lo_u32 v33, s1, v32
	v_mul_hi_u32 v43, s1, v3
	v_mul_lo_u32 v44, s19, v3
	s_delay_alu instid0(VALU_DEP_2) | instskip(SKIP_1) | instid1(VALU_DEP_2)
	v_add_nc_u32_e32 v33, v43, v33
	v_mul_lo_u32 v43, s1, v3
	v_add_nc_u32_e32 v33, v33, v44
	s_delay_alu instid0(VALU_DEP_2) | instskip(NEXT) | instid1(VALU_DEP_2)
	v_mul_hi_u32 v44, v3, v43
	v_mul_lo_u32 v45, v3, v33
	v_mul_hi_u32 v46, v3, v33
	v_mul_hi_u32 v47, v32, v43
	v_mul_lo_u32 v43, v32, v43
	v_mul_hi_u32 v48, v32, v33
	v_mul_lo_u32 v33, v32, v33
	v_add_co_u32 v44, vcc_lo, v44, v45
	v_add_co_ci_u32_e32 v45, vcc_lo, 0, v46, vcc_lo
	s_delay_alu instid0(VALU_DEP_2) | instskip(NEXT) | instid1(VALU_DEP_2)
	v_add_co_u32 v43, vcc_lo, v44, v43
	v_add_co_ci_u32_e32 v43, vcc_lo, v45, v47, vcc_lo
	v_add_co_ci_u32_e32 v44, vcc_lo, 0, v48, vcc_lo
	v_ashrrev_i32_e32 v47, 31, v41
	s_delay_alu instid0(VALU_DEP_3) | instskip(NEXT) | instid1(VALU_DEP_3)
	v_add_co_u32 v33, vcc_lo, v43, v33
	v_add_co_ci_u32_e32 v43, vcc_lo, 0, v44, vcc_lo
	s_delay_alu instid0(VALU_DEP_2) | instskip(NEXT) | instid1(VALU_DEP_2)
	v_add_co_u32 v3, vcc_lo, v3, v33
	v_add_co_ci_u32_e32 v32, vcc_lo, v32, v43, vcc_lo
	s_delay_alu instid0(VALU_DEP_2) | instskip(SKIP_1) | instid1(VALU_DEP_3)
	v_mul_hi_u32 v33, s1, v3
	v_mul_lo_u32 v44, s19, v3
	v_mul_lo_u32 v43, s1, v32
	s_delay_alu instid0(VALU_DEP_1) | instskip(SKIP_1) | instid1(VALU_DEP_2)
	v_add_nc_u32_e32 v33, v33, v43
	v_mul_lo_u32 v43, s1, v3
	v_add_nc_u32_e32 v33, v33, v44
	s_delay_alu instid0(VALU_DEP_2) | instskip(NEXT) | instid1(VALU_DEP_2)
	v_mul_hi_u32 v44, v3, v43
	v_mul_lo_u32 v45, v3, v33
	v_mul_hi_u32 v46, v3, v33
	v_mul_hi_u32 v48, v32, v43
	v_mul_lo_u32 v43, v32, v43
	v_mul_hi_u32 v49, v32, v33
	v_mul_lo_u32 v33, v32, v33
	v_add_co_u32 v44, vcc_lo, v44, v45
	v_add_co_ci_u32_e32 v45, vcc_lo, 0, v46, vcc_lo
	s_delay_alu instid0(VALU_DEP_2) | instskip(NEXT) | instid1(VALU_DEP_2)
	v_add_co_u32 v43, vcc_lo, v44, v43
	v_add_co_ci_u32_e32 v43, vcc_lo, v45, v48, vcc_lo
	v_add_co_ci_u32_e32 v44, vcc_lo, 0, v49, vcc_lo
	v_add_co_u32 v45, vcc_lo, v34, v47
	v_add_co_ci_u32_e32 v46, vcc_lo, v41, v47, vcc_lo
	s_delay_alu instid0(VALU_DEP_4) | instskip(NEXT) | instid1(VALU_DEP_4)
	v_add_co_u32 v33, vcc_lo, v43, v33
	v_add_co_ci_u32_e32 v43, vcc_lo, 0, v44, vcc_lo
	s_delay_alu instid0(VALU_DEP_4) | instskip(NEXT) | instid1(VALU_DEP_3)
	v_xor_b32_e32 v48, v45, v47
	v_add_co_u32 v3, vcc_lo, v3, v33
	s_delay_alu instid0(VALU_DEP_3) | instskip(SKIP_1) | instid1(VALU_DEP_3)
	v_add_co_ci_u32_e32 v49, vcc_lo, v32, v43, vcc_lo
	v_xor_b32_e32 v50, v46, v47
	v_mul_hi_u32 v51, v48, v3
	s_delay_alu instid0(VALU_DEP_3) | instskip(NEXT) | instid1(VALU_DEP_3)
	v_mad_u64_u32 v[32:33], null, v48, v49, 0
	v_mad_u64_u32 v[43:44], null, v50, v3, 0
	v_mad_u64_u32 v[45:46], null, v50, v49, 0
	s_delay_alu instid0(VALU_DEP_3) | instskip(NEXT) | instid1(VALU_DEP_4)
	v_add_co_u32 v3, vcc_lo, v51, v32
	v_add_co_ci_u32_e32 v32, vcc_lo, 0, v33, vcc_lo
	s_delay_alu instid0(VALU_DEP_2) | instskip(NEXT) | instid1(VALU_DEP_2)
	v_add_co_u32 v3, vcc_lo, v3, v43
	v_add_co_ci_u32_e32 v3, vcc_lo, v32, v44, vcc_lo
	v_add_co_ci_u32_e32 v32, vcc_lo, 0, v46, vcc_lo
	s_delay_alu instid0(VALU_DEP_2) | instskip(NEXT) | instid1(VALU_DEP_2)
	v_add_co_u32 v3, vcc_lo, v3, v45
	v_add_co_ci_u32_e32 v43, vcc_lo, 0, v32, vcc_lo
	s_delay_alu instid0(VALU_DEP_2) | instskip(SKIP_1) | instid1(VALU_DEP_3)
	v_mul_lo_u32 v44, s23, v3
	v_mad_u64_u32 v[32:33], null, s22, v3, 0
	v_mul_lo_u32 v45, s22, v43
	s_delay_alu instid0(VALU_DEP_2) | instskip(NEXT) | instid1(VALU_DEP_2)
	v_sub_co_u32 v32, vcc_lo, v48, v32
	v_add3_u32 v33, v33, v45, v44
	s_delay_alu instid0(VALU_DEP_1) | instskip(NEXT) | instid1(VALU_DEP_1)
	v_sub_nc_u32_e32 v44, v50, v33
	v_subrev_co_ci_u32_e64 v44, s1, s23, v44, vcc_lo
	v_add_co_u32 v45, s1, v3, 2
	s_delay_alu instid0(VALU_DEP_1) | instskip(SKIP_3) | instid1(VALU_DEP_3)
	v_add_co_ci_u32_e64 v46, s1, 0, v43, s1
	v_sub_co_u32 v48, s1, v32, s22
	v_sub_co_ci_u32_e32 v33, vcc_lo, v50, v33, vcc_lo
	v_subrev_co_ci_u32_e64 v44, s1, 0, v44, s1
	v_cmp_le_u32_e32 vcc_lo, s22, v48
	s_delay_alu instid0(VALU_DEP_3) | instskip(SKIP_1) | instid1(VALU_DEP_4)
	v_cmp_eq_u32_e64 s1, s23, v33
	v_cndmask_b32_e64 v48, 0, -1, vcc_lo
	v_cmp_le_u32_e32 vcc_lo, s23, v44
	v_cndmask_b32_e64 v49, 0, -1, vcc_lo
	v_cmp_le_u32_e32 vcc_lo, s22, v32
	;; [unrolled: 2-line block ×3, first 2 shown]
	v_cndmask_b32_e64 v50, 0, -1, vcc_lo
	v_cmp_eq_u32_e32 vcc_lo, s23, v44
	s_delay_alu instid0(VALU_DEP_2) | instskip(SKIP_3) | instid1(VALU_DEP_3)
	v_cndmask_b32_e64 v32, v50, v32, s1
	v_cndmask_b32_e32 v44, v49, v48, vcc_lo
	v_add_co_u32 v48, vcc_lo, v3, 1
	v_add_co_ci_u32_e32 v49, vcc_lo, 0, v43, vcc_lo
	v_cmp_ne_u32_e32 vcc_lo, 0, v44
	s_delay_alu instid0(VALU_DEP_2) | instskip(SKIP_2) | instid1(VALU_DEP_3)
	v_dual_cndmask_b32 v33, v49, v46 :: v_dual_cndmask_b32 v44, v48, v45
	v_cmp_ne_u32_e32 vcc_lo, 0, v32
	v_xor_b32_e32 v45, s18, v47
	v_cndmask_b32_e32 v32, v43, v33, vcc_lo
	s_delay_alu instid0(VALU_DEP_4) | instskip(NEXT) | instid1(VALU_DEP_2)
	v_cndmask_b32_e32 v3, v3, v44, vcc_lo
	v_xor_b32_e32 v33, v32, v45
	s_delay_alu instid0(VALU_DEP_2) | instskip(NEXT) | instid1(VALU_DEP_1)
	v_xor_b32_e32 v3, v3, v45
	v_sub_co_u32 v32, vcc_lo, v3, v45
	s_delay_alu instid0(VALU_DEP_3)
	v_sub_co_ci_u32_e32 v33, vcc_lo, v33, v45, vcc_lo
	s_and_not1_saveexec_b32 s1, s35
	s_cbranch_execz .LBB167_40
.LBB167_42:                             ;   in Loop: Header=BB167_33 Depth=2
	v_cvt_f32_u32_e32 v3, s8
	s_sub_i32 s19, 0, s8
	s_delay_alu instid0(VALU_DEP_1) | instskip(SKIP_2) | instid1(VALU_DEP_1)
	v_rcp_iflag_f32_e32 v3, v3
	s_waitcnt_depctr 0xfff
	v_mul_f32_e32 v3, 0x4f7ffffe, v3
	v_cvt_u32_f32_e32 v3, v3
	s_delay_alu instid0(VALU_DEP_1) | instskip(NEXT) | instid1(VALU_DEP_1)
	v_mul_lo_u32 v32, s19, v3
	v_mul_hi_u32 v32, v3, v32
	s_delay_alu instid0(VALU_DEP_1) | instskip(NEXT) | instid1(VALU_DEP_1)
	v_add_nc_u32_e32 v3, v3, v32
	v_mul_hi_u32 v3, v34, v3
	s_delay_alu instid0(VALU_DEP_1) | instskip(SKIP_1) | instid1(VALU_DEP_2)
	v_mul_lo_u32 v32, v3, s8
	v_add_nc_u32_e32 v33, 1, v3
	v_sub_nc_u32_e32 v32, v34, v32
	s_delay_alu instid0(VALU_DEP_1) | instskip(SKIP_1) | instid1(VALU_DEP_2)
	v_subrev_nc_u32_e32 v43, s8, v32
	v_cmp_le_u32_e32 vcc_lo, s8, v32
	v_dual_cndmask_b32 v32, v32, v43 :: v_dual_cndmask_b32 v3, v3, v33
	s_delay_alu instid0(VALU_DEP_1) | instskip(NEXT) | instid1(VALU_DEP_2)
	v_cmp_le_u32_e32 vcc_lo, s8, v32
	v_add_nc_u32_e32 v33, 1, v3
	s_delay_alu instid0(VALU_DEP_1) | instskip(SKIP_1) | instid1(VALU_DEP_1)
	v_dual_cndmask_b32 v32, v3, v33 :: v_dual_mov_b32 v33, v2
	s_or_b32 exec_lo, exec_lo, s1
	v_cmp_eq_u64_e32 vcc_lo, v[30:31], v[32:33]
	s_and_b32 exec_lo, exec_lo, vcc_lo
	s_cbranch_execz .LBB167_32
.LBB167_43:                             ;   in Loop: Header=BB167_33 Depth=2
	s_and_b32 vcc_lo, exec_lo, s30
	s_cbranch_vccz .LBB167_45
; %bb.44:                               ;   in Loop: Header=BB167_33 Depth=2
	global_load_b128 v[43:46], v[24:25], off
	v_mul_lo_u32 v3, v31, s8
	v_mul_lo_u32 v33, v30, s9
	v_mad_u64_u32 v[31:32], null, v30, s8, 0
	s_delay_alu instid0(VALU_DEP_1) | instskip(NEXT) | instid1(VALU_DEP_2)
	v_add3_u32 v3, v32, v33, v3
	v_sub_co_u32 v30, vcc_lo, v28, v31
	s_delay_alu instid0(VALU_DEP_2) | instskip(NEXT) | instid1(VALU_DEP_2)
	v_sub_co_ci_u32_e32 v3, vcc_lo, v29, v3, vcc_lo
	v_add_co_u32 v32, vcc_lo, v30, v4
	s_delay_alu instid0(VALU_DEP_2) | instskip(NEXT) | instid1(VALU_DEP_2)
	v_add_co_ci_u32_e32 v3, vcc_lo, v3, v5, vcc_lo
	v_mul_lo_u32 v33, s15, v32
	v_mad_u64_u32 v[30:31], null, s14, v32, v[26:27]
	s_delay_alu instid0(VALU_DEP_3) | instskip(NEXT) | instid1(VALU_DEP_1)
	v_mul_lo_u32 v3, s14, v3
	v_add3_u32 v31, v33, v31, v3
	s_waitcnt vmcnt(0)
	global_store_b128 v[30:31], v[43:46], off
	s_cbranch_execnz .LBB167_32
	s_branch .LBB167_46
.LBB167_45:                             ;   in Loop: Header=BB167_33 Depth=2
.LBB167_46:                             ;   in Loop: Header=BB167_33 Depth=2
	v_mov_b32_e32 v3, v42
                                        ; implicit-def: $vgpr30_vgpr31
	s_mov_b32 s1, exec_lo
	s_delay_alu instid0(VALU_DEP_1)
	v_cmpx_ne_u64_e32 0, v[2:3]
	s_xor_b32 s35, exec_lo, s1
	s_cbranch_execz .LBB167_48
; %bb.47:                               ;   in Loop: Header=BB167_33 Depth=2
	s_add_u32 s22, s8, s18
	s_mov_b32 s19, s18
	s_addc_u32 s23, s9, s18
	s_delay_alu instid0(SALU_CYCLE_1) | instskip(NEXT) | instid1(SALU_CYCLE_1)
	s_xor_b64 s[22:23], s[22:23], s[18:19]
	v_cvt_f32_u32_e32 v3, s22
	v_cvt_f32_u32_e32 v30, s23
	s_sub_u32 s1, 0, s22
	s_subb_u32 s19, 0, s23
	s_delay_alu instid0(VALU_DEP_1) | instskip(NEXT) | instid1(VALU_DEP_1)
	v_fmac_f32_e32 v3, 0x4f800000, v30
	v_rcp_f32_e32 v3, v3
	s_waitcnt_depctr 0xfff
	v_mul_f32_e32 v3, 0x5f7ffffc, v3
	s_delay_alu instid0(VALU_DEP_1) | instskip(NEXT) | instid1(VALU_DEP_1)
	v_mul_f32_e32 v30, 0x2f800000, v3
	v_trunc_f32_e32 v30, v30
	s_delay_alu instid0(VALU_DEP_1) | instskip(SKIP_1) | instid1(VALU_DEP_2)
	v_fmac_f32_e32 v3, 0xcf800000, v30
	v_cvt_u32_f32_e32 v30, v30
	v_cvt_u32_f32_e32 v3, v3
	s_delay_alu instid0(VALU_DEP_2) | instskip(NEXT) | instid1(VALU_DEP_2)
	v_mul_lo_u32 v31, s1, v30
	v_mul_hi_u32 v32, s1, v3
	v_mul_lo_u32 v33, s19, v3
	s_delay_alu instid0(VALU_DEP_2) | instskip(SKIP_1) | instid1(VALU_DEP_2)
	v_add_nc_u32_e32 v31, v32, v31
	v_mul_lo_u32 v32, s1, v3
	v_add_nc_u32_e32 v31, v31, v33
	s_delay_alu instid0(VALU_DEP_2) | instskip(NEXT) | instid1(VALU_DEP_2)
	v_mul_hi_u32 v33, v3, v32
	v_mul_lo_u32 v42, v3, v31
	v_mul_hi_u32 v43, v3, v31
	v_mul_hi_u32 v44, v30, v32
	v_mul_lo_u32 v32, v30, v32
	v_mul_hi_u32 v45, v30, v31
	v_mul_lo_u32 v31, v30, v31
	v_add_co_u32 v33, vcc_lo, v33, v42
	v_add_co_ci_u32_e32 v42, vcc_lo, 0, v43, vcc_lo
	s_delay_alu instid0(VALU_DEP_2) | instskip(NEXT) | instid1(VALU_DEP_2)
	v_add_co_u32 v32, vcc_lo, v33, v32
	v_add_co_ci_u32_e32 v32, vcc_lo, v42, v44, vcc_lo
	v_add_co_ci_u32_e32 v33, vcc_lo, 0, v45, vcc_lo
	v_ashrrev_i32_e32 v44, 31, v29
	s_delay_alu instid0(VALU_DEP_3) | instskip(NEXT) | instid1(VALU_DEP_3)
	v_add_co_u32 v31, vcc_lo, v32, v31
	v_add_co_ci_u32_e32 v32, vcc_lo, 0, v33, vcc_lo
	s_delay_alu instid0(VALU_DEP_2) | instskip(NEXT) | instid1(VALU_DEP_2)
	v_add_co_u32 v3, vcc_lo, v3, v31
	v_add_co_ci_u32_e32 v30, vcc_lo, v30, v32, vcc_lo
	s_delay_alu instid0(VALU_DEP_2) | instskip(SKIP_1) | instid1(VALU_DEP_3)
	v_mul_hi_u32 v31, s1, v3
	v_mul_lo_u32 v33, s19, v3
	v_mul_lo_u32 v32, s1, v30
	s_delay_alu instid0(VALU_DEP_1) | instskip(SKIP_1) | instid1(VALU_DEP_2)
	v_add_nc_u32_e32 v31, v31, v32
	v_mul_lo_u32 v32, s1, v3
	v_add_nc_u32_e32 v31, v31, v33
	s_delay_alu instid0(VALU_DEP_2) | instskip(NEXT) | instid1(VALU_DEP_2)
	v_mul_hi_u32 v33, v3, v32
	v_mul_lo_u32 v42, v3, v31
	v_mul_hi_u32 v43, v3, v31
	v_mul_hi_u32 v45, v30, v32
	v_mul_lo_u32 v32, v30, v32
	v_mul_hi_u32 v46, v30, v31
	v_mul_lo_u32 v31, v30, v31
	v_add_co_u32 v33, vcc_lo, v33, v42
	v_add_co_ci_u32_e32 v42, vcc_lo, 0, v43, vcc_lo
	s_delay_alu instid0(VALU_DEP_2) | instskip(NEXT) | instid1(VALU_DEP_2)
	v_add_co_u32 v32, vcc_lo, v33, v32
	v_add_co_ci_u32_e32 v32, vcc_lo, v42, v45, vcc_lo
	v_add_co_ci_u32_e32 v33, vcc_lo, 0, v46, vcc_lo
	v_add_co_u32 v28, vcc_lo, v28, v44
	v_add_co_ci_u32_e32 v29, vcc_lo, v29, v44, vcc_lo
	s_delay_alu instid0(VALU_DEP_4) | instskip(NEXT) | instid1(VALU_DEP_4)
	v_add_co_u32 v31, vcc_lo, v32, v31
	v_add_co_ci_u32_e32 v32, vcc_lo, 0, v33, vcc_lo
	s_delay_alu instid0(VALU_DEP_4) | instskip(NEXT) | instid1(VALU_DEP_3)
	v_xor_b32_e32 v42, v28, v44
	v_add_co_u32 v3, vcc_lo, v3, v31
	s_delay_alu instid0(VALU_DEP_3) | instskip(SKIP_1) | instid1(VALU_DEP_3)
	v_add_co_ci_u32_e32 v43, vcc_lo, v30, v32, vcc_lo
	v_xor_b32_e32 v45, v29, v44
	v_mul_hi_u32 v46, v42, v3
	s_delay_alu instid0(VALU_DEP_3) | instskip(NEXT) | instid1(VALU_DEP_3)
	v_mad_u64_u32 v[28:29], null, v42, v43, 0
	v_mad_u64_u32 v[30:31], null, v45, v3, 0
	;; [unrolled: 1-line block ×3, first 2 shown]
	s_delay_alu instid0(VALU_DEP_3) | instskip(NEXT) | instid1(VALU_DEP_4)
	v_add_co_u32 v3, vcc_lo, v46, v28
	v_add_co_ci_u32_e32 v28, vcc_lo, 0, v29, vcc_lo
	s_delay_alu instid0(VALU_DEP_2) | instskip(NEXT) | instid1(VALU_DEP_2)
	v_add_co_u32 v3, vcc_lo, v3, v30
	v_add_co_ci_u32_e32 v3, vcc_lo, v28, v31, vcc_lo
	v_add_co_ci_u32_e32 v28, vcc_lo, 0, v33, vcc_lo
	s_delay_alu instid0(VALU_DEP_2) | instskip(NEXT) | instid1(VALU_DEP_2)
	v_add_co_u32 v3, vcc_lo, v3, v32
	v_add_co_ci_u32_e32 v30, vcc_lo, 0, v28, vcc_lo
	s_delay_alu instid0(VALU_DEP_2) | instskip(SKIP_1) | instid1(VALU_DEP_3)
	v_mul_lo_u32 v31, s23, v3
	v_mad_u64_u32 v[28:29], null, s22, v3, 0
	v_mul_lo_u32 v3, s22, v30
	s_delay_alu instid0(VALU_DEP_2) | instskip(NEXT) | instid1(VALU_DEP_2)
	v_sub_co_u32 v28, vcc_lo, v42, v28
	v_add3_u32 v3, v29, v3, v31
	s_delay_alu instid0(VALU_DEP_1) | instskip(NEXT) | instid1(VALU_DEP_1)
	v_sub_nc_u32_e32 v29, v45, v3
	v_subrev_co_ci_u32_e64 v29, s1, s23, v29, vcc_lo
	v_sub_co_ci_u32_e32 v3, vcc_lo, v45, v3, vcc_lo
	v_sub_co_u32 v30, vcc_lo, v28, s22
	s_delay_alu instid0(VALU_DEP_1) | instskip(SKIP_3) | instid1(VALU_DEP_3)
	v_subrev_co_ci_u32_e64 v31, s1, 0, v29, vcc_lo
	v_cmp_le_u32_e64 s1, s22, v28
	v_subrev_co_ci_u32_e32 v29, vcc_lo, s23, v29, vcc_lo
	v_cmp_le_u32_e32 vcc_lo, s23, v3
	v_cndmask_b32_e64 v32, 0, -1, s1
	v_cmp_le_u32_e64 s1, s22, v30
	v_cndmask_b32_e64 v43, 0, -1, vcc_lo
	v_cmp_eq_u32_e32 vcc_lo, s23, v31
	s_delay_alu instid0(VALU_DEP_3) | instskip(SKIP_1) | instid1(VALU_DEP_1)
	v_cndmask_b32_e64 v33, 0, -1, s1
	v_cmp_le_u32_e64 s1, s23, v31
	v_cndmask_b32_e64 v42, 0, -1, s1
	v_cmp_eq_u32_e64 s1, s23, v3
	s_delay_alu instid0(VALU_DEP_2) | instskip(SKIP_2) | instid1(VALU_DEP_3)
	v_cndmask_b32_e32 v33, v42, v33, vcc_lo
	v_sub_co_u32 v42, vcc_lo, v30, s22
	v_subrev_co_ci_u32_e32 v29, vcc_lo, 0, v29, vcc_lo
	v_cmp_ne_u32_e32 vcc_lo, 0, v33
	v_cndmask_b32_e64 v32, v43, v32, s1
	s_delay_alu instid0(VALU_DEP_3) | instskip(NEXT) | instid1(VALU_DEP_2)
	v_dual_cndmask_b32 v29, v31, v29 :: v_dual_cndmask_b32 v30, v30, v42
	v_cmp_ne_u32_e32 vcc_lo, 0, v32
	s_delay_alu instid0(VALU_DEP_2) | instskip(NEXT) | instid1(VALU_DEP_1)
	v_dual_cndmask_b32 v28, v28, v30 :: v_dual_cndmask_b32 v3, v3, v29
	v_xor_b32_e32 v28, v28, v44
	s_delay_alu instid0(VALU_DEP_2) | instskip(NEXT) | instid1(VALU_DEP_2)
	v_xor_b32_e32 v3, v3, v44
	v_sub_co_u32 v30, vcc_lo, v28, v44
	s_delay_alu instid0(VALU_DEP_2)
	v_sub_co_ci_u32_e32 v31, vcc_lo, v3, v44, vcc_lo
                                        ; implicit-def: $vgpr28_vgpr29
.LBB167_48:                             ;   in Loop: Header=BB167_33 Depth=2
	s_and_not1_saveexec_b32 s1, s35
	s_cbranch_execz .LBB167_31
; %bb.49:                               ;   in Loop: Header=BB167_33 Depth=2
	v_cvt_f32_u32_e32 v3, s8
	s_sub_i32 s19, 0, s8
	v_mov_b32_e32 v31, v2
	s_delay_alu instid0(VALU_DEP_2) | instskip(SKIP_2) | instid1(VALU_DEP_1)
	v_rcp_iflag_f32_e32 v3, v3
	s_waitcnt_depctr 0xfff
	v_mul_f32_e32 v3, 0x4f7ffffe, v3
	v_cvt_u32_f32_e32 v3, v3
	s_delay_alu instid0(VALU_DEP_1) | instskip(NEXT) | instid1(VALU_DEP_1)
	v_mul_lo_u32 v29, s19, v3
	v_mul_hi_u32 v29, v3, v29
	s_delay_alu instid0(VALU_DEP_1) | instskip(NEXT) | instid1(VALU_DEP_1)
	v_add_nc_u32_e32 v3, v3, v29
	v_mul_hi_u32 v3, v28, v3
	s_delay_alu instid0(VALU_DEP_1) | instskip(NEXT) | instid1(VALU_DEP_1)
	v_mul_lo_u32 v3, v3, s8
	v_sub_nc_u32_e32 v3, v28, v3
	s_delay_alu instid0(VALU_DEP_1) | instskip(SKIP_1) | instid1(VALU_DEP_2)
	v_subrev_nc_u32_e32 v28, s8, v3
	v_cmp_le_u32_e32 vcc_lo, s8, v3
	v_cndmask_b32_e32 v3, v3, v28, vcc_lo
	s_delay_alu instid0(VALU_DEP_1) | instskip(SKIP_1) | instid1(VALU_DEP_2)
	v_subrev_nc_u32_e32 v28, s8, v3
	v_cmp_le_u32_e32 vcc_lo, s8, v3
	v_cndmask_b32_e32 v30, v3, v28, vcc_lo
	s_branch .LBB167_31
.LBB167_50:                             ;   in Loop: Header=BB167_10 Depth=1
	s_add_u32 s20, s8, s18
	s_mov_b32 s19, s18
	s_addc_u32 s21, s9, s18
	s_delay_alu instid0(SALU_CYCLE_1) | instskip(NEXT) | instid1(SALU_CYCLE_1)
	s_xor_b64 s[20:21], s[20:21], s[18:19]
	v_cvt_f32_u32_e32 v3, s20
	v_cvt_f32_u32_e32 v20, s21
	s_sub_u32 s1, 0, s20
	s_subb_u32 s19, 0, s21
	s_delay_alu instid0(VALU_DEP_1) | instskip(NEXT) | instid1(VALU_DEP_1)
	v_fmac_f32_e32 v3, 0x4f800000, v20
	v_rcp_f32_e32 v3, v3
	s_waitcnt_depctr 0xfff
	v_mul_f32_e32 v3, 0x5f7ffffc, v3
	s_delay_alu instid0(VALU_DEP_1) | instskip(NEXT) | instid1(VALU_DEP_1)
	v_mul_f32_e32 v20, 0x2f800000, v3
	v_trunc_f32_e32 v20, v20
	s_delay_alu instid0(VALU_DEP_1) | instskip(SKIP_1) | instid1(VALU_DEP_2)
	v_fmac_f32_e32 v3, 0xcf800000, v20
	v_cvt_u32_f32_e32 v20, v20
	v_cvt_u32_f32_e32 v3, v3
	s_delay_alu instid0(VALU_DEP_2) | instskip(NEXT) | instid1(VALU_DEP_2)
	v_mul_lo_u32 v21, s1, v20
	v_mul_hi_u32 v22, s1, v3
	v_mul_lo_u32 v23, s19, v3
	s_delay_alu instid0(VALU_DEP_2) | instskip(SKIP_1) | instid1(VALU_DEP_2)
	v_add_nc_u32_e32 v21, v22, v21
	v_mul_lo_u32 v22, s1, v3
	v_add_nc_u32_e32 v21, v21, v23
	s_delay_alu instid0(VALU_DEP_2) | instskip(NEXT) | instid1(VALU_DEP_2)
	v_mul_hi_u32 v23, v3, v22
	v_mul_lo_u32 v24, v3, v21
	v_mul_hi_u32 v25, v3, v21
	v_mul_hi_u32 v26, v20, v22
	v_mul_lo_u32 v22, v20, v22
	v_mul_hi_u32 v27, v20, v21
	v_mul_lo_u32 v21, v20, v21
	v_add_co_u32 v23, vcc_lo, v23, v24
	v_add_co_ci_u32_e32 v24, vcc_lo, 0, v25, vcc_lo
	s_delay_alu instid0(VALU_DEP_2) | instskip(NEXT) | instid1(VALU_DEP_2)
	v_add_co_u32 v22, vcc_lo, v23, v22
	v_add_co_ci_u32_e32 v22, vcc_lo, v24, v26, vcc_lo
	v_add_co_ci_u32_e32 v23, vcc_lo, 0, v27, vcc_lo
	v_ashrrev_i32_e32 v26, 31, v5
	s_delay_alu instid0(VALU_DEP_3) | instskip(NEXT) | instid1(VALU_DEP_3)
	v_add_co_u32 v21, vcc_lo, v22, v21
	v_add_co_ci_u32_e32 v22, vcc_lo, 0, v23, vcc_lo
	s_delay_alu instid0(VALU_DEP_2) | instskip(NEXT) | instid1(VALU_DEP_2)
	v_add_co_u32 v3, vcc_lo, v3, v21
	v_add_co_ci_u32_e32 v20, vcc_lo, v20, v22, vcc_lo
	s_delay_alu instid0(VALU_DEP_2) | instskip(SKIP_1) | instid1(VALU_DEP_3)
	v_mul_hi_u32 v21, s1, v3
	v_mul_lo_u32 v23, s19, v3
	v_mul_lo_u32 v22, s1, v20
	s_delay_alu instid0(VALU_DEP_1) | instskip(SKIP_1) | instid1(VALU_DEP_2)
	v_add_nc_u32_e32 v21, v21, v22
	v_mul_lo_u32 v22, s1, v3
	v_add_nc_u32_e32 v21, v21, v23
	s_delay_alu instid0(VALU_DEP_2) | instskip(NEXT) | instid1(VALU_DEP_2)
	v_mul_hi_u32 v23, v3, v22
	v_mul_lo_u32 v24, v3, v21
	v_mul_hi_u32 v25, v3, v21
	v_mul_hi_u32 v27, v20, v22
	v_mul_lo_u32 v22, v20, v22
	v_mul_hi_u32 v28, v20, v21
	v_mul_lo_u32 v21, v20, v21
	v_add_co_u32 v23, vcc_lo, v23, v24
	v_add_co_ci_u32_e32 v24, vcc_lo, 0, v25, vcc_lo
	s_delay_alu instid0(VALU_DEP_2) | instskip(NEXT) | instid1(VALU_DEP_2)
	v_add_co_u32 v22, vcc_lo, v23, v22
	v_add_co_ci_u32_e32 v22, vcc_lo, v24, v27, vcc_lo
	v_add_co_ci_u32_e32 v23, vcc_lo, 0, v28, vcc_lo
	v_add_co_u32 v24, vcc_lo, v4, v26
	v_add_co_ci_u32_e32 v25, vcc_lo, v5, v26, vcc_lo
	s_delay_alu instid0(VALU_DEP_4) | instskip(NEXT) | instid1(VALU_DEP_4)
	v_add_co_u32 v21, vcc_lo, v22, v21
	v_add_co_ci_u32_e32 v22, vcc_lo, 0, v23, vcc_lo
	s_delay_alu instid0(VALU_DEP_4) | instskip(NEXT) | instid1(VALU_DEP_3)
	v_xor_b32_e32 v27, v24, v26
	v_add_co_u32 v3, vcc_lo, v3, v21
	s_delay_alu instid0(VALU_DEP_3) | instskip(SKIP_1) | instid1(VALU_DEP_3)
	v_add_co_ci_u32_e32 v28, vcc_lo, v20, v22, vcc_lo
	v_xor_b32_e32 v29, v25, v26
	v_mul_hi_u32 v30, v27, v3
	s_delay_alu instid0(VALU_DEP_3) | instskip(NEXT) | instid1(VALU_DEP_3)
	v_mad_u64_u32 v[20:21], null, v27, v28, 0
	v_mad_u64_u32 v[22:23], null, v29, v3, 0
	;; [unrolled: 1-line block ×3, first 2 shown]
	s_delay_alu instid0(VALU_DEP_3) | instskip(NEXT) | instid1(VALU_DEP_4)
	v_add_co_u32 v3, vcc_lo, v30, v20
	v_add_co_ci_u32_e32 v20, vcc_lo, 0, v21, vcc_lo
	s_delay_alu instid0(VALU_DEP_2) | instskip(NEXT) | instid1(VALU_DEP_2)
	v_add_co_u32 v3, vcc_lo, v3, v22
	v_add_co_ci_u32_e32 v3, vcc_lo, v20, v23, vcc_lo
	v_add_co_ci_u32_e32 v20, vcc_lo, 0, v25, vcc_lo
	s_delay_alu instid0(VALU_DEP_2) | instskip(NEXT) | instid1(VALU_DEP_2)
	v_add_co_u32 v3, vcc_lo, v3, v24
	v_add_co_ci_u32_e32 v22, vcc_lo, 0, v20, vcc_lo
	s_delay_alu instid0(VALU_DEP_2) | instskip(SKIP_1) | instid1(VALU_DEP_3)
	v_mul_lo_u32 v23, s21, v3
	v_mad_u64_u32 v[20:21], null, s20, v3, 0
	v_mul_lo_u32 v24, s20, v22
	s_delay_alu instid0(VALU_DEP_2) | instskip(NEXT) | instid1(VALU_DEP_2)
	v_sub_co_u32 v20, vcc_lo, v27, v20
	v_add3_u32 v21, v21, v24, v23
	s_delay_alu instid0(VALU_DEP_1) | instskip(NEXT) | instid1(VALU_DEP_1)
	v_sub_nc_u32_e32 v23, v29, v21
	v_subrev_co_ci_u32_e64 v23, s1, s21, v23, vcc_lo
	v_add_co_u32 v24, s1, v3, 2
	s_delay_alu instid0(VALU_DEP_1) | instskip(SKIP_3) | instid1(VALU_DEP_3)
	v_add_co_ci_u32_e64 v25, s1, 0, v22, s1
	v_sub_co_u32 v27, s1, v20, s20
	v_sub_co_ci_u32_e32 v21, vcc_lo, v29, v21, vcc_lo
	v_subrev_co_ci_u32_e64 v23, s1, 0, v23, s1
	v_cmp_le_u32_e32 vcc_lo, s20, v27
	s_delay_alu instid0(VALU_DEP_3) | instskip(SKIP_1) | instid1(VALU_DEP_4)
	v_cmp_eq_u32_e64 s1, s21, v21
	v_cndmask_b32_e64 v27, 0, -1, vcc_lo
	v_cmp_le_u32_e32 vcc_lo, s21, v23
	v_cndmask_b32_e64 v28, 0, -1, vcc_lo
	v_cmp_le_u32_e32 vcc_lo, s20, v20
	;; [unrolled: 2-line block ×3, first 2 shown]
	v_cndmask_b32_e64 v29, 0, -1, vcc_lo
	v_cmp_eq_u32_e32 vcc_lo, s21, v23
	s_delay_alu instid0(VALU_DEP_2) | instskip(SKIP_3) | instid1(VALU_DEP_3)
	v_cndmask_b32_e64 v20, v29, v20, s1
	v_cndmask_b32_e32 v23, v28, v27, vcc_lo
	v_add_co_u32 v27, vcc_lo, v3, 1
	v_add_co_ci_u32_e32 v28, vcc_lo, 0, v22, vcc_lo
	v_cmp_ne_u32_e32 vcc_lo, 0, v23
	s_delay_alu instid0(VALU_DEP_2) | instskip(NEXT) | instid1(VALU_DEP_4)
	v_cndmask_b32_e32 v21, v28, v25, vcc_lo
	v_cndmask_b32_e32 v23, v27, v24, vcc_lo
	v_cmp_ne_u32_e32 vcc_lo, 0, v20
	v_xor_b32_e32 v24, s18, v26
	s_delay_alu instid0(VALU_DEP_3) | instskip(NEXT) | instid1(VALU_DEP_1)
	v_dual_cndmask_b32 v3, v3, v23 :: v_dual_cndmask_b32 v20, v22, v21
	v_xor_b32_e32 v3, v3, v24
	s_delay_alu instid0(VALU_DEP_2) | instskip(NEXT) | instid1(VALU_DEP_2)
	v_xor_b32_e32 v21, v20, v24
	v_sub_co_u32 v20, vcc_lo, v3, v24
	s_delay_alu instid0(VALU_DEP_2)
	v_sub_co_ci_u32_e32 v21, vcc_lo, v21, v24, vcc_lo
	s_and_not1_saveexec_b32 s1, s23
	s_cbranch_execz .LBB167_26
.LBB167_51:                             ;   in Loop: Header=BB167_10 Depth=1
	v_cvt_f32_u32_e32 v3, s8
	s_sub_i32 s19, 0, s8
	s_delay_alu instid0(VALU_DEP_1) | instskip(SKIP_2) | instid1(VALU_DEP_1)
	v_rcp_iflag_f32_e32 v3, v3
	s_waitcnt_depctr 0xfff
	v_mul_f32_e32 v3, 0x4f7ffffe, v3
	v_cvt_u32_f32_e32 v3, v3
	s_delay_alu instid0(VALU_DEP_1) | instskip(NEXT) | instid1(VALU_DEP_1)
	v_mul_lo_u32 v20, s19, v3
	v_mul_hi_u32 v20, v3, v20
	s_delay_alu instid0(VALU_DEP_1) | instskip(NEXT) | instid1(VALU_DEP_1)
	v_add_nc_u32_e32 v3, v3, v20
	v_mul_hi_u32 v3, v4, v3
	s_delay_alu instid0(VALU_DEP_1) | instskip(SKIP_1) | instid1(VALU_DEP_2)
	v_mul_lo_u32 v20, v3, s8
	v_add_nc_u32_e32 v21, 1, v3
	v_sub_nc_u32_e32 v20, v4, v20
	s_delay_alu instid0(VALU_DEP_1) | instskip(SKIP_1) | instid1(VALU_DEP_2)
	v_subrev_nc_u32_e32 v22, s8, v20
	v_cmp_le_u32_e32 vcc_lo, s8, v20
	v_dual_cndmask_b32 v20, v20, v22 :: v_dual_cndmask_b32 v3, v3, v21
	s_delay_alu instid0(VALU_DEP_1) | instskip(NEXT) | instid1(VALU_DEP_2)
	v_cmp_le_u32_e32 vcc_lo, s8, v20
	v_add_nc_u32_e32 v21, 1, v3
	s_delay_alu instid0(VALU_DEP_1) | instskip(SKIP_1) | instid1(SALU_CYCLE_1)
	v_dual_cndmask_b32 v20, v3, v21 :: v_dual_mov_b32 v21, v2
	s_or_b32 exec_lo, exec_lo, s1
	s_mov_b32 s1, exec_lo
	s_delay_alu instid0(VALU_DEP_1)
	v_cmpx_ge_i64_e64 v[20:21], v[18:19]
	s_cbranch_execnz .LBB167_27
	s_branch .LBB167_28
.LBB167_52:
	s_nop 0
	s_sendmsg sendmsg(MSG_DEALLOC_VGPRS)
	s_endpgm
	.section	.rodata,"a",@progbits
	.p2align	6, 0x0
	.amdhsa_kernel _ZN9rocsparseL21csr2bsr_65_inf_kernelILj32E21rocsparse_complex_numIdEilEEv20rocsparse_direction_T2_S4_S4_S4_S4_S4_21rocsparse_index_base_PKT0_PKT1_PKS4_S5_PS6_PS9_PS4_SF_SG_SE_
		.amdhsa_group_segment_fixed_size 0
		.amdhsa_private_segment_fixed_size 0
		.amdhsa_kernarg_size 144
		.amdhsa_user_sgpr_count 15
		.amdhsa_user_sgpr_dispatch_ptr 0
		.amdhsa_user_sgpr_queue_ptr 0
		.amdhsa_user_sgpr_kernarg_segment_ptr 1
		.amdhsa_user_sgpr_dispatch_id 0
		.amdhsa_user_sgpr_private_segment_size 0
		.amdhsa_wavefront_size32 1
		.amdhsa_uses_dynamic_stack 0
		.amdhsa_enable_private_segment 0
		.amdhsa_system_sgpr_workgroup_id_x 1
		.amdhsa_system_sgpr_workgroup_id_y 0
		.amdhsa_system_sgpr_workgroup_id_z 0
		.amdhsa_system_sgpr_workgroup_info 0
		.amdhsa_system_vgpr_workitem_id 0
		.amdhsa_next_free_vgpr 52
		.amdhsa_next_free_sgpr 37
		.amdhsa_reserve_vcc 1
		.amdhsa_float_round_mode_32 0
		.amdhsa_float_round_mode_16_64 0
		.amdhsa_float_denorm_mode_32 3
		.amdhsa_float_denorm_mode_16_64 3
		.amdhsa_dx10_clamp 1
		.amdhsa_ieee_mode 1
		.amdhsa_fp16_overflow 0
		.amdhsa_workgroup_processor_mode 1
		.amdhsa_memory_ordered 1
		.amdhsa_forward_progress 0
		.amdhsa_shared_vgpr_count 0
		.amdhsa_exception_fp_ieee_invalid_op 0
		.amdhsa_exception_fp_denorm_src 0
		.amdhsa_exception_fp_ieee_div_zero 0
		.amdhsa_exception_fp_ieee_overflow 0
		.amdhsa_exception_fp_ieee_underflow 0
		.amdhsa_exception_fp_ieee_inexact 0
		.amdhsa_exception_int_div_zero 0
	.end_amdhsa_kernel
	.section	.text._ZN9rocsparseL21csr2bsr_65_inf_kernelILj32E21rocsparse_complex_numIdEilEEv20rocsparse_direction_T2_S4_S4_S4_S4_S4_21rocsparse_index_base_PKT0_PKT1_PKS4_S5_PS6_PS9_PS4_SF_SG_SE_,"axG",@progbits,_ZN9rocsparseL21csr2bsr_65_inf_kernelILj32E21rocsparse_complex_numIdEilEEv20rocsparse_direction_T2_S4_S4_S4_S4_S4_21rocsparse_index_base_PKT0_PKT1_PKS4_S5_PS6_PS9_PS4_SF_SG_SE_,comdat
.Lfunc_end167:
	.size	_ZN9rocsparseL21csr2bsr_65_inf_kernelILj32E21rocsparse_complex_numIdEilEEv20rocsparse_direction_T2_S4_S4_S4_S4_S4_21rocsparse_index_base_PKT0_PKT1_PKS4_S5_PS6_PS9_PS4_SF_SG_SE_, .Lfunc_end167-_ZN9rocsparseL21csr2bsr_65_inf_kernelILj32E21rocsparse_complex_numIdEilEEv20rocsparse_direction_T2_S4_S4_S4_S4_S4_21rocsparse_index_base_PKT0_PKT1_PKS4_S5_PS6_PS9_PS4_SF_SG_SE_
                                        ; -- End function
	.section	.AMDGPU.csdata,"",@progbits
; Kernel info:
; codeLenInByte = 6340
; NumSgprs: 39
; NumVgprs: 52
; ScratchSize: 0
; MemoryBound: 0
; FloatMode: 240
; IeeeMode: 1
; LDSByteSize: 0 bytes/workgroup (compile time only)
; SGPRBlocks: 4
; VGPRBlocks: 6
; NumSGPRsForWavesPerEU: 39
; NumVGPRsForWavesPerEU: 52
; Occupancy: 16
; WaveLimiterHint : 1
; COMPUTE_PGM_RSRC2:SCRATCH_EN: 0
; COMPUTE_PGM_RSRC2:USER_SGPR: 15
; COMPUTE_PGM_RSRC2:TRAP_HANDLER: 0
; COMPUTE_PGM_RSRC2:TGID_X_EN: 1
; COMPUTE_PGM_RSRC2:TGID_Y_EN: 0
; COMPUTE_PGM_RSRC2:TGID_Z_EN: 0
; COMPUTE_PGM_RSRC2:TIDIG_COMP_CNT: 0
	.section	.text._ZN9rocsparseL35csr2bsr_block_dim_equals_one_kernelILj256E21rocsparse_complex_numIdEllEEvT2_S3_S3_S3_21rocsparse_index_base_PKT0_PKT1_PKS3_S4_PS5_PS8_PS3_,"axG",@progbits,_ZN9rocsparseL35csr2bsr_block_dim_equals_one_kernelILj256E21rocsparse_complex_numIdEllEEvT2_S3_S3_S3_21rocsparse_index_base_PKT0_PKT1_PKS3_S4_PS5_PS8_PS3_,comdat
	.globl	_ZN9rocsparseL35csr2bsr_block_dim_equals_one_kernelILj256E21rocsparse_complex_numIdEllEEvT2_S3_S3_S3_21rocsparse_index_base_PKT0_PKT1_PKS3_S4_PS5_PS8_PS3_ ; -- Begin function _ZN9rocsparseL35csr2bsr_block_dim_equals_one_kernelILj256E21rocsparse_complex_numIdEllEEvT2_S3_S3_S3_21rocsparse_index_base_PKT0_PKT1_PKS3_S4_PS5_PS8_PS3_
	.p2align	8
	.type	_ZN9rocsparseL35csr2bsr_block_dim_equals_one_kernelILj256E21rocsparse_complex_numIdEllEEvT2_S3_S3_S3_21rocsparse_index_base_PKT0_PKT1_PKS3_S4_PS5_PS8_PS3_,@function
_ZN9rocsparseL35csr2bsr_block_dim_equals_one_kernelILj256E21rocsparse_complex_numIdEllEEvT2_S3_S3_S3_21rocsparse_index_base_PKT0_PKT1_PKS3_S4_PS5_PS8_PS3_: ; @_ZN9rocsparseL35csr2bsr_block_dim_equals_one_kernelILj256E21rocsparse_complex_numIdEllEEvT2_S3_S3_S3_21rocsparse_index_base_PKT0_PKT1_PKS3_S4_PS5_PS8_PS3_
; %bb.0:
	s_clause 0x1
	s_load_b64 s[2:3], s[0:1], 0x0
	s_load_b128 s[4:7], s[0:1], 0x28
	v_lshl_or_b32 v0, s15, 8, v0
	v_mov_b32_e32 v1, 0
	s_waitcnt lgkmcnt(0)
	s_lshl_b64 s[2:3], s[2:3], 3
	s_delay_alu instid0(SALU_CYCLE_1)
	s_add_u32 s2, s6, s2
	s_addc_u32 s3, s7, s3
	s_clause 0x1
	s_load_b64 s[2:3], s[2:3], 0x0
	s_load_b64 s[6:7], s[6:7], 0x0
	s_waitcnt lgkmcnt(0)
	s_sub_u32 s2, s2, s6
	s_subb_u32 s3, s3, s7
	s_mov_b32 s6, exec_lo
	v_cmpx_gt_i64_e64 s[2:3], v[0:1]
	s_cbranch_execz .LBB168_3
; %bb.1:
	s_clause 0x5
	s_load_b32 s12, s[0:1], 0x40
	s_load_b64 s[6:7], s[0:1], 0x48
	s_load_b32 s14, s[0:1], 0x20
	s_load_b32 s15, s[0:1], 0x60
	s_load_b64 s[8:9], s[0:1], 0x38
	s_load_b64 s[10:11], s[0:1], 0x58
	v_lshlrev_b64 v[2:3], 4, v[0:1]
	v_lshlrev_b64 v[4:5], 3, v[0:1]
	s_mov_b32 s13, 0
	s_waitcnt lgkmcnt(0)
	s_sub_u32 s1, s12, s14
	s_subb_u32 s18, 0, 0
	s_lshl_b32 s12, s15, 8
	s_delay_alu instid0(SALU_CYCLE_1)
	s_lshl_b64 s[14:15], s[12:13], 4
	s_lshl_b64 s[16:17], s[12:13], 3
	s_set_inst_prefetch_distance 0x1
	.p2align	6
.LBB168_2:                              ; =>This Inner Loop Header: Depth=1
	v_add_co_u32 v6, vcc_lo, s8, v4
	v_add_co_ci_u32_e32 v7, vcc_lo, s9, v5, vcc_lo
	v_add_co_u32 v8, vcc_lo, s10, v4
	v_add_co_ci_u32_e32 v9, vcc_lo, s11, v5, vcc_lo
	global_load_b64 v[6:7], v[6:7], off
	v_add_co_u32 v10, vcc_lo, s4, v2
	v_add_co_ci_u32_e32 v11, vcc_lo, s5, v3, vcc_lo
	s_waitcnt vmcnt(0)
	v_add_co_u32 v6, s0, s1, v6
	s_delay_alu instid0(VALU_DEP_1) | instskip(SKIP_1) | instid1(VALU_DEP_1)
	v_add_co_ci_u32_e64 v7, s0, s18, v7, s0
	v_add_co_u32 v4, s0, v4, s16
	v_add_co_ci_u32_e64 v5, s0, s17, v5, s0
	global_store_b64 v[8:9], v[6:7], off
	global_load_b128 v[6:9], v[10:11], off
	v_add_co_u32 v10, vcc_lo, s6, v2
	v_add_co_ci_u32_e32 v11, vcc_lo, s7, v3, vcc_lo
	v_add_co_u32 v0, vcc_lo, v0, s12
	v_add_co_ci_u32_e32 v1, vcc_lo, 0, v1, vcc_lo
	;; [unrolled: 2-line block ×3, first 2 shown]
	s_delay_alu instid0(VALU_DEP_3)
	v_cmp_le_i64_e32 vcc_lo, s[2:3], v[0:1]
	s_or_b32 s13, vcc_lo, s13
	s_waitcnt vmcnt(0)
	global_store_b128 v[10:11], v[6:9], off
	s_and_not1_b32 exec_lo, exec_lo, s13
	s_cbranch_execnz .LBB168_2
.LBB168_3:
	s_set_inst_prefetch_distance 0x2
	s_nop 0
	s_sendmsg sendmsg(MSG_DEALLOC_VGPRS)
	s_endpgm
	.section	.rodata,"a",@progbits
	.p2align	6, 0x0
	.amdhsa_kernel _ZN9rocsparseL35csr2bsr_block_dim_equals_one_kernelILj256E21rocsparse_complex_numIdEllEEvT2_S3_S3_S3_21rocsparse_index_base_PKT0_PKT1_PKS3_S4_PS5_PS8_PS3_
		.amdhsa_group_segment_fixed_size 0
		.amdhsa_private_segment_fixed_size 0
		.amdhsa_kernarg_size 352
		.amdhsa_user_sgpr_count 15
		.amdhsa_user_sgpr_dispatch_ptr 0
		.amdhsa_user_sgpr_queue_ptr 0
		.amdhsa_user_sgpr_kernarg_segment_ptr 1
		.amdhsa_user_sgpr_dispatch_id 0
		.amdhsa_user_sgpr_private_segment_size 0
		.amdhsa_wavefront_size32 1
		.amdhsa_uses_dynamic_stack 0
		.amdhsa_enable_private_segment 0
		.amdhsa_system_sgpr_workgroup_id_x 1
		.amdhsa_system_sgpr_workgroup_id_y 0
		.amdhsa_system_sgpr_workgroup_id_z 0
		.amdhsa_system_sgpr_workgroup_info 0
		.amdhsa_system_vgpr_workitem_id 0
		.amdhsa_next_free_vgpr 12
		.amdhsa_next_free_sgpr 19
		.amdhsa_reserve_vcc 1
		.amdhsa_float_round_mode_32 0
		.amdhsa_float_round_mode_16_64 0
		.amdhsa_float_denorm_mode_32 3
		.amdhsa_float_denorm_mode_16_64 3
		.amdhsa_dx10_clamp 1
		.amdhsa_ieee_mode 1
		.amdhsa_fp16_overflow 0
		.amdhsa_workgroup_processor_mode 1
		.amdhsa_memory_ordered 1
		.amdhsa_forward_progress 0
		.amdhsa_shared_vgpr_count 0
		.amdhsa_exception_fp_ieee_invalid_op 0
		.amdhsa_exception_fp_denorm_src 0
		.amdhsa_exception_fp_ieee_div_zero 0
		.amdhsa_exception_fp_ieee_overflow 0
		.amdhsa_exception_fp_ieee_underflow 0
		.amdhsa_exception_fp_ieee_inexact 0
		.amdhsa_exception_int_div_zero 0
	.end_amdhsa_kernel
	.section	.text._ZN9rocsparseL35csr2bsr_block_dim_equals_one_kernelILj256E21rocsparse_complex_numIdEllEEvT2_S3_S3_S3_21rocsparse_index_base_PKT0_PKT1_PKS3_S4_PS5_PS8_PS3_,"axG",@progbits,_ZN9rocsparseL35csr2bsr_block_dim_equals_one_kernelILj256E21rocsparse_complex_numIdEllEEvT2_S3_S3_S3_21rocsparse_index_base_PKT0_PKT1_PKS3_S4_PS5_PS8_PS3_,comdat
.Lfunc_end168:
	.size	_ZN9rocsparseL35csr2bsr_block_dim_equals_one_kernelILj256E21rocsparse_complex_numIdEllEEvT2_S3_S3_S3_21rocsparse_index_base_PKT0_PKT1_PKS3_S4_PS5_PS8_PS3_, .Lfunc_end168-_ZN9rocsparseL35csr2bsr_block_dim_equals_one_kernelILj256E21rocsparse_complex_numIdEllEEvT2_S3_S3_S3_21rocsparse_index_base_PKT0_PKT1_PKS3_S4_PS5_PS8_PS3_
                                        ; -- End function
	.section	.AMDGPU.csdata,"",@progbits
; Kernel info:
; codeLenInByte = 388
; NumSgprs: 21
; NumVgprs: 12
; ScratchSize: 0
; MemoryBound: 0
; FloatMode: 240
; IeeeMode: 1
; LDSByteSize: 0 bytes/workgroup (compile time only)
; SGPRBlocks: 2
; VGPRBlocks: 1
; NumSGPRsForWavesPerEU: 21
; NumVGPRsForWavesPerEU: 12
; Occupancy: 16
; WaveLimiterHint : 0
; COMPUTE_PGM_RSRC2:SCRATCH_EN: 0
; COMPUTE_PGM_RSRC2:USER_SGPR: 15
; COMPUTE_PGM_RSRC2:TRAP_HANDLER: 0
; COMPUTE_PGM_RSRC2:TGID_X_EN: 1
; COMPUTE_PGM_RSRC2:TGID_Y_EN: 0
; COMPUTE_PGM_RSRC2:TGID_Z_EN: 0
; COMPUTE_PGM_RSRC2:TIDIG_COMP_CNT: 0
	.section	.text._ZN9rocsparseL42csr2bsr_wavefront_per_row_multipass_kernelILj256ELj16ELj4E21rocsparse_complex_numIdEllEEv20rocsparse_direction_T4_S4_S4_S4_S4_21rocsparse_index_base_PKT2_PKT3_PKS4_S5_PS6_PS9_PS4_,"axG",@progbits,_ZN9rocsparseL42csr2bsr_wavefront_per_row_multipass_kernelILj256ELj16ELj4E21rocsparse_complex_numIdEllEEv20rocsparse_direction_T4_S4_S4_S4_S4_21rocsparse_index_base_PKT2_PKT3_PKS4_S5_PS6_PS9_PS4_,comdat
	.globl	_ZN9rocsparseL42csr2bsr_wavefront_per_row_multipass_kernelILj256ELj16ELj4E21rocsparse_complex_numIdEllEEv20rocsparse_direction_T4_S4_S4_S4_S4_21rocsparse_index_base_PKT2_PKT3_PKS4_S5_PS6_PS9_PS4_ ; -- Begin function _ZN9rocsparseL42csr2bsr_wavefront_per_row_multipass_kernelILj256ELj16ELj4E21rocsparse_complex_numIdEllEEv20rocsparse_direction_T4_S4_S4_S4_S4_21rocsparse_index_base_PKT2_PKT3_PKS4_S5_PS6_PS9_PS4_
	.p2align	8
	.type	_ZN9rocsparseL42csr2bsr_wavefront_per_row_multipass_kernelILj256ELj16ELj4E21rocsparse_complex_numIdEllEEv20rocsparse_direction_T4_S4_S4_S4_S4_21rocsparse_index_base_PKT2_PKT3_PKS4_S5_PS6_PS9_PS4_,@function
_ZN9rocsparseL42csr2bsr_wavefront_per_row_multipass_kernelILj256ELj16ELj4E21rocsparse_complex_numIdEllEEv20rocsparse_direction_T4_S4_S4_S4_S4_21rocsparse_index_base_PKT2_PKT3_PKS4_S5_PS6_PS9_PS4_: ; @_ZN9rocsparseL42csr2bsr_wavefront_per_row_multipass_kernelILj256ELj16ELj4E21rocsparse_complex_numIdEllEEv20rocsparse_direction_T4_S4_S4_S4_S4_21rocsparse_index_base_PKT2_PKT3_PKS4_S5_PS6_PS9_PS4_
; %bb.0:
	s_load_b64 s[8:9], s[0:1], 0x28
	v_lshrrev_b32_e32 v27, 4, v0
	s_mov_b32 s10, s15
	s_ashr_i32 s11, s15, 31
	s_clause 0x1
	s_load_b64 s[14:15], s[0:1], 0x8
	s_load_b128 s[4:7], s[0:1], 0x18
	s_lshl_b64 s[2:3], s[10:11], 4
	v_mov_b32_e32 v2, 0
	v_or_b32_e32 v3, s2, v27
	v_bfe_u32 v1, v0, 2, 2
	s_clause 0x1
	s_load_b32 s16, s[0:1], 0x30
	s_load_b64 s[12:13], s[0:1], 0x40
	s_waitcnt lgkmcnt(0)
	v_mul_lo_u32 v4, v3, s9
	v_mad_u64_u32 v[6:7], null, v3, s8, v[1:2]
	s_mul_i32 s2, s3, s8
	s_delay_alu instid0(VALU_DEP_1) | instid1(SALU_CYCLE_1)
	v_add3_u32 v7, s2, v7, v4
	v_mov_b32_e32 v4, 0
	v_mov_b32_e32 v5, 0
	v_cmp_gt_i64_e64 s2, s[8:9], v[1:2]
	s_delay_alu instid0(VALU_DEP_4) | instskip(NEXT) | instid1(VALU_DEP_3)
	v_cmp_gt_i64_e32 vcc_lo, s[14:15], v[6:7]
	v_dual_mov_b32 v17, v5 :: v_dual_mov_b32 v16, v4
	s_delay_alu instid0(VALU_DEP_3) | instskip(NEXT) | instid1(SALU_CYCLE_1)
	s_and_b32 s3, s2, vcc_lo
	s_and_saveexec_b32 s11, s3
	s_cbranch_execz .LBB169_2
; %bb.1:
	v_lshlrev_b64 v[2:3], 3, v[6:7]
	s_delay_alu instid0(VALU_DEP_1) | instskip(NEXT) | instid1(VALU_DEP_2)
	v_add_co_u32 v2, vcc_lo, s12, v2
	v_add_co_ci_u32_e32 v3, vcc_lo, s13, v3, vcc_lo
	global_load_b64 v[2:3], v[2:3], off
	s_waitcnt vmcnt(0)
	v_sub_co_u32 v16, vcc_lo, v2, s16
	v_subrev_co_ci_u32_e32 v17, vcc_lo, 0, v3, vcc_lo
.LBB169_2:
	s_or_b32 exec_lo, exec_lo, s11
	s_and_saveexec_b32 s11, s3
	s_cbranch_execz .LBB169_4
; %bb.3:
	v_lshlrev_b64 v[2:3], 3, v[6:7]
	s_delay_alu instid0(VALU_DEP_1) | instskip(NEXT) | instid1(VALU_DEP_2)
	v_add_co_u32 v2, vcc_lo, s12, v2
	v_add_co_ci_u32_e32 v3, vcc_lo, s13, v3, vcc_lo
	global_load_b64 v[2:3], v[2:3], off offset:8
	s_waitcnt vmcnt(0)
	v_sub_co_u32 v4, vcc_lo, v2, s16
	v_subrev_co_ci_u32_e32 v5, vcc_lo, 0, v3, vcc_lo
.LBB169_4:
	s_or_b32 exec_lo, exec_lo, s11
	s_load_b32 s17, s[0:1], 0x50
	v_dual_mov_b32 v3, 0 :: v_dual_mov_b32 v6, 0
	v_lshl_or_b32 v2, s10, 4, v27
	v_mov_b32_e32 v7, 0
	s_mov_b32 s3, exec_lo
	s_delay_alu instid0(VALU_DEP_2)
	v_cmpx_gt_i64_e64 s[4:5], v[2:3]
	s_cbranch_execz .LBB169_6
; %bb.5:
	s_load_b64 s[4:5], s[0:1], 0x60
	v_lshlrev_b64 v[2:3], 3, v[2:3]
	s_waitcnt lgkmcnt(0)
	s_delay_alu instid0(VALU_DEP_1) | instskip(NEXT) | instid1(VALU_DEP_2)
	v_add_co_u32 v2, vcc_lo, s4, v2
	v_add_co_ci_u32_e32 v3, vcc_lo, s5, v3, vcc_lo
	global_load_b64 v[2:3], v[2:3], off
	s_waitcnt vmcnt(0)
	v_sub_co_u32 v6, vcc_lo, v2, s17
	v_subrev_co_ci_u32_e32 v7, vcc_lo, 0, v3, vcc_lo
.LBB169_6:
	s_or_b32 exec_lo, exec_lo, s3
	v_cmp_lt_i64_e64 s3, s[6:7], 1
	s_delay_alu instid0(VALU_DEP_1)
	s_and_b32 vcc_lo, exec_lo, s3
	s_cbranch_vccnz .LBB169_25
; %bb.7:
	v_mbcnt_lo_u32_b32 v15, -1, 0
	v_mov_b32_e32 v10, 0
	v_and_b32_e32 v2, 0x3f0, v0
	v_mad_u64_u32 v[11:12], null, v1, s8, 0
	s_delay_alu instid0(VALU_DEP_4) | instskip(NEXT) | instid1(VALU_DEP_4)
	v_xor_b32_e32 v13, 2, v15
	v_mov_b32_e32 v9, v10
	s_delay_alu instid0(VALU_DEP_4)
	v_lshl_or_b32 v28, v1, 2, v2
	v_xor_b32_e32 v18, 1, v15
	s_load_b64 s[4:5], s[0:1], 0x68
	v_cmp_gt_i32_e32 vcc_lo, 32, v13
	v_and_b32_e32 v8, 3, v0
	s_clause 0x3
	s_load_b64 s[14:15], s[0:1], 0x58
	s_load_b64 s[10:11], s[0:1], 0x48
	;; [unrolled: 1-line block ×3, first 2 shown]
	s_load_b32 s0, s[0:1], 0x0
	s_mov_b32 s1, 0
	s_mul_i32 s20, s8, s8
	v_mov_b32_e32 v37, 1
	v_mad_u64_u32 v[2:3], null, v8, s8, 0
	v_or_b32_e32 v0, v28, v8
	s_delay_alu instid0(VALU_DEP_1) | instskip(SKIP_2) | instid1(VALU_DEP_3)
	v_dual_mov_b32 v0, v3 :: v_dual_lshlrev_b32 v29, 4, v0
	v_cndmask_b32_e32 v3, v15, v13, vcc_lo
	v_cmp_gt_i32_e32 vcc_lo, 32, v18
	v_mad_u64_u32 v[13:14], null, v8, s9, v[0:1]
	v_cndmask_b32_e32 v14, v15, v18, vcc_lo
	s_delay_alu instid0(VALU_DEP_4) | instskip(SKIP_3) | instid1(VALU_DEP_3)
	v_lshlrev_b32_e32 v30, 2, v3
	v_mov_b32_e32 v0, v12
	v_cmp_gt_i64_e32 vcc_lo, s[8:9], v[8:9]
	v_mov_b32_e32 v3, v13
	v_mad_u64_u32 v[12:13], null, v1, s9, v[0:1]
	v_lshlrev_b32_e32 v13, 2, v15
	v_lshlrev_b32_e32 v9, 2, v14
	s_delay_alu instid0(VALU_DEP_4)
	v_lshlrev_b64 v[2:3], 4, v[2:3]
	s_and_b32 s18, s2, vcc_lo
	v_lshlrev_b32_e32 v14, 4, v1
	s_waitcnt lgkmcnt(0)
	s_cmp_eq_u32 s0, 0
	v_lshlrev_b64 v[0:1], 4, v[11:12]
	v_xor_b32_e32 v12, 8, v15
	v_add_co_u32 v2, vcc_lo, s14, v2
	v_add_co_ci_u32_e32 v3, vcc_lo, s15, v3, vcc_lo
	s_mul_i32 s0, s8, s9
	s_delay_alu instid0(VALU_DEP_2) | instskip(NEXT) | instid1(VALU_DEP_2)
	v_add_co_u32 v2, vcc_lo, v2, v14
	v_add_co_ci_u32_e32 v3, vcc_lo, 0, v3, vcc_lo
	v_add_co_u32 v0, vcc_lo, s14, v0
	v_xor_b32_e32 v14, 4, v15
	v_lshlrev_b32_e32 v11, 4, v8
	v_add_co_ci_u32_e32 v1, vcc_lo, s15, v1, vcc_lo
	s_mul_hi_u32 s2, s8, s8
	v_or_b32_e32 v31, 12, v13
	s_delay_alu instid0(VALU_DEP_3) | instskip(NEXT) | instid1(VALU_DEP_3)
	v_add_co_u32 v0, vcc_lo, v0, v11
	v_add_co_ci_u32_e32 v1, vcc_lo, 0, v1, vcc_lo
	v_cmp_gt_i32_e32 vcc_lo, 32, v12
	v_or_b32_e32 v34, 60, v13
	v_cndmask_b32_e32 v11, v15, v12, vcc_lo
	v_cmp_gt_i32_e32 vcc_lo, 32, v14
	v_cndmask_b32_e32 v12, v15, v14, vcc_lo
	s_cselect_b32 vcc_lo, -1, 0
	s_delay_alu instid0(VALU_DEP_3) | instskip(SKIP_1) | instid1(VALU_DEP_3)
	v_dual_cndmask_b32 v35, v3, v1 :: v_dual_lshlrev_b32 v32, 2, v11
	v_cndmask_b32_e32 v36, v2, v0, vcc_lo
	v_dual_mov_b32 v12, 0 :: v_dual_lshlrev_b32 v33, 2, v12
	v_dual_mov_b32 v13, 0 :: v_dual_mov_b32 v0, 0
	v_mov_b32_e32 v1, v10
	v_mov_b32_e32 v2, v10
	v_mov_b32_e32 v3, v10
	s_add_i32 s2, s2, s0
	s_sub_i32 s21, 0, s8
	s_add_i32 s19, s2, s0
	s_ashr_i32 s2, s9, 31
	s_branch .LBB169_10
.LBB169_8:                              ;   in Loop: Header=BB169_10 Depth=1
	s_or_b32 exec_lo, exec_lo, s3
	v_mov_b32_e32 v18, 1
	v_mov_b32_e32 v19, 0
.LBB169_9:                              ;   in Loop: Header=BB169_10 Depth=1
	s_or_b32 exec_lo, exec_lo, s0
	ds_bpermute_b32 v11, v32, v14
	ds_bpermute_b32 v12, v32, v15
	v_add_co_u32 v6, s0, v18, v6
	s_delay_alu instid0(VALU_DEP_1)
	v_add_co_ci_u32_e64 v7, s0, v19, v7, s0
	s_waitcnt lgkmcnt(0)
	s_waitcnt_vscnt null, 0x0
	buffer_gl0_inv
	buffer_gl0_inv
	v_cmp_lt_i64_e32 vcc_lo, v[11:12], v[14:15]
	v_dual_cndmask_b32 v12, v15, v12 :: v_dual_cndmask_b32 v11, v14, v11
	ds_bpermute_b32 v14, v33, v12
	ds_bpermute_b32 v13, v33, v11
	s_waitcnt lgkmcnt(0)
	v_cmp_lt_i64_e32 vcc_lo, v[13:14], v[11:12]
	v_dual_cndmask_b32 v12, v12, v14 :: v_dual_cndmask_b32 v11, v11, v13
	ds_bpermute_b32 v14, v30, v12
	ds_bpermute_b32 v13, v30, v11
	s_waitcnt lgkmcnt(0)
	;; [unrolled: 5-line block ×4, first 2 shown]
	v_cmp_le_i64_e32 vcc_lo, s[6:7], v[12:13]
	s_or_b32 s1, vcc_lo, s1
	s_delay_alu instid0(SALU_CYCLE_1)
	s_and_not1_b32 exec_lo, exec_lo, s1
	s_cbranch_execz .LBB169_25
.LBB169_10:                             ; =>This Loop Header: Depth=1
                                        ;     Child Loop BB169_13 Depth 2
	v_add_co_u32 v16, vcc_lo, v16, v8
	v_add_co_ci_u32_e32 v17, vcc_lo, 0, v17, vcc_lo
	v_dual_mov_b32 v15, s7 :: v_dual_mov_b32 v14, s6
	v_dual_mov_b32 v26, v5 :: v_dual_mov_b32 v25, v4
	s_mov_b32 s22, exec_lo
	ds_store_b8 v27, v10 offset:4096
	ds_store_b128 v29, v[0:3]
	s_waitcnt lgkmcnt(0)
	buffer_gl0_inv
	v_cmpx_lt_i64_e64 v[16:17], v[4:5]
	s_cbranch_execz .LBB169_22
; %bb.11:                               ;   in Loop: Header=BB169_10 Depth=1
	v_lshlrev_b64 v[14:15], 4, v[16:17]
	v_lshlrev_b64 v[21:22], 3, v[16:17]
	v_mad_u64_u32 v[18:19], null, v12, s8, 0
	v_dual_mov_b32 v24, v5 :: v_dual_mov_b32 v23, v4
	s_delay_alu instid0(VALU_DEP_4)
	v_add_co_u32 v19, vcc_lo, s12, v14
	v_add_co_ci_u32_e32 v20, vcc_lo, s13, v15, vcc_lo
	v_add_co_u32 v21, vcc_lo, s10, v21
	v_add_co_ci_u32_e32 v22, vcc_lo, s11, v22, vcc_lo
	v_dual_mov_b32 v15, s7 :: v_dual_mov_b32 v14, s6
	s_mov_b32 s23, 0
	s_branch .LBB169_13
.LBB169_12:                             ;   in Loop: Header=BB169_13 Depth=2
	s_or_b32 exec_lo, exec_lo, s0
	v_add_co_u32 v16, s0, v16, 4
	s_delay_alu instid0(VALU_DEP_1) | instskip(SKIP_2) | instid1(VALU_DEP_2)
	v_add_co_ci_u32_e64 v17, s0, 0, v17, s0
	s_xor_b32 s3, vcc_lo, -1
	v_add_co_u32 v19, vcc_lo, v19, 64
	v_cmp_ge_i64_e64 s0, v[16:17], v[4:5]
	v_add_co_ci_u32_e32 v20, vcc_lo, 0, v20, vcc_lo
	v_add_co_u32 v21, vcc_lo, v21, 32
	v_add_co_ci_u32_e32 v22, vcc_lo, 0, v22, vcc_lo
	s_delay_alu instid0(VALU_DEP_4) | instskip(SKIP_2) | instid1(SALU_CYCLE_1)
	s_or_b32 s0, s3, s0
	v_dual_mov_b32 v23, v25 :: v_dual_mov_b32 v24, v26
	s_and_b32 s0, exec_lo, s0
	s_or_b32 s23, s0, s23
	s_delay_alu instid0(SALU_CYCLE_1)
	s_and_not1_b32 exec_lo, exec_lo, s23
	s_cbranch_execz .LBB169_21
.LBB169_13:                             ;   Parent Loop BB169_10 Depth=1
                                        ; =>  This Inner Loop Header: Depth=2
	global_load_b64 v[25:26], v[21:22], off
	s_mov_b32 s0, exec_lo
	s_waitcnt vmcnt(0)
	v_sub_co_u32 v38, vcc_lo, v25, s16
	v_subrev_co_ci_u32_e32 v39, vcc_lo, 0, v26, vcc_lo
                                        ; implicit-def: $vgpr25_vgpr26
	s_delay_alu instid0(VALU_DEP_1) | instskip(NEXT) | instid1(VALU_DEP_1)
	v_or_b32_e32 v11, s9, v39
	v_cmpx_ne_u64_e32 0, v[10:11]
	s_xor_b32 s24, exec_lo, s0
	s_cbranch_execz .LBB169_15
; %bb.14:                               ;   in Loop: Header=BB169_13 Depth=2
	s_add_u32 s14, s8, s2
	s_mov_b32 s3, s2
	s_addc_u32 s15, s9, s2
	s_delay_alu instid0(SALU_CYCLE_1) | instskip(NEXT) | instid1(SALU_CYCLE_1)
	s_xor_b64 s[14:15], s[14:15], s[2:3]
	v_cvt_f32_u32_e32 v11, s14
	v_cvt_f32_u32_e32 v25, s15
	s_sub_u32 s0, 0, s14
	s_subb_u32 s3, 0, s15
	s_delay_alu instid0(VALU_DEP_1) | instskip(NEXT) | instid1(VALU_DEP_1)
	v_fmac_f32_e32 v11, 0x4f800000, v25
	v_rcp_f32_e32 v11, v11
	s_waitcnt_depctr 0xfff
	v_mul_f32_e32 v11, 0x5f7ffffc, v11
	s_delay_alu instid0(VALU_DEP_1) | instskip(NEXT) | instid1(VALU_DEP_1)
	v_mul_f32_e32 v25, 0x2f800000, v11
	v_trunc_f32_e32 v25, v25
	s_delay_alu instid0(VALU_DEP_1) | instskip(SKIP_1) | instid1(VALU_DEP_2)
	v_fmac_f32_e32 v11, 0xcf800000, v25
	v_cvt_u32_f32_e32 v25, v25
	v_cvt_u32_f32_e32 v11, v11
	s_delay_alu instid0(VALU_DEP_2) | instskip(NEXT) | instid1(VALU_DEP_2)
	v_mul_lo_u32 v26, s0, v25
	v_mul_hi_u32 v40, s0, v11
	v_mul_lo_u32 v41, s3, v11
	s_delay_alu instid0(VALU_DEP_2) | instskip(SKIP_1) | instid1(VALU_DEP_2)
	v_add_nc_u32_e32 v26, v40, v26
	v_mul_lo_u32 v40, s0, v11
	v_add_nc_u32_e32 v26, v26, v41
	s_delay_alu instid0(VALU_DEP_2) | instskip(NEXT) | instid1(VALU_DEP_2)
	v_mul_hi_u32 v41, v11, v40
	v_mul_lo_u32 v42, v11, v26
	v_mul_hi_u32 v43, v11, v26
	v_mul_hi_u32 v44, v25, v40
	v_mul_lo_u32 v40, v25, v40
	v_mul_hi_u32 v45, v25, v26
	v_mul_lo_u32 v26, v25, v26
	v_add_co_u32 v41, vcc_lo, v41, v42
	v_add_co_ci_u32_e32 v42, vcc_lo, 0, v43, vcc_lo
	s_delay_alu instid0(VALU_DEP_2) | instskip(NEXT) | instid1(VALU_DEP_2)
	v_add_co_u32 v40, vcc_lo, v41, v40
	v_add_co_ci_u32_e32 v40, vcc_lo, v42, v44, vcc_lo
	v_add_co_ci_u32_e32 v41, vcc_lo, 0, v45, vcc_lo
	v_ashrrev_i32_e32 v44, 31, v39
	s_delay_alu instid0(VALU_DEP_3) | instskip(NEXT) | instid1(VALU_DEP_3)
	v_add_co_u32 v26, vcc_lo, v40, v26
	v_add_co_ci_u32_e32 v40, vcc_lo, 0, v41, vcc_lo
	s_delay_alu instid0(VALU_DEP_2) | instskip(NEXT) | instid1(VALU_DEP_2)
	v_add_co_u32 v11, vcc_lo, v11, v26
	v_add_co_ci_u32_e32 v25, vcc_lo, v25, v40, vcc_lo
	s_delay_alu instid0(VALU_DEP_2) | instskip(SKIP_1) | instid1(VALU_DEP_3)
	v_mul_hi_u32 v26, s0, v11
	v_mul_lo_u32 v41, s3, v11
	v_mul_lo_u32 v40, s0, v25
	s_delay_alu instid0(VALU_DEP_1) | instskip(SKIP_1) | instid1(VALU_DEP_2)
	v_add_nc_u32_e32 v26, v26, v40
	v_mul_lo_u32 v40, s0, v11
	v_add_nc_u32_e32 v26, v26, v41
	s_delay_alu instid0(VALU_DEP_2) | instskip(NEXT) | instid1(VALU_DEP_2)
	v_mul_hi_u32 v41, v11, v40
	v_mul_lo_u32 v42, v11, v26
	v_mul_hi_u32 v43, v11, v26
	v_mul_hi_u32 v45, v25, v40
	v_mul_lo_u32 v40, v25, v40
	v_mul_hi_u32 v46, v25, v26
	v_mul_lo_u32 v26, v25, v26
	v_add_co_u32 v41, vcc_lo, v41, v42
	v_add_co_ci_u32_e32 v42, vcc_lo, 0, v43, vcc_lo
	s_delay_alu instid0(VALU_DEP_2) | instskip(NEXT) | instid1(VALU_DEP_2)
	v_add_co_u32 v40, vcc_lo, v41, v40
	v_add_co_ci_u32_e32 v40, vcc_lo, v42, v45, vcc_lo
	v_add_co_ci_u32_e32 v41, vcc_lo, 0, v46, vcc_lo
	v_add_co_u32 v42, vcc_lo, v38, v44
	v_add_co_ci_u32_e32 v39, vcc_lo, v39, v44, vcc_lo
	s_delay_alu instid0(VALU_DEP_4) | instskip(NEXT) | instid1(VALU_DEP_4)
	v_add_co_u32 v26, vcc_lo, v40, v26
	v_add_co_ci_u32_e32 v40, vcc_lo, 0, v41, vcc_lo
	s_delay_alu instid0(VALU_DEP_4) | instskip(NEXT) | instid1(VALU_DEP_3)
	v_xor_b32_e32 v43, v42, v44
	v_add_co_u32 v11, vcc_lo, v11, v26
	s_delay_alu instid0(VALU_DEP_3) | instskip(SKIP_1) | instid1(VALU_DEP_3)
	v_add_co_ci_u32_e32 v45, vcc_lo, v25, v40, vcc_lo
	v_xor_b32_e32 v46, v39, v44
	v_mul_hi_u32 v47, v43, v11
	s_delay_alu instid0(VALU_DEP_3) | instskip(NEXT) | instid1(VALU_DEP_3)
	v_mad_u64_u32 v[25:26], null, v43, v45, 0
	v_mad_u64_u32 v[39:40], null, v46, v11, 0
	;; [unrolled: 1-line block ×3, first 2 shown]
	s_delay_alu instid0(VALU_DEP_3) | instskip(NEXT) | instid1(VALU_DEP_4)
	v_add_co_u32 v11, vcc_lo, v47, v25
	v_add_co_ci_u32_e32 v25, vcc_lo, 0, v26, vcc_lo
	s_delay_alu instid0(VALU_DEP_2) | instskip(NEXT) | instid1(VALU_DEP_2)
	v_add_co_u32 v11, vcc_lo, v11, v39
	v_add_co_ci_u32_e32 v11, vcc_lo, v25, v40, vcc_lo
	v_add_co_ci_u32_e32 v25, vcc_lo, 0, v42, vcc_lo
	s_delay_alu instid0(VALU_DEP_2) | instskip(NEXT) | instid1(VALU_DEP_2)
	v_add_co_u32 v11, vcc_lo, v11, v41
	v_add_co_ci_u32_e32 v39, vcc_lo, 0, v25, vcc_lo
	s_delay_alu instid0(VALU_DEP_2) | instskip(SKIP_1) | instid1(VALU_DEP_3)
	v_mul_lo_u32 v40, s15, v11
	v_mad_u64_u32 v[25:26], null, s14, v11, 0
	v_mul_lo_u32 v41, s14, v39
	s_delay_alu instid0(VALU_DEP_2) | instskip(NEXT) | instid1(VALU_DEP_2)
	v_sub_co_u32 v25, vcc_lo, v43, v25
	v_add3_u32 v26, v26, v41, v40
	s_delay_alu instid0(VALU_DEP_1) | instskip(NEXT) | instid1(VALU_DEP_1)
	v_sub_nc_u32_e32 v40, v46, v26
	v_subrev_co_ci_u32_e64 v40, s0, s15, v40, vcc_lo
	v_add_co_u32 v41, s0, v11, 2
	s_delay_alu instid0(VALU_DEP_1) | instskip(SKIP_3) | instid1(VALU_DEP_3)
	v_add_co_ci_u32_e64 v42, s0, 0, v39, s0
	v_sub_co_u32 v43, s0, v25, s14
	v_sub_co_ci_u32_e32 v26, vcc_lo, v46, v26, vcc_lo
	v_subrev_co_ci_u32_e64 v40, s0, 0, v40, s0
	v_cmp_le_u32_e32 vcc_lo, s14, v43
	s_delay_alu instid0(VALU_DEP_3) | instskip(SKIP_1) | instid1(VALU_DEP_4)
	v_cmp_eq_u32_e64 s0, s15, v26
	v_cndmask_b32_e64 v43, 0, -1, vcc_lo
	v_cmp_le_u32_e32 vcc_lo, s15, v40
	v_cndmask_b32_e64 v45, 0, -1, vcc_lo
	v_cmp_le_u32_e32 vcc_lo, s14, v25
	;; [unrolled: 2-line block ×3, first 2 shown]
	v_cndmask_b32_e64 v46, 0, -1, vcc_lo
	v_cmp_eq_u32_e32 vcc_lo, s15, v40
	s_delay_alu instid0(VALU_DEP_2) | instskip(SKIP_3) | instid1(VALU_DEP_3)
	v_cndmask_b32_e64 v25, v46, v25, s0
	v_cndmask_b32_e32 v40, v45, v43, vcc_lo
	v_add_co_u32 v43, vcc_lo, v11, 1
	v_add_co_ci_u32_e32 v45, vcc_lo, 0, v39, vcc_lo
	v_cmp_ne_u32_e32 vcc_lo, 0, v40
	s_delay_alu instid0(VALU_DEP_2) | instskip(NEXT) | instid1(VALU_DEP_4)
	v_cndmask_b32_e32 v26, v45, v42, vcc_lo
	v_cndmask_b32_e32 v40, v43, v41, vcc_lo
	v_cmp_ne_u32_e32 vcc_lo, 0, v25
	v_xor_b32_e32 v41, s2, v44
	s_delay_alu instid0(VALU_DEP_3) | instskip(SKIP_1) | instid1(VALU_DEP_2)
	v_cndmask_b32_e32 v11, v11, v40, vcc_lo
	v_cndmask_b32_e32 v25, v39, v26, vcc_lo
	v_xor_b32_e32 v11, v11, v41
	s_delay_alu instid0(VALU_DEP_2) | instskip(NEXT) | instid1(VALU_DEP_2)
	v_xor_b32_e32 v26, v25, v41
	v_sub_co_u32 v25, vcc_lo, v11, v41
	s_delay_alu instid0(VALU_DEP_2)
	v_sub_co_ci_u32_e32 v26, vcc_lo, v26, v41, vcc_lo
.LBB169_15:                             ;   in Loop: Header=BB169_13 Depth=2
	s_and_not1_saveexec_b32 s0, s24
	s_cbranch_execz .LBB169_17
; %bb.16:                               ;   in Loop: Header=BB169_13 Depth=2
	v_cvt_f32_u32_e32 v11, s8
	s_delay_alu instid0(VALU_DEP_1) | instskip(SKIP_2) | instid1(VALU_DEP_1)
	v_rcp_iflag_f32_e32 v11, v11
	s_waitcnt_depctr 0xfff
	v_mul_f32_e32 v11, 0x4f7ffffe, v11
	v_cvt_u32_f32_e32 v11, v11
	s_delay_alu instid0(VALU_DEP_1) | instskip(NEXT) | instid1(VALU_DEP_1)
	v_mul_lo_u32 v25, s21, v11
	v_mul_hi_u32 v25, v11, v25
	s_delay_alu instid0(VALU_DEP_1) | instskip(NEXT) | instid1(VALU_DEP_1)
	v_add_nc_u32_e32 v11, v11, v25
	v_mul_hi_u32 v11, v38, v11
	s_delay_alu instid0(VALU_DEP_1) | instskip(SKIP_1) | instid1(VALU_DEP_2)
	v_mul_lo_u32 v25, v11, s8
	v_add_nc_u32_e32 v26, 1, v11
	v_sub_nc_u32_e32 v25, v38, v25
	s_delay_alu instid0(VALU_DEP_1) | instskip(SKIP_1) | instid1(VALU_DEP_2)
	v_subrev_nc_u32_e32 v39, s8, v25
	v_cmp_le_u32_e32 vcc_lo, s8, v25
	v_cndmask_b32_e32 v25, v25, v39, vcc_lo
	v_cndmask_b32_e32 v11, v11, v26, vcc_lo
	s_delay_alu instid0(VALU_DEP_2) | instskip(NEXT) | instid1(VALU_DEP_2)
	v_cmp_le_u32_e32 vcc_lo, s8, v25
	v_add_nc_u32_e32 v26, 1, v11
	s_delay_alu instid0(VALU_DEP_1)
	v_dual_cndmask_b32 v25, v11, v26 :: v_dual_mov_b32 v26, v10
.LBB169_17:                             ;   in Loop: Header=BB169_13 Depth=2
	s_or_b32 exec_lo, exec_lo, s0
	s_delay_alu instid0(VALU_DEP_1)
	v_cmp_eq_u64_e32 vcc_lo, v[25:26], v[12:13]
	s_mov_b32 s3, exec_lo
	v_cmpx_ne_u64_e64 v[25:26], v[12:13]
	s_xor_b32 s3, exec_lo, s3
; %bb.18:                               ;   in Loop: Header=BB169_13 Depth=2
	v_cmp_lt_i64_e64 s0, v[25:26], v[14:15]
                                        ; implicit-def: $vgpr38
                                        ; implicit-def: $vgpr23_vgpr24
	s_delay_alu instid0(VALU_DEP_1)
	v_cndmask_b32_e64 v15, v15, v26, s0
	v_cndmask_b32_e64 v14, v14, v25, s0
; %bb.19:                               ;   in Loop: Header=BB169_13 Depth=2
	s_or_saveexec_b32 s0, s3
	v_dual_mov_b32 v26, v17 :: v_dual_mov_b32 v25, v16
	s_xor_b32 exec_lo, exec_lo, s0
	s_cbranch_execz .LBB169_12
; %bb.20:                               ;   in Loop: Header=BB169_13 Depth=2
	global_load_b128 v[39:42], v[19:20], off
	v_sub_nc_u32_e32 v11, v38, v18
	v_dual_mov_b32 v26, v24 :: v_dual_mov_b32 v25, v23
	s_delay_alu instid0(VALU_DEP_2)
	v_add_lshl_u32 v11, v28, v11, 4
	ds_store_b8 v27, v37 offset:4096
	s_waitcnt vmcnt(0)
	ds_store_2addr_b64 v11, v[39:40], v[41:42] offset1:1
	s_branch .LBB169_12
.LBB169_21:                             ;   in Loop: Header=BB169_10 Depth=1
	s_or_b32 exec_lo, exec_lo, s23
.LBB169_22:                             ;   in Loop: Header=BB169_10 Depth=1
	s_delay_alu instid0(SALU_CYCLE_1)
	s_or_b32 exec_lo, exec_lo, s22
	ds_bpermute_b32 v16, v30, v25
	ds_bpermute_b32 v17, v30, v26
	s_waitcnt lgkmcnt(0)
	buffer_gl0_inv
	ds_load_u8 v11, v27 offset:4096
	s_mov_b32 s0, exec_lo
	v_cmp_lt_i64_e32 vcc_lo, v[16:17], v[25:26]
	s_waitcnt lgkmcnt(0)
	v_and_b32_e32 v11, 1, v11
	v_dual_cndmask_b32 v17, v26, v17 :: v_dual_cndmask_b32 v16, v25, v16
	ds_bpermute_b32 v19, v9, v17
	ds_bpermute_b32 v18, v9, v16
	s_waitcnt lgkmcnt(0)
	v_cmp_lt_i64_e32 vcc_lo, v[18:19], v[16:17]
	v_dual_cndmask_b32 v17, v17, v19 :: v_dual_cndmask_b32 v16, v16, v18
	v_mov_b32_e32 v18, 0
	v_mov_b32_e32 v19, 0
	ds_bpermute_b32 v17, v31, v17
	ds_bpermute_b32 v16, v31, v16
	v_cmpx_eq_u32_e32 1, v11
	s_cbranch_execz .LBB169_9
; %bb.23:                               ;   in Loop: Header=BB169_10 Depth=1
	v_lshlrev_b64 v[18:19], 3, v[6:7]
	v_add_co_u32 v11, vcc_lo, v12, s17
	v_add_co_ci_u32_e32 v12, vcc_lo, 0, v13, vcc_lo
	s_delay_alu instid0(VALU_DEP_3) | instskip(NEXT) | instid1(VALU_DEP_4)
	v_add_co_u32 v18, vcc_lo, s4, v18
	v_add_co_ci_u32_e32 v19, vcc_lo, s5, v19, vcc_lo
	global_store_b64 v[18:19], v[11:12], off
	s_and_saveexec_b32 s3, s18
	s_cbranch_execz .LBB169_8
; %bb.24:                               ;   in Loop: Header=BB169_10 Depth=1
	v_mul_lo_u32 v13, s19, v6
	v_mul_lo_u32 v22, s20, v7
	v_mad_u64_u32 v[11:12], null, s20, v6, 0
	ds_load_2addr_b64 v[18:21], v29 offset1:1
	v_add3_u32 v12, v12, v22, v13
	s_delay_alu instid0(VALU_DEP_1) | instskip(NEXT) | instid1(VALU_DEP_1)
	v_lshlrev_b64 v[11:12], 4, v[11:12]
	v_add_co_u32 v11, vcc_lo, v36, v11
	s_delay_alu instid0(VALU_DEP_2)
	v_add_co_ci_u32_e32 v12, vcc_lo, v35, v12, vcc_lo
	s_waitcnt lgkmcnt(0)
	global_store_b128 v[11:12], v[18:21], off
	s_branch .LBB169_8
.LBB169_25:
	s_endpgm
	.section	.rodata,"a",@progbits
	.p2align	6, 0x0
	.amdhsa_kernel _ZN9rocsparseL42csr2bsr_wavefront_per_row_multipass_kernelILj256ELj16ELj4E21rocsparse_complex_numIdEllEEv20rocsparse_direction_T4_S4_S4_S4_S4_21rocsparse_index_base_PKT2_PKT3_PKS4_S5_PS6_PS9_PS4_
		.amdhsa_group_segment_fixed_size 4112
		.amdhsa_private_segment_fixed_size 0
		.amdhsa_kernarg_size 112
		.amdhsa_user_sgpr_count 15
		.amdhsa_user_sgpr_dispatch_ptr 0
		.amdhsa_user_sgpr_queue_ptr 0
		.amdhsa_user_sgpr_kernarg_segment_ptr 1
		.amdhsa_user_sgpr_dispatch_id 0
		.amdhsa_user_sgpr_private_segment_size 0
		.amdhsa_wavefront_size32 1
		.amdhsa_uses_dynamic_stack 0
		.amdhsa_enable_private_segment 0
		.amdhsa_system_sgpr_workgroup_id_x 1
		.amdhsa_system_sgpr_workgroup_id_y 0
		.amdhsa_system_sgpr_workgroup_id_z 0
		.amdhsa_system_sgpr_workgroup_info 0
		.amdhsa_system_vgpr_workitem_id 0
		.amdhsa_next_free_vgpr 48
		.amdhsa_next_free_sgpr 25
		.amdhsa_reserve_vcc 1
		.amdhsa_float_round_mode_32 0
		.amdhsa_float_round_mode_16_64 0
		.amdhsa_float_denorm_mode_32 3
		.amdhsa_float_denorm_mode_16_64 3
		.amdhsa_dx10_clamp 1
		.amdhsa_ieee_mode 1
		.amdhsa_fp16_overflow 0
		.amdhsa_workgroup_processor_mode 1
		.amdhsa_memory_ordered 1
		.amdhsa_forward_progress 0
		.amdhsa_shared_vgpr_count 0
		.amdhsa_exception_fp_ieee_invalid_op 0
		.amdhsa_exception_fp_denorm_src 0
		.amdhsa_exception_fp_ieee_div_zero 0
		.amdhsa_exception_fp_ieee_overflow 0
		.amdhsa_exception_fp_ieee_underflow 0
		.amdhsa_exception_fp_ieee_inexact 0
		.amdhsa_exception_int_div_zero 0
	.end_amdhsa_kernel
	.section	.text._ZN9rocsparseL42csr2bsr_wavefront_per_row_multipass_kernelILj256ELj16ELj4E21rocsparse_complex_numIdEllEEv20rocsparse_direction_T4_S4_S4_S4_S4_21rocsparse_index_base_PKT2_PKT3_PKS4_S5_PS6_PS9_PS4_,"axG",@progbits,_ZN9rocsparseL42csr2bsr_wavefront_per_row_multipass_kernelILj256ELj16ELj4E21rocsparse_complex_numIdEllEEv20rocsparse_direction_T4_S4_S4_S4_S4_21rocsparse_index_base_PKT2_PKT3_PKS4_S5_PS6_PS9_PS4_,comdat
.Lfunc_end169:
	.size	_ZN9rocsparseL42csr2bsr_wavefront_per_row_multipass_kernelILj256ELj16ELj4E21rocsparse_complex_numIdEllEEv20rocsparse_direction_T4_S4_S4_S4_S4_21rocsparse_index_base_PKT2_PKT3_PKS4_S5_PS6_PS9_PS4_, .Lfunc_end169-_ZN9rocsparseL42csr2bsr_wavefront_per_row_multipass_kernelILj256ELj16ELj4E21rocsparse_complex_numIdEllEEv20rocsparse_direction_T4_S4_S4_S4_S4_21rocsparse_index_base_PKT2_PKT3_PKS4_S5_PS6_PS9_PS4_
                                        ; -- End function
	.section	.AMDGPU.csdata,"",@progbits
; Kernel info:
; codeLenInByte = 2692
; NumSgprs: 27
; NumVgprs: 48
; ScratchSize: 0
; MemoryBound: 0
; FloatMode: 240
; IeeeMode: 1
; LDSByteSize: 4112 bytes/workgroup (compile time only)
; SGPRBlocks: 3
; VGPRBlocks: 5
; NumSGPRsForWavesPerEU: 27
; NumVGPRsForWavesPerEU: 48
; Occupancy: 16
; WaveLimiterHint : 0
; COMPUTE_PGM_RSRC2:SCRATCH_EN: 0
; COMPUTE_PGM_RSRC2:USER_SGPR: 15
; COMPUTE_PGM_RSRC2:TRAP_HANDLER: 0
; COMPUTE_PGM_RSRC2:TGID_X_EN: 1
; COMPUTE_PGM_RSRC2:TGID_Y_EN: 0
; COMPUTE_PGM_RSRC2:TGID_Z_EN: 0
; COMPUTE_PGM_RSRC2:TIDIG_COMP_CNT: 0
	.section	.text._ZN9rocsparseL42csr2bsr_wavefront_per_row_multipass_kernelILj256ELj64ELj8E21rocsparse_complex_numIdEllEEv20rocsparse_direction_T4_S4_S4_S4_S4_21rocsparse_index_base_PKT2_PKT3_PKS4_S5_PS6_PS9_PS4_,"axG",@progbits,_ZN9rocsparseL42csr2bsr_wavefront_per_row_multipass_kernelILj256ELj64ELj8E21rocsparse_complex_numIdEllEEv20rocsparse_direction_T4_S4_S4_S4_S4_21rocsparse_index_base_PKT2_PKT3_PKS4_S5_PS6_PS9_PS4_,comdat
	.globl	_ZN9rocsparseL42csr2bsr_wavefront_per_row_multipass_kernelILj256ELj64ELj8E21rocsparse_complex_numIdEllEEv20rocsparse_direction_T4_S4_S4_S4_S4_21rocsparse_index_base_PKT2_PKT3_PKS4_S5_PS6_PS9_PS4_ ; -- Begin function _ZN9rocsparseL42csr2bsr_wavefront_per_row_multipass_kernelILj256ELj64ELj8E21rocsparse_complex_numIdEllEEv20rocsparse_direction_T4_S4_S4_S4_S4_21rocsparse_index_base_PKT2_PKT3_PKS4_S5_PS6_PS9_PS4_
	.p2align	8
	.type	_ZN9rocsparseL42csr2bsr_wavefront_per_row_multipass_kernelILj256ELj64ELj8E21rocsparse_complex_numIdEllEEv20rocsparse_direction_T4_S4_S4_S4_S4_21rocsparse_index_base_PKT2_PKT3_PKS4_S5_PS6_PS9_PS4_,@function
_ZN9rocsparseL42csr2bsr_wavefront_per_row_multipass_kernelILj256ELj64ELj8E21rocsparse_complex_numIdEllEEv20rocsparse_direction_T4_S4_S4_S4_S4_21rocsparse_index_base_PKT2_PKT3_PKS4_S5_PS6_PS9_PS4_: ; @_ZN9rocsparseL42csr2bsr_wavefront_per_row_multipass_kernelILj256ELj64ELj8E21rocsparse_complex_numIdEllEEv20rocsparse_direction_T4_S4_S4_S4_S4_21rocsparse_index_base_PKT2_PKT3_PKS4_S5_PS6_PS9_PS4_
; %bb.0:
	s_load_b64 s[8:9], s[0:1], 0x28
	v_lshrrev_b32_e32 v27, 6, v0
	s_mov_b32 s10, s15
	s_ashr_i32 s11, s15, 31
	s_clause 0x1
	s_load_b64 s[14:15], s[0:1], 0x8
	s_load_b128 s[4:7], s[0:1], 0x18
	s_lshl_b64 s[2:3], s[10:11], 2
	v_mov_b32_e32 v2, 0
	v_or_b32_e32 v3, s2, v27
	v_bfe_u32 v1, v0, 3, 3
	s_clause 0x1
	s_load_b32 s16, s[0:1], 0x30
	s_load_b64 s[12:13], s[0:1], 0x40
	s_waitcnt lgkmcnt(0)
	v_mul_lo_u32 v4, v3, s9
	v_mad_u64_u32 v[6:7], null, v3, s8, v[1:2]
	s_mul_i32 s2, s3, s8
	s_delay_alu instid0(VALU_DEP_1) | instid1(SALU_CYCLE_1)
	v_add3_u32 v7, s2, v7, v4
	v_mov_b32_e32 v4, 0
	v_mov_b32_e32 v5, 0
	v_cmp_gt_i64_e64 s2, s[8:9], v[1:2]
	s_delay_alu instid0(VALU_DEP_4) | instskip(NEXT) | instid1(VALU_DEP_3)
	v_cmp_gt_i64_e32 vcc_lo, s[14:15], v[6:7]
	v_dual_mov_b32 v17, v5 :: v_dual_mov_b32 v16, v4
	s_delay_alu instid0(VALU_DEP_3) | instskip(NEXT) | instid1(SALU_CYCLE_1)
	s_and_b32 s3, s2, vcc_lo
	s_and_saveexec_b32 s11, s3
	s_cbranch_execz .LBB170_2
; %bb.1:
	v_lshlrev_b64 v[2:3], 3, v[6:7]
	s_delay_alu instid0(VALU_DEP_1) | instskip(NEXT) | instid1(VALU_DEP_2)
	v_add_co_u32 v2, vcc_lo, s12, v2
	v_add_co_ci_u32_e32 v3, vcc_lo, s13, v3, vcc_lo
	global_load_b64 v[2:3], v[2:3], off
	s_waitcnt vmcnt(0)
	v_sub_co_u32 v16, vcc_lo, v2, s16
	v_subrev_co_ci_u32_e32 v17, vcc_lo, 0, v3, vcc_lo
.LBB170_2:
	s_or_b32 exec_lo, exec_lo, s11
	s_and_saveexec_b32 s11, s3
	s_cbranch_execz .LBB170_4
; %bb.3:
	v_lshlrev_b64 v[2:3], 3, v[6:7]
	s_delay_alu instid0(VALU_DEP_1) | instskip(NEXT) | instid1(VALU_DEP_2)
	v_add_co_u32 v2, vcc_lo, s12, v2
	v_add_co_ci_u32_e32 v3, vcc_lo, s13, v3, vcc_lo
	global_load_b64 v[2:3], v[2:3], off offset:8
	s_waitcnt vmcnt(0)
	v_sub_co_u32 v4, vcc_lo, v2, s16
	v_subrev_co_ci_u32_e32 v5, vcc_lo, 0, v3, vcc_lo
.LBB170_4:
	s_or_b32 exec_lo, exec_lo, s11
	s_load_b32 s17, s[0:1], 0x50
	v_dual_mov_b32 v3, 0 :: v_dual_mov_b32 v6, 0
	v_lshl_or_b32 v2, s10, 2, v27
	v_mov_b32_e32 v7, 0
	s_mov_b32 s3, exec_lo
	s_delay_alu instid0(VALU_DEP_2)
	v_cmpx_gt_i64_e64 s[4:5], v[2:3]
	s_cbranch_execz .LBB170_6
; %bb.5:
	s_load_b64 s[4:5], s[0:1], 0x60
	v_lshlrev_b64 v[2:3], 3, v[2:3]
	s_waitcnt lgkmcnt(0)
	s_delay_alu instid0(VALU_DEP_1) | instskip(NEXT) | instid1(VALU_DEP_2)
	v_add_co_u32 v2, vcc_lo, s4, v2
	v_add_co_ci_u32_e32 v3, vcc_lo, s5, v3, vcc_lo
	global_load_b64 v[2:3], v[2:3], off
	s_waitcnt vmcnt(0)
	v_sub_co_u32 v6, vcc_lo, v2, s17
	v_subrev_co_ci_u32_e32 v7, vcc_lo, 0, v3, vcc_lo
.LBB170_6:
	s_or_b32 exec_lo, exec_lo, s3
	v_cmp_lt_i64_e64 s3, s[6:7], 1
	s_delay_alu instid0(VALU_DEP_1)
	s_and_b32 vcc_lo, exec_lo, s3
	s_cbranch_vccnz .LBB170_25
; %bb.7:
	v_mov_b32_e32 v10, 0
	v_and_b32_e32 v2, 0x3c0, v0
	v_mad_u64_u32 v[11:12], null, v1, s8, 0
	v_and_b32_e32 v8, 7, v0
	v_mbcnt_lo_u32_b32 v15, -1, 0
	v_mov_b32_e32 v9, v10
	v_lshl_or_b32 v28, v1, 3, v2
	s_load_b64 s[4:5], s[0:1], 0x68
	v_mad_u64_u32 v[2:3], null, v8, s8, 0
	v_xor_b32_e32 v13, 4, v15
	s_delay_alu instid0(VALU_DEP_3)
	v_or_b32_e32 v0, v28, v8
	v_xor_b32_e32 v19, 2, v15
	s_clause 0x3
	s_load_b64 s[14:15], s[0:1], 0x58
	s_load_b64 s[10:11], s[0:1], 0x48
	;; [unrolled: 1-line block ×3, first 2 shown]
	s_load_b32 s0, s[0:1], 0x0
	v_lshl_or_b32 v32, v15, 2, 28
	v_cmp_gt_i32_e32 vcc_lo, 32, v13
	v_dual_mov_b32 v0, v3 :: v_dual_lshlrev_b32 v29, 4, v0
	v_mov_b32_e32 v3, v12
	v_bfrev_b32_e32 v36, 0.5
	v_cndmask_b32_e32 v18, v15, v13, vcc_lo
	v_cmp_gt_i32_e32 vcc_lo, 32, v19
	v_mad_u64_u32 v[12:13], null, v8, s9, v[0:1]
	v_xor_b32_e32 v0, 1, v15
	v_mad_u64_u32 v[13:14], null, v1, s9, v[3:4]
	v_cndmask_b32_e32 v14, v15, v19, vcc_lo
	s_mov_b32 s1, 0
	s_delay_alu instid0(VALU_DEP_3)
	v_cmp_gt_i32_e32 vcc_lo, 32, v0
	v_mov_b32_e32 v3, v12
	v_lshlrev_b32_e32 v1, 4, v1
	s_mul_i32 s20, s8, s8
	v_mov_b32_e32 v12, v13
	v_cndmask_b32_e32 v0, v15, v0, vcc_lo
	v_cmp_gt_i64_e32 vcc_lo, s[8:9], v[8:9]
	v_lshlrev_b64 v[2:3], 4, v[2:3]
	v_xor_b32_e32 v13, 8, v15
	v_lshlrev_b64 v[11:12], 4, v[11:12]
	v_lshlrev_b32_e32 v31, 2, v0
	v_lshlrev_b32_e32 v9, 2, v18
	s_and_b32 s18, s2, vcc_lo
	s_waitcnt lgkmcnt(0)
	v_add_co_u32 v0, vcc_lo, s14, v2
	v_add_co_ci_u32_e32 v2, vcc_lo, s15, v3, vcc_lo
	v_add_co_u32 v3, vcc_lo, s14, v11
	v_add_co_ci_u32_e32 v11, vcc_lo, s15, v12, vcc_lo
	v_lshlrev_b32_e32 v12, 4, v8
	v_add_co_u32 v0, vcc_lo, v0, v1
	v_add_co_ci_u32_e32 v1, vcc_lo, 0, v2, vcc_lo
	s_delay_alu instid0(VALU_DEP_3)
	v_add_co_u32 v2, vcc_lo, v3, v12
	v_add_co_ci_u32_e32 v3, vcc_lo, 0, v11, vcc_lo
	v_or_b32_e32 v11, 32, v15
	s_cmp_eq_u32 s0, 0
	s_mul_i32 s2, s8, s9
	s_mul_hi_u32 s0, s8, s8
	s_cselect_b32 vcc_lo, -1, 0
	v_xor_b32_e32 v12, 16, v15
	s_add_i32 s3, s0, s2
	v_cmp_gt_i32_e64 s0, 32, v11
	v_dual_cndmask_b32 v37, v1, v3 :: v_dual_lshlrev_b32 v30, 2, v14
	v_mov_b32_e32 v1, v10
	s_add_i32 s19, s3, s2
	s_delay_alu instid0(VALU_DEP_3) | instskip(SKIP_3) | instid1(VALU_DEP_2)
	v_cndmask_b32_e64 v11, v15, v11, s0
	v_cmp_gt_i32_e64 s0, 32, v12
	s_ashr_i32 s2, s9, 31
	s_sub_i32 s21, 0, s8
	v_dual_cndmask_b32 v38, v0, v2 :: v_dual_lshlrev_b32 v33, 2, v11
	s_delay_alu instid0(VALU_DEP_2) | instskip(SKIP_3) | instid1(VALU_DEP_4)
	v_cndmask_b32_e64 v12, v15, v12, s0
	v_cmp_gt_i32_e64 s0, 32, v13
	v_dual_mov_b32 v0, 0 :: v_dual_mov_b32 v39, 1
	v_mov_b32_e32 v2, v10
	v_lshlrev_b32_e32 v34, 2, v12
	s_delay_alu instid0(VALU_DEP_4) | instskip(SKIP_1) | instid1(VALU_DEP_2)
	v_cndmask_b32_e64 v13, v15, v13, s0
	v_mov_b32_e32 v3, v10
	v_dual_mov_b32 v12, 0 :: v_dual_lshlrev_b32 v35, 2, v13
	v_mov_b32_e32 v13, 0
	s_branch .LBB170_10
.LBB170_8:                              ;   in Loop: Header=BB170_10 Depth=1
	s_or_b32 exec_lo, exec_lo, s3
	v_mov_b32_e32 v18, 1
	v_mov_b32_e32 v19, 0
.LBB170_9:                              ;   in Loop: Header=BB170_10 Depth=1
	s_or_b32 exec_lo, exec_lo, s0
	ds_bpermute_b32 v11, v33, v14
	ds_bpermute_b32 v12, v33, v15
	v_add_co_u32 v6, s0, v18, v6
	s_delay_alu instid0(VALU_DEP_1)
	v_add_co_ci_u32_e64 v7, s0, v19, v7, s0
	s_waitcnt lgkmcnt(0)
	s_waitcnt_vscnt null, 0x0
	buffer_gl0_inv
	buffer_gl0_inv
	v_cmp_lt_i64_e32 vcc_lo, v[11:12], v[14:15]
	v_dual_cndmask_b32 v12, v15, v12 :: v_dual_cndmask_b32 v11, v14, v11
	ds_bpermute_b32 v14, v34, v12
	ds_bpermute_b32 v13, v34, v11
	s_waitcnt lgkmcnt(0)
	v_cmp_lt_i64_e32 vcc_lo, v[13:14], v[11:12]
	v_dual_cndmask_b32 v12, v12, v14 :: v_dual_cndmask_b32 v11, v11, v13
	ds_bpermute_b32 v14, v35, v12
	ds_bpermute_b32 v13, v35, v11
	s_waitcnt lgkmcnt(0)
	;; [unrolled: 5-line block ×6, first 2 shown]
	v_cmp_le_i64_e32 vcc_lo, s[6:7], v[12:13]
	s_or_b32 s1, vcc_lo, s1
	s_delay_alu instid0(SALU_CYCLE_1)
	s_and_not1_b32 exec_lo, exec_lo, s1
	s_cbranch_execz .LBB170_25
.LBB170_10:                             ; =>This Loop Header: Depth=1
                                        ;     Child Loop BB170_13 Depth 2
	v_add_co_u32 v16, vcc_lo, v16, v8
	v_add_co_ci_u32_e32 v17, vcc_lo, 0, v17, vcc_lo
	v_dual_mov_b32 v15, s7 :: v_dual_mov_b32 v14, s6
	v_dual_mov_b32 v26, v5 :: v_dual_mov_b32 v25, v4
	s_mov_b32 s22, exec_lo
	ds_store_b8 v27, v10 offset:4096
	ds_store_b128 v29, v[0:3]
	s_waitcnt lgkmcnt(0)
	buffer_gl0_inv
	v_cmpx_lt_i64_e64 v[16:17], v[4:5]
	s_cbranch_execz .LBB170_22
; %bb.11:                               ;   in Loop: Header=BB170_10 Depth=1
	v_lshlrev_b64 v[14:15], 4, v[16:17]
	v_lshlrev_b64 v[21:22], 3, v[16:17]
	v_mad_u64_u32 v[18:19], null, v12, s8, 0
	v_dual_mov_b32 v24, v5 :: v_dual_mov_b32 v23, v4
	s_delay_alu instid0(VALU_DEP_4)
	v_add_co_u32 v19, vcc_lo, s12, v14
	v_add_co_ci_u32_e32 v20, vcc_lo, s13, v15, vcc_lo
	v_add_co_u32 v21, vcc_lo, s10, v21
	v_add_co_ci_u32_e32 v22, vcc_lo, s11, v22, vcc_lo
	v_dual_mov_b32 v15, s7 :: v_dual_mov_b32 v14, s6
	s_mov_b32 s23, 0
	s_branch .LBB170_13
.LBB170_12:                             ;   in Loop: Header=BB170_13 Depth=2
	s_or_b32 exec_lo, exec_lo, s0
	v_add_co_u32 v16, s0, v16, 8
	s_delay_alu instid0(VALU_DEP_1) | instskip(SKIP_2) | instid1(VALU_DEP_2)
	v_add_co_ci_u32_e64 v17, s0, 0, v17, s0
	s_xor_b32 s3, vcc_lo, -1
	v_add_co_u32 v19, vcc_lo, 0x80, v19
	v_cmp_ge_i64_e64 s0, v[16:17], v[4:5]
	v_add_co_ci_u32_e32 v20, vcc_lo, 0, v20, vcc_lo
	v_add_co_u32 v21, vcc_lo, v21, 64
	v_add_co_ci_u32_e32 v22, vcc_lo, 0, v22, vcc_lo
	s_delay_alu instid0(VALU_DEP_4) | instskip(SKIP_2) | instid1(SALU_CYCLE_1)
	s_or_b32 s0, s3, s0
	v_dual_mov_b32 v23, v25 :: v_dual_mov_b32 v24, v26
	s_and_b32 s0, exec_lo, s0
	s_or_b32 s23, s0, s23
	s_delay_alu instid0(SALU_CYCLE_1)
	s_and_not1_b32 exec_lo, exec_lo, s23
	s_cbranch_execz .LBB170_21
.LBB170_13:                             ;   Parent Loop BB170_10 Depth=1
                                        ; =>  This Inner Loop Header: Depth=2
	global_load_b64 v[25:26], v[21:22], off
	s_mov_b32 s0, exec_lo
	s_waitcnt vmcnt(0)
	v_sub_co_u32 v40, vcc_lo, v25, s16
	v_subrev_co_ci_u32_e32 v41, vcc_lo, 0, v26, vcc_lo
                                        ; implicit-def: $vgpr25_vgpr26
	s_delay_alu instid0(VALU_DEP_1) | instskip(NEXT) | instid1(VALU_DEP_1)
	v_or_b32_e32 v11, s9, v41
	v_cmpx_ne_u64_e32 0, v[10:11]
	s_xor_b32 s24, exec_lo, s0
	s_cbranch_execz .LBB170_15
; %bb.14:                               ;   in Loop: Header=BB170_13 Depth=2
	s_add_u32 s14, s8, s2
	s_mov_b32 s3, s2
	s_addc_u32 s15, s9, s2
	s_delay_alu instid0(SALU_CYCLE_1) | instskip(NEXT) | instid1(SALU_CYCLE_1)
	s_xor_b64 s[14:15], s[14:15], s[2:3]
	v_cvt_f32_u32_e32 v11, s14
	v_cvt_f32_u32_e32 v25, s15
	s_sub_u32 s0, 0, s14
	s_subb_u32 s3, 0, s15
	s_delay_alu instid0(VALU_DEP_1) | instskip(NEXT) | instid1(VALU_DEP_1)
	v_fmac_f32_e32 v11, 0x4f800000, v25
	v_rcp_f32_e32 v11, v11
	s_waitcnt_depctr 0xfff
	v_mul_f32_e32 v11, 0x5f7ffffc, v11
	s_delay_alu instid0(VALU_DEP_1) | instskip(NEXT) | instid1(VALU_DEP_1)
	v_mul_f32_e32 v25, 0x2f800000, v11
	v_trunc_f32_e32 v25, v25
	s_delay_alu instid0(VALU_DEP_1) | instskip(SKIP_1) | instid1(VALU_DEP_2)
	v_fmac_f32_e32 v11, 0xcf800000, v25
	v_cvt_u32_f32_e32 v25, v25
	v_cvt_u32_f32_e32 v11, v11
	s_delay_alu instid0(VALU_DEP_2) | instskip(NEXT) | instid1(VALU_DEP_2)
	v_mul_lo_u32 v26, s0, v25
	v_mul_hi_u32 v42, s0, v11
	v_mul_lo_u32 v43, s3, v11
	s_delay_alu instid0(VALU_DEP_2) | instskip(SKIP_1) | instid1(VALU_DEP_2)
	v_add_nc_u32_e32 v26, v42, v26
	v_mul_lo_u32 v42, s0, v11
	v_add_nc_u32_e32 v26, v26, v43
	s_delay_alu instid0(VALU_DEP_2) | instskip(NEXT) | instid1(VALU_DEP_2)
	v_mul_hi_u32 v43, v11, v42
	v_mul_lo_u32 v44, v11, v26
	v_mul_hi_u32 v45, v11, v26
	v_mul_hi_u32 v46, v25, v42
	v_mul_lo_u32 v42, v25, v42
	v_mul_hi_u32 v47, v25, v26
	v_mul_lo_u32 v26, v25, v26
	v_add_co_u32 v43, vcc_lo, v43, v44
	v_add_co_ci_u32_e32 v44, vcc_lo, 0, v45, vcc_lo
	s_delay_alu instid0(VALU_DEP_2) | instskip(NEXT) | instid1(VALU_DEP_2)
	v_add_co_u32 v42, vcc_lo, v43, v42
	v_add_co_ci_u32_e32 v42, vcc_lo, v44, v46, vcc_lo
	v_add_co_ci_u32_e32 v43, vcc_lo, 0, v47, vcc_lo
	v_ashrrev_i32_e32 v46, 31, v41
	s_delay_alu instid0(VALU_DEP_3) | instskip(NEXT) | instid1(VALU_DEP_3)
	v_add_co_u32 v26, vcc_lo, v42, v26
	v_add_co_ci_u32_e32 v42, vcc_lo, 0, v43, vcc_lo
	s_delay_alu instid0(VALU_DEP_2) | instskip(NEXT) | instid1(VALU_DEP_2)
	v_add_co_u32 v11, vcc_lo, v11, v26
	v_add_co_ci_u32_e32 v25, vcc_lo, v25, v42, vcc_lo
	s_delay_alu instid0(VALU_DEP_2) | instskip(SKIP_1) | instid1(VALU_DEP_3)
	v_mul_hi_u32 v26, s0, v11
	v_mul_lo_u32 v43, s3, v11
	v_mul_lo_u32 v42, s0, v25
	s_delay_alu instid0(VALU_DEP_1) | instskip(SKIP_1) | instid1(VALU_DEP_2)
	v_add_nc_u32_e32 v26, v26, v42
	v_mul_lo_u32 v42, s0, v11
	v_add_nc_u32_e32 v26, v26, v43
	s_delay_alu instid0(VALU_DEP_2) | instskip(NEXT) | instid1(VALU_DEP_2)
	v_mul_hi_u32 v43, v11, v42
	v_mul_lo_u32 v44, v11, v26
	v_mul_hi_u32 v45, v11, v26
	v_mul_hi_u32 v47, v25, v42
	v_mul_lo_u32 v42, v25, v42
	v_mul_hi_u32 v48, v25, v26
	v_mul_lo_u32 v26, v25, v26
	v_add_co_u32 v43, vcc_lo, v43, v44
	v_add_co_ci_u32_e32 v44, vcc_lo, 0, v45, vcc_lo
	s_delay_alu instid0(VALU_DEP_2) | instskip(NEXT) | instid1(VALU_DEP_2)
	v_add_co_u32 v42, vcc_lo, v43, v42
	v_add_co_ci_u32_e32 v42, vcc_lo, v44, v47, vcc_lo
	v_add_co_ci_u32_e32 v43, vcc_lo, 0, v48, vcc_lo
	v_add_co_u32 v44, vcc_lo, v40, v46
	v_add_co_ci_u32_e32 v41, vcc_lo, v41, v46, vcc_lo
	s_delay_alu instid0(VALU_DEP_4) | instskip(NEXT) | instid1(VALU_DEP_4)
	v_add_co_u32 v26, vcc_lo, v42, v26
	v_add_co_ci_u32_e32 v42, vcc_lo, 0, v43, vcc_lo
	s_delay_alu instid0(VALU_DEP_4) | instskip(NEXT) | instid1(VALU_DEP_3)
	v_xor_b32_e32 v45, v44, v46
	v_add_co_u32 v11, vcc_lo, v11, v26
	s_delay_alu instid0(VALU_DEP_3) | instskip(SKIP_1) | instid1(VALU_DEP_3)
	v_add_co_ci_u32_e32 v47, vcc_lo, v25, v42, vcc_lo
	v_xor_b32_e32 v48, v41, v46
	v_mul_hi_u32 v49, v45, v11
	s_delay_alu instid0(VALU_DEP_3) | instskip(NEXT) | instid1(VALU_DEP_3)
	v_mad_u64_u32 v[25:26], null, v45, v47, 0
	v_mad_u64_u32 v[41:42], null, v48, v11, 0
	;; [unrolled: 1-line block ×3, first 2 shown]
	s_delay_alu instid0(VALU_DEP_3) | instskip(NEXT) | instid1(VALU_DEP_4)
	v_add_co_u32 v11, vcc_lo, v49, v25
	v_add_co_ci_u32_e32 v25, vcc_lo, 0, v26, vcc_lo
	s_delay_alu instid0(VALU_DEP_2) | instskip(NEXT) | instid1(VALU_DEP_2)
	v_add_co_u32 v11, vcc_lo, v11, v41
	v_add_co_ci_u32_e32 v11, vcc_lo, v25, v42, vcc_lo
	v_add_co_ci_u32_e32 v25, vcc_lo, 0, v44, vcc_lo
	s_delay_alu instid0(VALU_DEP_2) | instskip(NEXT) | instid1(VALU_DEP_2)
	v_add_co_u32 v11, vcc_lo, v11, v43
	v_add_co_ci_u32_e32 v41, vcc_lo, 0, v25, vcc_lo
	s_delay_alu instid0(VALU_DEP_2) | instskip(SKIP_1) | instid1(VALU_DEP_3)
	v_mul_lo_u32 v42, s15, v11
	v_mad_u64_u32 v[25:26], null, s14, v11, 0
	v_mul_lo_u32 v43, s14, v41
	s_delay_alu instid0(VALU_DEP_2) | instskip(NEXT) | instid1(VALU_DEP_2)
	v_sub_co_u32 v25, vcc_lo, v45, v25
	v_add3_u32 v26, v26, v43, v42
	s_delay_alu instid0(VALU_DEP_1) | instskip(NEXT) | instid1(VALU_DEP_1)
	v_sub_nc_u32_e32 v42, v48, v26
	v_subrev_co_ci_u32_e64 v42, s0, s15, v42, vcc_lo
	v_add_co_u32 v43, s0, v11, 2
	s_delay_alu instid0(VALU_DEP_1) | instskip(SKIP_3) | instid1(VALU_DEP_3)
	v_add_co_ci_u32_e64 v44, s0, 0, v41, s0
	v_sub_co_u32 v45, s0, v25, s14
	v_sub_co_ci_u32_e32 v26, vcc_lo, v48, v26, vcc_lo
	v_subrev_co_ci_u32_e64 v42, s0, 0, v42, s0
	v_cmp_le_u32_e32 vcc_lo, s14, v45
	s_delay_alu instid0(VALU_DEP_3) | instskip(SKIP_1) | instid1(VALU_DEP_4)
	v_cmp_eq_u32_e64 s0, s15, v26
	v_cndmask_b32_e64 v45, 0, -1, vcc_lo
	v_cmp_le_u32_e32 vcc_lo, s15, v42
	v_cndmask_b32_e64 v47, 0, -1, vcc_lo
	v_cmp_le_u32_e32 vcc_lo, s14, v25
	;; [unrolled: 2-line block ×3, first 2 shown]
	v_cndmask_b32_e64 v48, 0, -1, vcc_lo
	v_cmp_eq_u32_e32 vcc_lo, s15, v42
	s_delay_alu instid0(VALU_DEP_2) | instskip(SKIP_3) | instid1(VALU_DEP_3)
	v_cndmask_b32_e64 v25, v48, v25, s0
	v_cndmask_b32_e32 v42, v47, v45, vcc_lo
	v_add_co_u32 v45, vcc_lo, v11, 1
	v_add_co_ci_u32_e32 v47, vcc_lo, 0, v41, vcc_lo
	v_cmp_ne_u32_e32 vcc_lo, 0, v42
	s_delay_alu instid0(VALU_DEP_2) | instskip(NEXT) | instid1(VALU_DEP_4)
	v_cndmask_b32_e32 v26, v47, v44, vcc_lo
	v_cndmask_b32_e32 v42, v45, v43, vcc_lo
	v_cmp_ne_u32_e32 vcc_lo, 0, v25
	v_xor_b32_e32 v43, s2, v46
	s_delay_alu instid0(VALU_DEP_3) | instskip(SKIP_1) | instid1(VALU_DEP_2)
	v_cndmask_b32_e32 v11, v11, v42, vcc_lo
	v_cndmask_b32_e32 v25, v41, v26, vcc_lo
	v_xor_b32_e32 v11, v11, v43
	s_delay_alu instid0(VALU_DEP_2) | instskip(NEXT) | instid1(VALU_DEP_2)
	v_xor_b32_e32 v26, v25, v43
	v_sub_co_u32 v25, vcc_lo, v11, v43
	s_delay_alu instid0(VALU_DEP_2)
	v_sub_co_ci_u32_e32 v26, vcc_lo, v26, v43, vcc_lo
.LBB170_15:                             ;   in Loop: Header=BB170_13 Depth=2
	s_and_not1_saveexec_b32 s0, s24
	s_cbranch_execz .LBB170_17
; %bb.16:                               ;   in Loop: Header=BB170_13 Depth=2
	v_cvt_f32_u32_e32 v11, s8
	s_delay_alu instid0(VALU_DEP_1) | instskip(SKIP_2) | instid1(VALU_DEP_1)
	v_rcp_iflag_f32_e32 v11, v11
	s_waitcnt_depctr 0xfff
	v_mul_f32_e32 v11, 0x4f7ffffe, v11
	v_cvt_u32_f32_e32 v11, v11
	s_delay_alu instid0(VALU_DEP_1) | instskip(NEXT) | instid1(VALU_DEP_1)
	v_mul_lo_u32 v25, s21, v11
	v_mul_hi_u32 v25, v11, v25
	s_delay_alu instid0(VALU_DEP_1) | instskip(NEXT) | instid1(VALU_DEP_1)
	v_add_nc_u32_e32 v11, v11, v25
	v_mul_hi_u32 v11, v40, v11
	s_delay_alu instid0(VALU_DEP_1) | instskip(NEXT) | instid1(VALU_DEP_1)
	v_mul_lo_u32 v25, v11, s8
	v_sub_nc_u32_e32 v25, v40, v25
	s_delay_alu instid0(VALU_DEP_1) | instskip(SKIP_1) | instid1(VALU_DEP_2)
	v_subrev_nc_u32_e32 v41, s8, v25
	v_cmp_le_u32_e32 vcc_lo, s8, v25
	v_dual_cndmask_b32 v25, v25, v41 :: v_dual_add_nc_u32 v26, 1, v11
	s_delay_alu instid0(VALU_DEP_1) | instskip(NEXT) | instid1(VALU_DEP_2)
	v_cndmask_b32_e32 v11, v11, v26, vcc_lo
	v_cmp_le_u32_e32 vcc_lo, s8, v25
	s_delay_alu instid0(VALU_DEP_2) | instskip(NEXT) | instid1(VALU_DEP_1)
	v_add_nc_u32_e32 v26, 1, v11
	v_dual_cndmask_b32 v25, v11, v26 :: v_dual_mov_b32 v26, v10
.LBB170_17:                             ;   in Loop: Header=BB170_13 Depth=2
	s_or_b32 exec_lo, exec_lo, s0
	s_delay_alu instid0(VALU_DEP_1)
	v_cmp_eq_u64_e32 vcc_lo, v[25:26], v[12:13]
	s_mov_b32 s3, exec_lo
	v_cmpx_ne_u64_e64 v[25:26], v[12:13]
	s_xor_b32 s3, exec_lo, s3
; %bb.18:                               ;   in Loop: Header=BB170_13 Depth=2
	v_cmp_lt_i64_e64 s0, v[25:26], v[14:15]
                                        ; implicit-def: $vgpr40
                                        ; implicit-def: $vgpr23_vgpr24
	s_delay_alu instid0(VALU_DEP_1)
	v_cndmask_b32_e64 v15, v15, v26, s0
	v_cndmask_b32_e64 v14, v14, v25, s0
; %bb.19:                               ;   in Loop: Header=BB170_13 Depth=2
	s_or_saveexec_b32 s0, s3
	v_dual_mov_b32 v26, v17 :: v_dual_mov_b32 v25, v16
	s_xor_b32 exec_lo, exec_lo, s0
	s_cbranch_execz .LBB170_12
; %bb.20:                               ;   in Loop: Header=BB170_13 Depth=2
	global_load_b128 v[41:44], v[19:20], off
	v_sub_nc_u32_e32 v11, v40, v18
	v_dual_mov_b32 v26, v24 :: v_dual_mov_b32 v25, v23
	s_delay_alu instid0(VALU_DEP_2)
	v_add_lshl_u32 v11, v28, v11, 4
	ds_store_b8 v27, v39 offset:4096
	s_waitcnt vmcnt(0)
	ds_store_2addr_b64 v11, v[41:42], v[43:44] offset1:1
	s_branch .LBB170_12
.LBB170_21:                             ;   in Loop: Header=BB170_10 Depth=1
	s_or_b32 exec_lo, exec_lo, s23
.LBB170_22:                             ;   in Loop: Header=BB170_10 Depth=1
	s_delay_alu instid0(SALU_CYCLE_1)
	s_or_b32 exec_lo, exec_lo, s22
	ds_bpermute_b32 v16, v9, v25
	ds_bpermute_b32 v17, v9, v26
	s_waitcnt lgkmcnt(0)
	buffer_gl0_inv
	ds_load_u8 v11, v27 offset:4096
	s_mov_b32 s0, exec_lo
	v_cmp_lt_i64_e32 vcc_lo, v[16:17], v[25:26]
	s_waitcnt lgkmcnt(0)
	v_and_b32_e32 v11, 1, v11
	v_dual_cndmask_b32 v17, v26, v17 :: v_dual_cndmask_b32 v16, v25, v16
	ds_bpermute_b32 v19, v30, v17
	ds_bpermute_b32 v18, v30, v16
	s_waitcnt lgkmcnt(0)
	v_cmp_lt_i64_e32 vcc_lo, v[18:19], v[16:17]
	v_dual_cndmask_b32 v17, v17, v19 :: v_dual_cndmask_b32 v16, v16, v18
	ds_bpermute_b32 v19, v31, v17
	ds_bpermute_b32 v18, v31, v16
	s_waitcnt lgkmcnt(0)
	v_cmp_lt_i64_e32 vcc_lo, v[18:19], v[16:17]
	v_dual_cndmask_b32 v17, v17, v19 :: v_dual_cndmask_b32 v16, v16, v18
	v_mov_b32_e32 v18, 0
	v_mov_b32_e32 v19, 0
	ds_bpermute_b32 v17, v32, v17
	ds_bpermute_b32 v16, v32, v16
	v_cmpx_eq_u32_e32 1, v11
	s_cbranch_execz .LBB170_9
; %bb.23:                               ;   in Loop: Header=BB170_10 Depth=1
	v_lshlrev_b64 v[18:19], 3, v[6:7]
	v_add_co_u32 v11, vcc_lo, v12, s17
	v_add_co_ci_u32_e32 v12, vcc_lo, 0, v13, vcc_lo
	s_delay_alu instid0(VALU_DEP_3) | instskip(NEXT) | instid1(VALU_DEP_4)
	v_add_co_u32 v18, vcc_lo, s4, v18
	v_add_co_ci_u32_e32 v19, vcc_lo, s5, v19, vcc_lo
	global_store_b64 v[18:19], v[11:12], off
	s_and_saveexec_b32 s3, s18
	s_cbranch_execz .LBB170_8
; %bb.24:                               ;   in Loop: Header=BB170_10 Depth=1
	v_mul_lo_u32 v13, s19, v6
	v_mul_lo_u32 v22, s20, v7
	v_mad_u64_u32 v[11:12], null, s20, v6, 0
	ds_load_2addr_b64 v[18:21], v29 offset1:1
	v_add3_u32 v12, v12, v22, v13
	s_delay_alu instid0(VALU_DEP_1) | instskip(NEXT) | instid1(VALU_DEP_1)
	v_lshlrev_b64 v[11:12], 4, v[11:12]
	v_add_co_u32 v11, vcc_lo, v38, v11
	s_delay_alu instid0(VALU_DEP_2)
	v_add_co_ci_u32_e32 v12, vcc_lo, v37, v12, vcc_lo
	s_waitcnt lgkmcnt(0)
	global_store_b128 v[11:12], v[18:21], off
	s_branch .LBB170_8
.LBB170_25:
	s_endpgm
	.section	.rodata,"a",@progbits
	.p2align	6, 0x0
	.amdhsa_kernel _ZN9rocsparseL42csr2bsr_wavefront_per_row_multipass_kernelILj256ELj64ELj8E21rocsparse_complex_numIdEllEEv20rocsparse_direction_T4_S4_S4_S4_S4_21rocsparse_index_base_PKT2_PKT3_PKS4_S5_PS6_PS9_PS4_
		.amdhsa_group_segment_fixed_size 4104
		.amdhsa_private_segment_fixed_size 0
		.amdhsa_kernarg_size 112
		.amdhsa_user_sgpr_count 15
		.amdhsa_user_sgpr_dispatch_ptr 0
		.amdhsa_user_sgpr_queue_ptr 0
		.amdhsa_user_sgpr_kernarg_segment_ptr 1
		.amdhsa_user_sgpr_dispatch_id 0
		.amdhsa_user_sgpr_private_segment_size 0
		.amdhsa_wavefront_size32 1
		.amdhsa_uses_dynamic_stack 0
		.amdhsa_enable_private_segment 0
		.amdhsa_system_sgpr_workgroup_id_x 1
		.amdhsa_system_sgpr_workgroup_id_y 0
		.amdhsa_system_sgpr_workgroup_id_z 0
		.amdhsa_system_sgpr_workgroup_info 0
		.amdhsa_system_vgpr_workitem_id 0
		.amdhsa_next_free_vgpr 50
		.amdhsa_next_free_sgpr 25
		.amdhsa_reserve_vcc 1
		.amdhsa_float_round_mode_32 0
		.amdhsa_float_round_mode_16_64 0
		.amdhsa_float_denorm_mode_32 3
		.amdhsa_float_denorm_mode_16_64 3
		.amdhsa_dx10_clamp 1
		.amdhsa_ieee_mode 1
		.amdhsa_fp16_overflow 0
		.amdhsa_workgroup_processor_mode 1
		.amdhsa_memory_ordered 1
		.amdhsa_forward_progress 0
		.amdhsa_shared_vgpr_count 0
		.amdhsa_exception_fp_ieee_invalid_op 0
		.amdhsa_exception_fp_denorm_src 0
		.amdhsa_exception_fp_ieee_div_zero 0
		.amdhsa_exception_fp_ieee_overflow 0
		.amdhsa_exception_fp_ieee_underflow 0
		.amdhsa_exception_fp_ieee_inexact 0
		.amdhsa_exception_int_div_zero 0
	.end_amdhsa_kernel
	.section	.text._ZN9rocsparseL42csr2bsr_wavefront_per_row_multipass_kernelILj256ELj64ELj8E21rocsparse_complex_numIdEllEEv20rocsparse_direction_T4_S4_S4_S4_S4_21rocsparse_index_base_PKT2_PKT3_PKS4_S5_PS6_PS9_PS4_,"axG",@progbits,_ZN9rocsparseL42csr2bsr_wavefront_per_row_multipass_kernelILj256ELj64ELj8E21rocsparse_complex_numIdEllEEv20rocsparse_direction_T4_S4_S4_S4_S4_21rocsparse_index_base_PKT2_PKT3_PKS4_S5_PS6_PS9_PS4_,comdat
.Lfunc_end170:
	.size	_ZN9rocsparseL42csr2bsr_wavefront_per_row_multipass_kernelILj256ELj64ELj8E21rocsparse_complex_numIdEllEEv20rocsparse_direction_T4_S4_S4_S4_S4_21rocsparse_index_base_PKT2_PKT3_PKS4_S5_PS6_PS9_PS4_, .Lfunc_end170-_ZN9rocsparseL42csr2bsr_wavefront_per_row_multipass_kernelILj256ELj64ELj8E21rocsparse_complex_numIdEllEEv20rocsparse_direction_T4_S4_S4_S4_S4_21rocsparse_index_base_PKT2_PKT3_PKS4_S5_PS6_PS9_PS4_
                                        ; -- End function
	.section	.AMDGPU.csdata,"",@progbits
; Kernel info:
; codeLenInByte = 2844
; NumSgprs: 27
; NumVgprs: 50
; ScratchSize: 0
; MemoryBound: 0
; FloatMode: 240
; IeeeMode: 1
; LDSByteSize: 4104 bytes/workgroup (compile time only)
; SGPRBlocks: 3
; VGPRBlocks: 6
; NumSGPRsForWavesPerEU: 27
; NumVGPRsForWavesPerEU: 50
; Occupancy: 16
; WaveLimiterHint : 0
; COMPUTE_PGM_RSRC2:SCRATCH_EN: 0
; COMPUTE_PGM_RSRC2:USER_SGPR: 15
; COMPUTE_PGM_RSRC2:TRAP_HANDLER: 0
; COMPUTE_PGM_RSRC2:TGID_X_EN: 1
; COMPUTE_PGM_RSRC2:TGID_Y_EN: 0
; COMPUTE_PGM_RSRC2:TGID_Z_EN: 0
; COMPUTE_PGM_RSRC2:TIDIG_COMP_CNT: 0
	.section	.text._ZN9rocsparseL42csr2bsr_wavefront_per_row_multipass_kernelILj256ELj32ELj8E21rocsparse_complex_numIdEllEEv20rocsparse_direction_T4_S4_S4_S4_S4_21rocsparse_index_base_PKT2_PKT3_PKS4_S5_PS6_PS9_PS4_,"axG",@progbits,_ZN9rocsparseL42csr2bsr_wavefront_per_row_multipass_kernelILj256ELj32ELj8E21rocsparse_complex_numIdEllEEv20rocsparse_direction_T4_S4_S4_S4_S4_21rocsparse_index_base_PKT2_PKT3_PKS4_S5_PS6_PS9_PS4_,comdat
	.globl	_ZN9rocsparseL42csr2bsr_wavefront_per_row_multipass_kernelILj256ELj32ELj8E21rocsparse_complex_numIdEllEEv20rocsparse_direction_T4_S4_S4_S4_S4_21rocsparse_index_base_PKT2_PKT3_PKS4_S5_PS6_PS9_PS4_ ; -- Begin function _ZN9rocsparseL42csr2bsr_wavefront_per_row_multipass_kernelILj256ELj32ELj8E21rocsparse_complex_numIdEllEEv20rocsparse_direction_T4_S4_S4_S4_S4_21rocsparse_index_base_PKT2_PKT3_PKS4_S5_PS6_PS9_PS4_
	.p2align	8
	.type	_ZN9rocsparseL42csr2bsr_wavefront_per_row_multipass_kernelILj256ELj32ELj8E21rocsparse_complex_numIdEllEEv20rocsparse_direction_T4_S4_S4_S4_S4_21rocsparse_index_base_PKT2_PKT3_PKS4_S5_PS6_PS9_PS4_,@function
_ZN9rocsparseL42csr2bsr_wavefront_per_row_multipass_kernelILj256ELj32ELj8E21rocsparse_complex_numIdEllEEv20rocsparse_direction_T4_S4_S4_S4_S4_21rocsparse_index_base_PKT2_PKT3_PKS4_S5_PS6_PS9_PS4_: ; @_ZN9rocsparseL42csr2bsr_wavefront_per_row_multipass_kernelILj256ELj32ELj8E21rocsparse_complex_numIdEllEEv20rocsparse_direction_T4_S4_S4_S4_S4_21rocsparse_index_base_PKT2_PKT3_PKS4_S5_PS6_PS9_PS4_
; %bb.0:
	s_load_b64 s[12:13], s[0:1], 0x28
	v_lshrrev_b32_e32 v30, 5, v0
	s_mov_b32 s8, s15
	s_ashr_i32 s9, s15, 31
	s_clause 0x1
	s_load_b64 s[14:15], s[0:1], 0x8
	s_load_b128 s[4:7], s[0:1], 0x18
	s_lshl_b64 s[2:3], s[8:9], 3
	v_mov_b32_e32 v2, 0
	v_or_b32_e32 v3, s2, v30
	v_bfe_u32 v1, v0, 2, 3
	s_clause 0x1
	s_load_b32 s18, s[0:1], 0x30
	s_load_b64 s[10:11], s[0:1], 0x40
	s_waitcnt lgkmcnt(0)
	v_mul_lo_u32 v4, v3, s13
	v_mad_u64_u32 v[6:7], null, v3, s12, v[1:2]
	s_mul_i32 s2, s3, s12
	s_delay_alu instid0(VALU_DEP_1) | instid1(SALU_CYCLE_1)
	v_add3_u32 v7, s2, v7, v4
	v_mov_b32_e32 v4, 0
	v_mov_b32_e32 v5, 0
	v_cmp_gt_i64_e64 s2, s[12:13], v[1:2]
	s_delay_alu instid0(VALU_DEP_4) | instskip(NEXT) | instid1(VALU_DEP_3)
	v_cmp_gt_i64_e32 vcc_lo, s[14:15], v[6:7]
	v_dual_mov_b32 v20, v5 :: v_dual_mov_b32 v19, v4
	s_delay_alu instid0(VALU_DEP_3) | instskip(NEXT) | instid1(SALU_CYCLE_1)
	s_and_b32 s3, s2, vcc_lo
	s_and_saveexec_b32 s9, s3
	s_cbranch_execz .LBB171_2
; %bb.1:
	v_lshlrev_b64 v[2:3], 3, v[6:7]
	s_delay_alu instid0(VALU_DEP_1) | instskip(NEXT) | instid1(VALU_DEP_2)
	v_add_co_u32 v2, vcc_lo, s10, v2
	v_add_co_ci_u32_e32 v3, vcc_lo, s11, v3, vcc_lo
	global_load_b64 v[2:3], v[2:3], off
	s_waitcnt vmcnt(0)
	v_sub_co_u32 v19, vcc_lo, v2, s18
	v_subrev_co_ci_u32_e32 v20, vcc_lo, 0, v3, vcc_lo
.LBB171_2:
	s_or_b32 exec_lo, exec_lo, s9
	s_and_saveexec_b32 s9, s3
	s_cbranch_execz .LBB171_4
; %bb.3:
	v_lshlrev_b64 v[2:3], 3, v[6:7]
	s_delay_alu instid0(VALU_DEP_1) | instskip(NEXT) | instid1(VALU_DEP_2)
	v_add_co_u32 v2, vcc_lo, s10, v2
	v_add_co_ci_u32_e32 v3, vcc_lo, s11, v3, vcc_lo
	global_load_b64 v[2:3], v[2:3], off offset:8
	s_waitcnt vmcnt(0)
	v_sub_co_u32 v4, vcc_lo, v2, s18
	v_subrev_co_ci_u32_e32 v5, vcc_lo, 0, v3, vcc_lo
.LBB171_4:
	s_or_b32 exec_lo, exec_lo, s9
	s_load_b32 s19, s[0:1], 0x50
	v_dual_mov_b32 v3, 0 :: v_dual_mov_b32 v6, 0
	v_lshl_or_b32 v2, s8, 3, v30
	v_mov_b32_e32 v7, 0
	s_mov_b32 s3, exec_lo
	s_delay_alu instid0(VALU_DEP_2)
	v_cmpx_gt_i64_e64 s[4:5], v[2:3]
	s_cbranch_execz .LBB171_6
; %bb.5:
	s_load_b64 s[4:5], s[0:1], 0x60
	v_lshlrev_b64 v[2:3], 3, v[2:3]
	s_waitcnt lgkmcnt(0)
	s_delay_alu instid0(VALU_DEP_1) | instskip(NEXT) | instid1(VALU_DEP_2)
	v_add_co_u32 v2, vcc_lo, s4, v2
	v_add_co_ci_u32_e32 v3, vcc_lo, s5, v3, vcc_lo
	global_load_b64 v[2:3], v[2:3], off
	s_waitcnt vmcnt(0)
	v_sub_co_u32 v6, vcc_lo, v2, s19
	v_subrev_co_ci_u32_e32 v7, vcc_lo, 0, v3, vcc_lo
.LBB171_6:
	s_or_b32 exec_lo, exec_lo, s3
	v_cmp_lt_i64_e64 s3, s[6:7], 1
	s_delay_alu instid0(VALU_DEP_1)
	s_and_b32 vcc_lo, exec_lo, s3
	s_cbranch_vccnz .LBB171_34
; %bb.7:
	s_clause 0x1
	s_load_b64 s[10:11], s[0:1], 0x58
	s_load_b64 s[4:5], s[0:1], 0x68
	v_mbcnt_lo_u32_b32 v16, -1, 0
	v_mad_u64_u32 v[2:3], null, v1, s12, 0
	v_dual_mov_b32 v8, 0 :: v_dual_lshlrev_b32 v9, 4, v1
	s_delay_alu instid0(VALU_DEP_3)
	v_xor_b32_e32 v11, 2, v16
	s_mul_i32 s3, s12, s13
	s_mul_hi_u32 s9, s12, s12
	s_clause 0x2
	s_load_b64 s[14:15], s[0:1], 0x48
	s_load_b64 s[16:17], s[0:1], 0x38
	s_load_b32 s0, s[0:1], 0x0
	s_add_i32 s1, s9, s3
	v_cmp_gt_i32_e32 vcc_lo, 32, v11
	s_add_i32 s21, s1, s3
	v_lshl_or_b32 v36, v16, 2, 12
	s_mov_b32 s8, 0
	v_dual_mov_b32 v45, 1 :: v_dual_cndmask_b32 v12, v16, v11
	s_mov_b32 s9, s8
	s_mul_i32 s20, s12, s12
	s_waitcnt lgkmcnt(0)
	v_add_co_u32 v31, s1, s10, v9
	v_mad_u64_u32 v[9:10], null, v1, s13, v[3:4]
	v_xor_b32_e32 v3, 1, v16
	v_add_co_ci_u32_e64 v32, null, s11, 0, s1
	s_delay_alu instid0(VALU_DEP_2)
	v_cmp_gt_i32_e32 vcc_lo, 32, v3
	v_and_b32_e32 v10, 3, v0
	v_lshlrev_b32_e32 v0, 6, v30
	s_cmp_lg_u32 s0, 0
	v_cndmask_b32_e32 v13, v16, v3, vcc_lo
	v_mov_b32_e32 v3, v9
	s_delay_alu instid0(VALU_DEP_3)
	v_lshl_or_b32 v33, v1, 3, v0
	s_cselect_b32 s22, -1, 0
	s_sub_i32 s24, 0, s12
	v_lshlrev_b32_e32 v35, 2, v13
	v_lshlrev_b64 v[0:1], 4, v[2:3]
	v_xor_b32_e32 v2, 16, v16
	v_dual_mov_b32 v11, v8 :: v_dual_lshlrev_b32 v34, 2, v12
	v_mad_u64_u32 v[12:13], null, v10, s12, 0
	s_delay_alu instid0(VALU_DEP_4)
	v_add_co_u32 v37, vcc_lo, s10, v0
	v_add_co_ci_u32_e32 v38, vcc_lo, s11, v1, vcc_lo
	v_xor_b32_e32 v1, 8, v16
	v_cmp_gt_i32_e32 vcc_lo, 32, v2
	v_or_b32_e32 v0, 4, v10
	v_xor_b32_e32 v3, 4, v16
	v_or_b32_e32 v9, v33, v10
	s_mov_b32 s10, s8
	v_cndmask_b32_e32 v2, v16, v2, vcc_lo
	v_cmp_gt_i32_e32 vcc_lo, 32, v1
	v_mad_u64_u32 v[14:15], null, v0, s12, 0
	s_mov_b32 s11, s8
	v_lshlrev_b32_e32 v41, 4, v9
	v_cndmask_b32_e32 v1, v16, v1, vcc_lo
	v_cmp_gt_i32_e32 vcc_lo, 32, v3
	s_delay_alu instid0(VALU_DEP_2) | instskip(SKIP_4) | instid1(VALU_DEP_4)
	v_dual_mov_b32 v43, 0x7c :: v_dual_lshlrev_b32 v40, 2, v1
	v_cndmask_b32_e32 v3, v16, v3, vcc_lo
	v_mov_b32_e32 v1, v13
	v_dual_mov_b32 v2, v15 :: v_dual_lshlrev_b32 v39, 2, v2
	v_cmp_gt_u64_e32 vcc_lo, s[12:13], v[10:11]
	v_lshlrev_b32_e32 v42, 2, v3
	s_delay_alu instid0(VALU_DEP_3) | instskip(SKIP_4) | instid1(VALU_DEP_4)
	v_mad_u64_u32 v[15:16], null, v10, s13, v[1:2]
	v_mov_b32_e32 v1, v8
	v_mad_u64_u32 v[16:17], null, v0, s13, v[2:3]
	v_mov_b32_e32 v17, 0
	v_mov_b32_e32 v18, 0
	v_cmp_gt_u64_e64 s0, s[12:13], v[0:1]
	v_dual_mov_b32 v13, v15 :: v_dual_mov_b32 v0, s8
	v_or_b32_e32 v44, 64, v41
	v_mov_b32_e32 v15, v16
	v_mov_b32_e32 v1, s9
	s_delay_alu instid0(VALU_DEP_4) | instskip(SKIP_1) | instid1(VALU_DEP_4)
	v_lshlrev_b64 v[11:12], 4, v[12:13]
	v_dual_mov_b32 v2, s10 :: v_dual_mov_b32 v3, s11
	v_lshlrev_b64 v[13:14], 4, v[14:15]
	s_and_b32 s23, s2, vcc_lo
	s_and_b32 s9, s2, s0
	s_ashr_i32 s2, s13, 31
	s_branch .LBB171_11
.LBB171_8:                              ;   in Loop: Header=BB171_11 Depth=1
	v_dual_mov_b32 v22, s1 :: v_dual_mov_b32 v21, s0
.LBB171_9:                              ;   in Loop: Header=BB171_11 Depth=1
	s_or_b32 exec_lo, exec_lo, s10
.LBB171_10:                             ;   in Loop: Header=BB171_11 Depth=1
	s_delay_alu instid0(SALU_CYCLE_1) | instskip(SKIP_3) | instid1(VALU_DEP_1)
	s_or_b32 exec_lo, exec_lo, s3
	ds_bpermute_b32 v17, v39, v15
	ds_bpermute_b32 v18, v39, v16
	v_add_co_u32 v6, s0, v21, v6
	v_add_co_ci_u32_e64 v7, s0, v22, v7, s0
	s_waitcnt lgkmcnt(0)
	s_waitcnt_vscnt null, 0x0
	buffer_gl0_inv
	buffer_gl0_inv
	v_cmp_lt_i64_e32 vcc_lo, v[17:18], v[15:16]
	v_dual_cndmask_b32 v16, v16, v18 :: v_dual_cndmask_b32 v15, v15, v17
	ds_bpermute_b32 v18, v40, v16
	ds_bpermute_b32 v17, v40, v15
	s_waitcnt lgkmcnt(0)
	v_cmp_lt_i64_e32 vcc_lo, v[17:18], v[15:16]
	v_dual_cndmask_b32 v16, v16, v18 :: v_dual_cndmask_b32 v15, v15, v17
	ds_bpermute_b32 v18, v42, v16
	ds_bpermute_b32 v17, v42, v15
	s_waitcnt lgkmcnt(0)
	;; [unrolled: 5-line block ×4, first 2 shown]
	v_cmp_lt_i64_e32 vcc_lo, v[17:18], v[15:16]
	v_cndmask_b32_e32 v9, v16, v18, vcc_lo
	v_cndmask_b32_e32 v15, v15, v17, vcc_lo
	ds_bpermute_b32 v18, v43, v9
	ds_bpermute_b32 v17, v43, v15
	s_waitcnt lgkmcnt(0)
	v_cmp_le_i64_e32 vcc_lo, s[6:7], v[17:18]
	s_or_b32 s8, vcc_lo, s8
	s_delay_alu instid0(SALU_CYCLE_1)
	s_and_not1_b32 exec_lo, exec_lo, s8
	s_cbranch_execz .LBB171_34
.LBB171_11:                             ; =>This Loop Header: Depth=1
                                        ;     Child Loop BB171_14 Depth 2
	v_add_co_u32 v19, vcc_lo, v19, v10
	v_add_co_ci_u32_e32 v20, vcc_lo, 0, v20, vcc_lo
	v_dual_mov_b32 v16, s7 :: v_dual_mov_b32 v15, s6
	v_dual_mov_b32 v29, v5 :: v_dual_mov_b32 v28, v4
	s_mov_b32 s1, exec_lo
	ds_store_b8 v30, v8 offset:8192
	ds_store_b128 v41, v[0:3]
	ds_store_b128 v41, v[0:3] offset:64
	s_waitcnt lgkmcnt(0)
	buffer_gl0_inv
	v_cmpx_lt_i64_e64 v[19:20], v[4:5]
	s_cbranch_execz .LBB171_23
; %bb.12:                               ;   in Loop: Header=BB171_11 Depth=1
	v_lshlrev_b64 v[15:16], 4, v[19:20]
	v_lshlrev_b64 v[24:25], 3, v[19:20]
	v_mad_u64_u32 v[21:22], null, v17, s12, 0
	v_dual_mov_b32 v27, v5 :: v_dual_mov_b32 v26, v4
	s_delay_alu instid0(VALU_DEP_4)
	v_add_co_u32 v22, vcc_lo, s16, v15
	v_add_co_ci_u32_e32 v23, vcc_lo, s17, v16, vcc_lo
	v_add_co_u32 v24, vcc_lo, s14, v24
	v_add_co_ci_u32_e32 v25, vcc_lo, s15, v25, vcc_lo
	v_dual_mov_b32 v16, s7 :: v_dual_mov_b32 v15, s6
	s_mov_b32 s25, 0
	s_branch .LBB171_14
.LBB171_13:                             ;   in Loop: Header=BB171_14 Depth=2
	s_or_b32 exec_lo, exec_lo, s0
	v_add_co_u32 v19, s0, v19, 4
	s_delay_alu instid0(VALU_DEP_1) | instskip(SKIP_2) | instid1(VALU_DEP_2)
	v_add_co_ci_u32_e64 v20, s0, 0, v20, s0
	s_xor_b32 s3, vcc_lo, -1
	v_add_co_u32 v22, vcc_lo, v22, 64
	v_cmp_ge_i64_e64 s0, v[19:20], v[4:5]
	v_add_co_ci_u32_e32 v23, vcc_lo, 0, v23, vcc_lo
	v_add_co_u32 v24, vcc_lo, v24, 32
	v_add_co_ci_u32_e32 v25, vcc_lo, 0, v25, vcc_lo
	s_delay_alu instid0(VALU_DEP_4) | instskip(SKIP_2) | instid1(SALU_CYCLE_1)
	s_or_b32 s0, s3, s0
	v_dual_mov_b32 v26, v28 :: v_dual_mov_b32 v27, v29
	s_and_b32 s0, exec_lo, s0
	s_or_b32 s25, s0, s25
	s_delay_alu instid0(SALU_CYCLE_1)
	s_and_not1_b32 exec_lo, exec_lo, s25
	s_cbranch_execz .LBB171_22
.LBB171_14:                             ;   Parent Loop BB171_11 Depth=1
                                        ; =>  This Inner Loop Header: Depth=2
	global_load_b64 v[28:29], v[24:25], off
	s_mov_b32 s0, exec_lo
	s_waitcnt vmcnt(0)
	v_sub_co_u32 v46, vcc_lo, v28, s18
	v_subrev_co_ci_u32_e32 v47, vcc_lo, 0, v29, vcc_lo
                                        ; implicit-def: $vgpr28_vgpr29
	s_delay_alu instid0(VALU_DEP_1) | instskip(NEXT) | instid1(VALU_DEP_1)
	v_or_b32_e32 v9, s13, v47
	v_cmpx_ne_u64_e32 0, v[8:9]
	s_xor_b32 s26, exec_lo, s0
	s_cbranch_execz .LBB171_16
; %bb.15:                               ;   in Loop: Header=BB171_14 Depth=2
	s_add_u32 s10, s12, s2
	s_mov_b32 s3, s2
	s_addc_u32 s11, s13, s2
	s_delay_alu instid0(SALU_CYCLE_1) | instskip(NEXT) | instid1(SALU_CYCLE_1)
	s_xor_b64 s[10:11], s[10:11], s[2:3]
	v_cvt_f32_u32_e32 v9, s10
	v_cvt_f32_u32_e32 v28, s11
	s_sub_u32 s0, 0, s10
	s_subb_u32 s3, 0, s11
	s_delay_alu instid0(VALU_DEP_1) | instskip(NEXT) | instid1(VALU_DEP_1)
	v_fmac_f32_e32 v9, 0x4f800000, v28
	v_rcp_f32_e32 v9, v9
	s_waitcnt_depctr 0xfff
	v_mul_f32_e32 v9, 0x5f7ffffc, v9
	s_delay_alu instid0(VALU_DEP_1) | instskip(NEXT) | instid1(VALU_DEP_1)
	v_mul_f32_e32 v28, 0x2f800000, v9
	v_trunc_f32_e32 v28, v28
	s_delay_alu instid0(VALU_DEP_1) | instskip(SKIP_1) | instid1(VALU_DEP_2)
	v_fmac_f32_e32 v9, 0xcf800000, v28
	v_cvt_u32_f32_e32 v28, v28
	v_cvt_u32_f32_e32 v9, v9
	s_delay_alu instid0(VALU_DEP_2) | instskip(NEXT) | instid1(VALU_DEP_2)
	v_mul_lo_u32 v29, s0, v28
	v_mul_hi_u32 v48, s0, v9
	v_mul_lo_u32 v49, s3, v9
	s_delay_alu instid0(VALU_DEP_2) | instskip(SKIP_1) | instid1(VALU_DEP_2)
	v_add_nc_u32_e32 v29, v48, v29
	v_mul_lo_u32 v48, s0, v9
	v_add_nc_u32_e32 v29, v29, v49
	s_delay_alu instid0(VALU_DEP_2) | instskip(NEXT) | instid1(VALU_DEP_2)
	v_mul_hi_u32 v49, v9, v48
	v_mul_lo_u32 v50, v9, v29
	v_mul_hi_u32 v51, v9, v29
	v_mul_hi_u32 v52, v28, v48
	v_mul_lo_u32 v48, v28, v48
	v_mul_hi_u32 v53, v28, v29
	v_mul_lo_u32 v29, v28, v29
	v_add_co_u32 v49, vcc_lo, v49, v50
	v_add_co_ci_u32_e32 v50, vcc_lo, 0, v51, vcc_lo
	s_delay_alu instid0(VALU_DEP_2) | instskip(NEXT) | instid1(VALU_DEP_2)
	v_add_co_u32 v48, vcc_lo, v49, v48
	v_add_co_ci_u32_e32 v48, vcc_lo, v50, v52, vcc_lo
	v_add_co_ci_u32_e32 v49, vcc_lo, 0, v53, vcc_lo
	v_ashrrev_i32_e32 v52, 31, v47
	s_delay_alu instid0(VALU_DEP_3) | instskip(NEXT) | instid1(VALU_DEP_3)
	v_add_co_u32 v29, vcc_lo, v48, v29
	v_add_co_ci_u32_e32 v48, vcc_lo, 0, v49, vcc_lo
	s_delay_alu instid0(VALU_DEP_2) | instskip(NEXT) | instid1(VALU_DEP_2)
	v_add_co_u32 v9, vcc_lo, v9, v29
	v_add_co_ci_u32_e32 v28, vcc_lo, v28, v48, vcc_lo
	s_delay_alu instid0(VALU_DEP_2) | instskip(SKIP_1) | instid1(VALU_DEP_3)
	v_mul_hi_u32 v29, s0, v9
	v_mul_lo_u32 v49, s3, v9
	v_mul_lo_u32 v48, s0, v28
	s_delay_alu instid0(VALU_DEP_1) | instskip(SKIP_1) | instid1(VALU_DEP_2)
	v_add_nc_u32_e32 v29, v29, v48
	v_mul_lo_u32 v48, s0, v9
	v_add_nc_u32_e32 v29, v29, v49
	s_delay_alu instid0(VALU_DEP_2) | instskip(NEXT) | instid1(VALU_DEP_2)
	v_mul_hi_u32 v49, v9, v48
	v_mul_lo_u32 v50, v9, v29
	v_mul_hi_u32 v51, v9, v29
	v_mul_hi_u32 v53, v28, v48
	v_mul_lo_u32 v48, v28, v48
	v_mul_hi_u32 v54, v28, v29
	v_mul_lo_u32 v29, v28, v29
	v_add_co_u32 v49, vcc_lo, v49, v50
	v_add_co_ci_u32_e32 v50, vcc_lo, 0, v51, vcc_lo
	s_delay_alu instid0(VALU_DEP_2) | instskip(NEXT) | instid1(VALU_DEP_2)
	v_add_co_u32 v48, vcc_lo, v49, v48
	v_add_co_ci_u32_e32 v48, vcc_lo, v50, v53, vcc_lo
	v_add_co_ci_u32_e32 v49, vcc_lo, 0, v54, vcc_lo
	v_add_co_u32 v50, vcc_lo, v46, v52
	v_add_co_ci_u32_e32 v47, vcc_lo, v47, v52, vcc_lo
	s_delay_alu instid0(VALU_DEP_4) | instskip(NEXT) | instid1(VALU_DEP_4)
	v_add_co_u32 v29, vcc_lo, v48, v29
	v_add_co_ci_u32_e32 v48, vcc_lo, 0, v49, vcc_lo
	s_delay_alu instid0(VALU_DEP_4) | instskip(NEXT) | instid1(VALU_DEP_3)
	v_xor_b32_e32 v51, v50, v52
	v_add_co_u32 v9, vcc_lo, v9, v29
	s_delay_alu instid0(VALU_DEP_3) | instskip(SKIP_1) | instid1(VALU_DEP_3)
	v_add_co_ci_u32_e32 v53, vcc_lo, v28, v48, vcc_lo
	v_xor_b32_e32 v54, v47, v52
	v_mul_hi_u32 v55, v51, v9
	s_delay_alu instid0(VALU_DEP_3) | instskip(NEXT) | instid1(VALU_DEP_3)
	v_mad_u64_u32 v[28:29], null, v51, v53, 0
	v_mad_u64_u32 v[47:48], null, v54, v9, 0
	;; [unrolled: 1-line block ×3, first 2 shown]
	s_delay_alu instid0(VALU_DEP_3) | instskip(NEXT) | instid1(VALU_DEP_4)
	v_add_co_u32 v9, vcc_lo, v55, v28
	v_add_co_ci_u32_e32 v28, vcc_lo, 0, v29, vcc_lo
	s_delay_alu instid0(VALU_DEP_2) | instskip(NEXT) | instid1(VALU_DEP_2)
	v_add_co_u32 v9, vcc_lo, v9, v47
	v_add_co_ci_u32_e32 v9, vcc_lo, v28, v48, vcc_lo
	v_add_co_ci_u32_e32 v28, vcc_lo, 0, v50, vcc_lo
	s_delay_alu instid0(VALU_DEP_2) | instskip(NEXT) | instid1(VALU_DEP_2)
	v_add_co_u32 v9, vcc_lo, v9, v49
	v_add_co_ci_u32_e32 v47, vcc_lo, 0, v28, vcc_lo
	s_delay_alu instid0(VALU_DEP_2) | instskip(SKIP_1) | instid1(VALU_DEP_3)
	v_mul_lo_u32 v48, s11, v9
	v_mad_u64_u32 v[28:29], null, s10, v9, 0
	v_mul_lo_u32 v49, s10, v47
	s_delay_alu instid0(VALU_DEP_2) | instskip(NEXT) | instid1(VALU_DEP_2)
	v_sub_co_u32 v28, vcc_lo, v51, v28
	v_add3_u32 v29, v29, v49, v48
	s_delay_alu instid0(VALU_DEP_1) | instskip(NEXT) | instid1(VALU_DEP_1)
	v_sub_nc_u32_e32 v48, v54, v29
	v_subrev_co_ci_u32_e64 v48, s0, s11, v48, vcc_lo
	v_add_co_u32 v49, s0, v9, 2
	s_delay_alu instid0(VALU_DEP_1) | instskip(SKIP_3) | instid1(VALU_DEP_3)
	v_add_co_ci_u32_e64 v50, s0, 0, v47, s0
	v_sub_co_u32 v51, s0, v28, s10
	v_sub_co_ci_u32_e32 v29, vcc_lo, v54, v29, vcc_lo
	v_subrev_co_ci_u32_e64 v48, s0, 0, v48, s0
	v_cmp_le_u32_e32 vcc_lo, s10, v51
	s_delay_alu instid0(VALU_DEP_3) | instskip(SKIP_1) | instid1(VALU_DEP_4)
	v_cmp_eq_u32_e64 s0, s11, v29
	v_cndmask_b32_e64 v51, 0, -1, vcc_lo
	v_cmp_le_u32_e32 vcc_lo, s11, v48
	v_cndmask_b32_e64 v53, 0, -1, vcc_lo
	v_cmp_le_u32_e32 vcc_lo, s10, v28
	;; [unrolled: 2-line block ×3, first 2 shown]
	v_cndmask_b32_e64 v54, 0, -1, vcc_lo
	v_cmp_eq_u32_e32 vcc_lo, s11, v48
	s_delay_alu instid0(VALU_DEP_2) | instskip(SKIP_3) | instid1(VALU_DEP_3)
	v_cndmask_b32_e64 v28, v54, v28, s0
	v_cndmask_b32_e32 v48, v53, v51, vcc_lo
	v_add_co_u32 v51, vcc_lo, v9, 1
	v_add_co_ci_u32_e32 v53, vcc_lo, 0, v47, vcc_lo
	v_cmp_ne_u32_e32 vcc_lo, 0, v48
	s_delay_alu instid0(VALU_DEP_2) | instskip(SKIP_2) | instid1(VALU_DEP_3)
	v_dual_cndmask_b32 v48, v51, v49 :: v_dual_cndmask_b32 v29, v53, v50
	v_cmp_ne_u32_e32 vcc_lo, 0, v28
	v_xor_b32_e32 v49, s2, v52
	v_dual_cndmask_b32 v28, v47, v29 :: v_dual_cndmask_b32 v9, v9, v48
	s_delay_alu instid0(VALU_DEP_1) | instskip(NEXT) | instid1(VALU_DEP_2)
	v_xor_b32_e32 v29, v28, v49
	v_xor_b32_e32 v9, v9, v49
	s_delay_alu instid0(VALU_DEP_1) | instskip(NEXT) | instid1(VALU_DEP_3)
	v_sub_co_u32 v28, vcc_lo, v9, v49
	v_sub_co_ci_u32_e32 v29, vcc_lo, v29, v49, vcc_lo
.LBB171_16:                             ;   in Loop: Header=BB171_14 Depth=2
	s_and_not1_saveexec_b32 s0, s26
	s_cbranch_execz .LBB171_18
; %bb.17:                               ;   in Loop: Header=BB171_14 Depth=2
	v_cvt_f32_u32_e32 v9, s12
	s_delay_alu instid0(VALU_DEP_1) | instskip(SKIP_2) | instid1(VALU_DEP_1)
	v_rcp_iflag_f32_e32 v9, v9
	s_waitcnt_depctr 0xfff
	v_mul_f32_e32 v9, 0x4f7ffffe, v9
	v_cvt_u32_f32_e32 v9, v9
	s_delay_alu instid0(VALU_DEP_1) | instskip(NEXT) | instid1(VALU_DEP_1)
	v_mul_lo_u32 v28, s24, v9
	v_mul_hi_u32 v28, v9, v28
	s_delay_alu instid0(VALU_DEP_1) | instskip(NEXT) | instid1(VALU_DEP_1)
	v_add_nc_u32_e32 v9, v9, v28
	v_mul_hi_u32 v9, v46, v9
	s_delay_alu instid0(VALU_DEP_1) | instskip(SKIP_1) | instid1(VALU_DEP_2)
	v_mul_lo_u32 v28, v9, s12
	v_add_nc_u32_e32 v29, 1, v9
	v_sub_nc_u32_e32 v28, v46, v28
	s_delay_alu instid0(VALU_DEP_1) | instskip(SKIP_1) | instid1(VALU_DEP_2)
	v_subrev_nc_u32_e32 v47, s12, v28
	v_cmp_le_u32_e32 vcc_lo, s12, v28
	v_dual_cndmask_b32 v28, v28, v47 :: v_dual_cndmask_b32 v9, v9, v29
	s_delay_alu instid0(VALU_DEP_1) | instskip(NEXT) | instid1(VALU_DEP_2)
	v_cmp_le_u32_e32 vcc_lo, s12, v28
	v_add_nc_u32_e32 v29, 1, v9
	s_delay_alu instid0(VALU_DEP_1)
	v_dual_cndmask_b32 v28, v9, v29 :: v_dual_mov_b32 v29, v8
.LBB171_18:                             ;   in Loop: Header=BB171_14 Depth=2
	s_or_b32 exec_lo, exec_lo, s0
	s_delay_alu instid0(VALU_DEP_1)
	v_cmp_eq_u64_e32 vcc_lo, v[28:29], v[17:18]
	s_mov_b32 s3, exec_lo
	v_cmpx_ne_u64_e64 v[28:29], v[17:18]
	s_xor_b32 s3, exec_lo, s3
; %bb.19:                               ;   in Loop: Header=BB171_14 Depth=2
	v_cmp_lt_i64_e64 s0, v[28:29], v[15:16]
                                        ; implicit-def: $vgpr46
                                        ; implicit-def: $vgpr26_vgpr27
	s_delay_alu instid0(VALU_DEP_1)
	v_cndmask_b32_e64 v16, v16, v29, s0
	v_cndmask_b32_e64 v15, v15, v28, s0
; %bb.20:                               ;   in Loop: Header=BB171_14 Depth=2
	s_or_saveexec_b32 s0, s3
	v_dual_mov_b32 v29, v20 :: v_dual_mov_b32 v28, v19
	s_xor_b32 exec_lo, exec_lo, s0
	s_cbranch_execz .LBB171_13
; %bb.21:                               ;   in Loop: Header=BB171_14 Depth=2
	global_load_b128 v[47:50], v[22:23], off
	v_sub_nc_u32_e32 v9, v46, v21
	v_dual_mov_b32 v29, v27 :: v_dual_mov_b32 v28, v26
	s_delay_alu instid0(VALU_DEP_2)
	v_add_lshl_u32 v9, v33, v9, 4
	ds_store_b8 v30, v45 offset:8192
	s_waitcnt vmcnt(0)
	ds_store_2addr_b64 v9, v[47:48], v[49:50] offset1:1
	s_branch .LBB171_13
.LBB171_22:                             ;   in Loop: Header=BB171_11 Depth=1
	s_or_b32 exec_lo, exec_lo, s25
.LBB171_23:                             ;   in Loop: Header=BB171_11 Depth=1
	s_delay_alu instid0(SALU_CYCLE_1)
	s_or_b32 exec_lo, exec_lo, s1
	ds_bpermute_b32 v19, v34, v28
	ds_bpermute_b32 v20, v34, v29
	s_waitcnt lgkmcnt(0)
	buffer_gl0_inv
	ds_load_u8 v9, v30 offset:8192
	s_mov_b32 s3, exec_lo
	v_cmp_lt_i64_e32 vcc_lo, v[19:20], v[28:29]
	s_waitcnt lgkmcnt(0)
	v_dual_cndmask_b32 v20, v29, v20 :: v_dual_and_b32 v9, 1, v9
	v_cndmask_b32_e32 v19, v28, v19, vcc_lo
	ds_bpermute_b32 v22, v35, v20
	ds_bpermute_b32 v21, v35, v19
	s_waitcnt lgkmcnt(0)
	v_cmp_lt_i64_e32 vcc_lo, v[21:22], v[19:20]
	v_dual_cndmask_b32 v20, v20, v22 :: v_dual_cndmask_b32 v19, v19, v21
	v_mov_b32_e32 v21, 0
	v_mov_b32_e32 v22, 0
	ds_bpermute_b32 v20, v36, v20
	ds_bpermute_b32 v19, v36, v19
	v_cmpx_eq_u32_e32 1, v9
	s_cbranch_execz .LBB171_10
; %bb.24:                               ;   in Loop: Header=BB171_11 Depth=1
	v_mul_lo_u32 v9, s21, v6
	v_mul_lo_u32 v25, s20, v7
	v_mad_u64_u32 v[21:22], null, s20, v6, 0
	v_lshlrev_b64 v[23:24], 3, v[6:7]
	s_delay_alu instid0(VALU_DEP_2) | instskip(SKIP_2) | instid1(VALU_DEP_3)
	v_add3_u32 v22, v22, v25, v9
	v_add_co_u32 v25, vcc_lo, v17, s19
	v_add_co_ci_u32_e32 v26, vcc_lo, 0, v18, vcc_lo
	v_lshlrev_b64 v[21:22], 4, v[21:22]
	v_add_co_u32 v27, vcc_lo, s4, v23
	v_add_co_ci_u32_e32 v28, vcc_lo, s5, v24, vcc_lo
	s_delay_alu instid0(VALU_DEP_3) | instskip(NEXT) | instid1(VALU_DEP_4)
	v_add_co_u32 v18, vcc_lo, v31, v21
	v_add_co_ci_u32_e32 v23, vcc_lo, v32, v22, vcc_lo
	v_add_co_u32 v9, vcc_lo, v37, v21
	v_add_co_ci_u32_e32 v17, vcc_lo, v38, v22, vcc_lo
	global_store_b64 v[27:28], v[25:26], off
	s_and_saveexec_b32 s0, s23
	s_cbranch_execz .LBB171_28
; %bb.25:                               ;   in Loop: Header=BB171_11 Depth=1
	s_and_b32 vcc_lo, exec_lo, s22
	s_cbranch_vccz .LBB171_31
; %bb.26:                               ;   in Loop: Header=BB171_11 Depth=1
	ds_load_2addr_b64 v[24:27], v41 offset1:1
	v_add_co_u32 v21, vcc_lo, v18, v11
	v_add_co_ci_u32_e32 v22, vcc_lo, v23, v12, vcc_lo
	s_waitcnt lgkmcnt(0)
	global_store_b128 v[21:22], v[24:27], off
	s_cbranch_execnz .LBB171_28
.LBB171_27:                             ;   in Loop: Header=BB171_11 Depth=1
	ds_load_2addr_b64 v[24:27], v41 offset1:1
	v_lshlrev_b32_e32 v21, 4, v10
	s_delay_alu instid0(VALU_DEP_1)
	v_add_co_u32 v21, vcc_lo, v9, v21
	v_add_co_ci_u32_e32 v22, vcc_lo, 0, v17, vcc_lo
	s_waitcnt lgkmcnt(0)
	global_store_b128 v[21:22], v[24:27], off
.LBB171_28:                             ;   in Loop: Header=BB171_11 Depth=1
	s_or_b32 exec_lo, exec_lo, s0
	v_mov_b32_e32 v21, 1
	v_mov_b32_e32 v22, 0
	s_and_saveexec_b32 s10, s9
	s_cbranch_execz .LBB171_9
; %bb.29:                               ;   in Loop: Header=BB171_11 Depth=1
	s_and_not1_b32 vcc_lo, exec_lo, s22
	s_cbranch_vccnz .LBB171_32
; %bb.30:                               ;   in Loop: Header=BB171_11 Depth=1
	ds_load_2addr_b64 v[24:27], v44 offset1:1
	v_add_co_u32 v21, vcc_lo, v18, v13
	v_add_co_ci_u32_e32 v22, vcc_lo, v23, v14, vcc_lo
	s_mov_b64 s[0:1], 1
	s_waitcnt lgkmcnt(0)
	global_store_b128 v[21:22], v[24:27], off
	s_cbranch_execnz .LBB171_8
	s_branch .LBB171_33
.LBB171_31:                             ;   in Loop: Header=BB171_11 Depth=1
	s_branch .LBB171_27
.LBB171_32:                             ;   in Loop: Header=BB171_11 Depth=1
                                        ; implicit-def: $sgpr0_sgpr1
.LBB171_33:                             ;   in Loop: Header=BB171_11 Depth=1
	ds_load_2addr_b64 v[21:24], v44 offset1:1
	v_lshlrev_b32_e32 v18, 4, v10
	s_mov_b64 s[0:1], 1
	s_delay_alu instid0(VALU_DEP_1)
	v_add_co_u32 v25, vcc_lo, v9, v18
	v_add_co_ci_u32_e32 v26, vcc_lo, 0, v17, vcc_lo
	s_waitcnt lgkmcnt(0)
	global_store_b128 v[25:26], v[21:24], off offset:64
	s_branch .LBB171_8
.LBB171_34:
	s_endpgm
	.section	.rodata,"a",@progbits
	.p2align	6, 0x0
	.amdhsa_kernel _ZN9rocsparseL42csr2bsr_wavefront_per_row_multipass_kernelILj256ELj32ELj8E21rocsparse_complex_numIdEllEEv20rocsparse_direction_T4_S4_S4_S4_S4_21rocsparse_index_base_PKT2_PKT3_PKS4_S5_PS6_PS9_PS4_
		.amdhsa_group_segment_fixed_size 8200
		.amdhsa_private_segment_fixed_size 0
		.amdhsa_kernarg_size 112
		.amdhsa_user_sgpr_count 15
		.amdhsa_user_sgpr_dispatch_ptr 0
		.amdhsa_user_sgpr_queue_ptr 0
		.amdhsa_user_sgpr_kernarg_segment_ptr 1
		.amdhsa_user_sgpr_dispatch_id 0
		.amdhsa_user_sgpr_private_segment_size 0
		.amdhsa_wavefront_size32 1
		.amdhsa_uses_dynamic_stack 0
		.amdhsa_enable_private_segment 0
		.amdhsa_system_sgpr_workgroup_id_x 1
		.amdhsa_system_sgpr_workgroup_id_y 0
		.amdhsa_system_sgpr_workgroup_id_z 0
		.amdhsa_system_sgpr_workgroup_info 0
		.amdhsa_system_vgpr_workitem_id 0
		.amdhsa_next_free_vgpr 56
		.amdhsa_next_free_sgpr 27
		.amdhsa_reserve_vcc 1
		.amdhsa_float_round_mode_32 0
		.amdhsa_float_round_mode_16_64 0
		.amdhsa_float_denorm_mode_32 3
		.amdhsa_float_denorm_mode_16_64 3
		.amdhsa_dx10_clamp 1
		.amdhsa_ieee_mode 1
		.amdhsa_fp16_overflow 0
		.amdhsa_workgroup_processor_mode 1
		.amdhsa_memory_ordered 1
		.amdhsa_forward_progress 0
		.amdhsa_shared_vgpr_count 0
		.amdhsa_exception_fp_ieee_invalid_op 0
		.amdhsa_exception_fp_denorm_src 0
		.amdhsa_exception_fp_ieee_div_zero 0
		.amdhsa_exception_fp_ieee_overflow 0
		.amdhsa_exception_fp_ieee_underflow 0
		.amdhsa_exception_fp_ieee_inexact 0
		.amdhsa_exception_int_div_zero 0
	.end_amdhsa_kernel
	.section	.text._ZN9rocsparseL42csr2bsr_wavefront_per_row_multipass_kernelILj256ELj32ELj8E21rocsparse_complex_numIdEllEEv20rocsparse_direction_T4_S4_S4_S4_S4_21rocsparse_index_base_PKT2_PKT3_PKS4_S5_PS6_PS9_PS4_,"axG",@progbits,_ZN9rocsparseL42csr2bsr_wavefront_per_row_multipass_kernelILj256ELj32ELj8E21rocsparse_complex_numIdEllEEv20rocsparse_direction_T4_S4_S4_S4_S4_21rocsparse_index_base_PKT2_PKT3_PKS4_S5_PS6_PS9_PS4_,comdat
.Lfunc_end171:
	.size	_ZN9rocsparseL42csr2bsr_wavefront_per_row_multipass_kernelILj256ELj32ELj8E21rocsparse_complex_numIdEllEEv20rocsparse_direction_T4_S4_S4_S4_S4_21rocsparse_index_base_PKT2_PKT3_PKS4_S5_PS6_PS9_PS4_, .Lfunc_end171-_ZN9rocsparseL42csr2bsr_wavefront_per_row_multipass_kernelILj256ELj32ELj8E21rocsparse_complex_numIdEllEEv20rocsparse_direction_T4_S4_S4_S4_S4_21rocsparse_index_base_PKT2_PKT3_PKS4_S5_PS6_PS9_PS4_
                                        ; -- End function
	.section	.AMDGPU.csdata,"",@progbits
; Kernel info:
; codeLenInByte = 2972
; NumSgprs: 29
; NumVgprs: 56
; ScratchSize: 0
; MemoryBound: 0
; FloatMode: 240
; IeeeMode: 1
; LDSByteSize: 8200 bytes/workgroup (compile time only)
; SGPRBlocks: 3
; VGPRBlocks: 6
; NumSGPRsForWavesPerEU: 29
; NumVGPRsForWavesPerEU: 56
; Occupancy: 16
; WaveLimiterHint : 0
; COMPUTE_PGM_RSRC2:SCRATCH_EN: 0
; COMPUTE_PGM_RSRC2:USER_SGPR: 15
; COMPUTE_PGM_RSRC2:TRAP_HANDLER: 0
; COMPUTE_PGM_RSRC2:TGID_X_EN: 1
; COMPUTE_PGM_RSRC2:TGID_Y_EN: 0
; COMPUTE_PGM_RSRC2:TGID_Z_EN: 0
; COMPUTE_PGM_RSRC2:TIDIG_COMP_CNT: 0
	.section	.text._ZN9rocsparseL42csr2bsr_wavefront_per_row_multipass_kernelILj256ELj64ELj16E21rocsparse_complex_numIdEllEEv20rocsparse_direction_T4_S4_S4_S4_S4_21rocsparse_index_base_PKT2_PKT3_PKS4_S5_PS6_PS9_PS4_,"axG",@progbits,_ZN9rocsparseL42csr2bsr_wavefront_per_row_multipass_kernelILj256ELj64ELj16E21rocsparse_complex_numIdEllEEv20rocsparse_direction_T4_S4_S4_S4_S4_21rocsparse_index_base_PKT2_PKT3_PKS4_S5_PS6_PS9_PS4_,comdat
	.globl	_ZN9rocsparseL42csr2bsr_wavefront_per_row_multipass_kernelILj256ELj64ELj16E21rocsparse_complex_numIdEllEEv20rocsparse_direction_T4_S4_S4_S4_S4_21rocsparse_index_base_PKT2_PKT3_PKS4_S5_PS6_PS9_PS4_ ; -- Begin function _ZN9rocsparseL42csr2bsr_wavefront_per_row_multipass_kernelILj256ELj64ELj16E21rocsparse_complex_numIdEllEEv20rocsparse_direction_T4_S4_S4_S4_S4_21rocsparse_index_base_PKT2_PKT3_PKS4_S5_PS6_PS9_PS4_
	.p2align	8
	.type	_ZN9rocsparseL42csr2bsr_wavefront_per_row_multipass_kernelILj256ELj64ELj16E21rocsparse_complex_numIdEllEEv20rocsparse_direction_T4_S4_S4_S4_S4_21rocsparse_index_base_PKT2_PKT3_PKS4_S5_PS6_PS9_PS4_,@function
_ZN9rocsparseL42csr2bsr_wavefront_per_row_multipass_kernelILj256ELj64ELj16E21rocsparse_complex_numIdEllEEv20rocsparse_direction_T4_S4_S4_S4_S4_21rocsparse_index_base_PKT2_PKT3_PKS4_S5_PS6_PS9_PS4_: ; @_ZN9rocsparseL42csr2bsr_wavefront_per_row_multipass_kernelILj256ELj64ELj16E21rocsparse_complex_numIdEllEEv20rocsparse_direction_T4_S4_S4_S4_S4_21rocsparse_index_base_PKT2_PKT3_PKS4_S5_PS6_PS9_PS4_
; %bb.0:
	s_load_b64 s[12:13], s[0:1], 0x28
	v_lshrrev_b32_e32 v34, 6, v0
	s_mov_b32 s8, s15
	s_ashr_i32 s9, s15, 31
	s_clause 0x1
	s_load_b64 s[14:15], s[0:1], 0x8
	s_load_b128 s[4:7], s[0:1], 0x18
	s_lshl_b64 s[2:3], s[8:9], 2
	v_mov_b32_e32 v2, 0
	v_or_b32_e32 v3, s2, v34
	v_bfe_u32 v1, v0, 2, 4
	s_clause 0x1
	s_load_b32 s18, s[0:1], 0x30
	s_load_b64 s[10:11], s[0:1], 0x40
	s_waitcnt lgkmcnt(0)
	v_mul_lo_u32 v4, v3, s13
	v_mad_u64_u32 v[6:7], null, v3, s12, v[1:2]
	s_mul_i32 s2, s3, s12
	s_delay_alu instid0(VALU_DEP_1) | instid1(SALU_CYCLE_1)
	v_add3_u32 v7, s2, v7, v4
	v_mov_b32_e32 v4, 0
	v_mov_b32_e32 v5, 0
	v_cmp_gt_i64_e64 s2, s[12:13], v[1:2]
	s_delay_alu instid0(VALU_DEP_4) | instskip(NEXT) | instid1(VALU_DEP_3)
	v_cmp_gt_i64_e32 vcc_lo, s[14:15], v[6:7]
	v_dual_mov_b32 v22, v5 :: v_dual_mov_b32 v21, v4
	s_delay_alu instid0(VALU_DEP_3) | instskip(NEXT) | instid1(SALU_CYCLE_1)
	s_and_b32 s3, s2, vcc_lo
	s_and_saveexec_b32 s9, s3
	s_cbranch_execz .LBB172_2
; %bb.1:
	v_lshlrev_b64 v[2:3], 3, v[6:7]
	s_delay_alu instid0(VALU_DEP_1) | instskip(NEXT) | instid1(VALU_DEP_2)
	v_add_co_u32 v2, vcc_lo, s10, v2
	v_add_co_ci_u32_e32 v3, vcc_lo, s11, v3, vcc_lo
	global_load_b64 v[2:3], v[2:3], off
	s_waitcnt vmcnt(0)
	v_sub_co_u32 v21, vcc_lo, v2, s18
	v_subrev_co_ci_u32_e32 v22, vcc_lo, 0, v3, vcc_lo
.LBB172_2:
	s_or_b32 exec_lo, exec_lo, s9
	s_and_saveexec_b32 s9, s3
	s_cbranch_execz .LBB172_4
; %bb.3:
	v_lshlrev_b64 v[2:3], 3, v[6:7]
	s_delay_alu instid0(VALU_DEP_1) | instskip(NEXT) | instid1(VALU_DEP_2)
	v_add_co_u32 v2, vcc_lo, s10, v2
	v_add_co_ci_u32_e32 v3, vcc_lo, s11, v3, vcc_lo
	global_load_b64 v[2:3], v[2:3], off offset:8
	s_waitcnt vmcnt(0)
	v_sub_co_u32 v4, vcc_lo, v2, s18
	v_subrev_co_ci_u32_e32 v5, vcc_lo, 0, v3, vcc_lo
.LBB172_4:
	s_or_b32 exec_lo, exec_lo, s9
	s_load_b32 s19, s[0:1], 0x50
	v_dual_mov_b32 v3, 0 :: v_dual_mov_b32 v6, 0
	v_lshl_or_b32 v2, s8, 2, v34
	v_mov_b32_e32 v7, 0
	s_mov_b32 s3, exec_lo
	s_delay_alu instid0(VALU_DEP_2)
	v_cmpx_gt_i64_e64 s[4:5], v[2:3]
	s_cbranch_execz .LBB172_6
; %bb.5:
	s_load_b64 s[4:5], s[0:1], 0x60
	v_lshlrev_b64 v[2:3], 3, v[2:3]
	s_waitcnt lgkmcnt(0)
	s_delay_alu instid0(VALU_DEP_1) | instskip(NEXT) | instid1(VALU_DEP_2)
	v_add_co_u32 v2, vcc_lo, s4, v2
	v_add_co_ci_u32_e32 v3, vcc_lo, s5, v3, vcc_lo
	global_load_b64 v[2:3], v[2:3], off
	s_waitcnt vmcnt(0)
	v_sub_co_u32 v6, vcc_lo, v2, s19
	v_subrev_co_ci_u32_e32 v7, vcc_lo, 0, v3, vcc_lo
.LBB172_6:
	s_or_b32 exec_lo, exec_lo, s3
	v_cmp_lt_i64_e64 s3, s[6:7], 1
	s_delay_alu instid0(VALU_DEP_1)
	s_and_b32 vcc_lo, exec_lo, s3
	s_cbranch_vccnz .LBB172_44
; %bb.7:
	v_mbcnt_lo_u32_b32 v12, -1, 0
	v_mad_u64_u32 v[2:3], null, v1, s12, 0
	s_load_b64 s[10:11], s[0:1], 0x58
	v_dual_mov_b32 v8, 0 :: v_dual_lshlrev_b32 v11, 4, v1
	s_delay_alu instid0(VALU_DEP_3) | instskip(SKIP_2) | instid1(VALU_DEP_4)
	v_xor_b32_e32 v13, 2, v12
	v_xor_b32_e32 v14, 1, v12
	s_mul_i32 s3, s12, s13
	v_mad_u64_u32 v[9:10], null, v1, s13, v[3:4]
	s_delay_alu instid0(VALU_DEP_3) | instskip(SKIP_4) | instid1(VALU_DEP_4)
	v_cmp_gt_i32_e32 vcc_lo, 32, v13
	v_and_b32_e32 v10, 3, v0
	s_mul_hi_u32 s4, s12, s12
	v_lshl_or_b32 v37, v34, 8, v11
	s_add_i32 s8, s4, s3
	v_dual_cndmask_b32 v0, v12, v13 :: v_dual_mov_b32 v3, v9
	v_cmp_gt_i32_e32 vcc_lo, 32, v14
	s_clause 0x3
	s_load_b64 s[4:5], s[0:1], 0x68
	s_load_b64 s[14:15], s[0:1], 0x48
	;; [unrolled: 1-line block ×3, first 2 shown]
	s_load_b32 s0, s[0:1], 0x0
	v_lshlrev_b32_e32 v38, 2, v0
	s_add_i32 s20, s8, s3
	v_cndmask_b32_e32 v1, v12, v14, vcc_lo
	s_waitcnt lgkmcnt(0)
	v_add_co_u32 v35, s1, s10, v11
	v_mov_b32_e32 v11, v8
	v_or_b32_e32 v9, v37, v10
	v_lshlrev_b32_e32 v39, 2, v1
	v_lshlrev_b64 v[0:1], 4, v[2:3]
	v_or_b32_e32 v2, 32, v12
	v_xor_b32_e32 v3, 4, v12
	v_or_b32_e32 v16, 12, v10
	s_mov_b32 s8, 0
	v_lshl_or_b32 v40, v12, 2, 12
	v_add_co_u32 v41, vcc_lo, s10, v0
	v_add_co_ci_u32_e32 v42, vcc_lo, s11, v1, vcc_lo
	v_xor_b32_e32 v0, 16, v12
	v_cmp_gt_i32_e32 vcc_lo, 32, v2
	v_lshlrev_b32_e32 v44, 4, v9
	v_mad_u64_u32 v[25:26], null, v16, s12, 0
	v_add_co_ci_u32_e64 v36, null, s11, 0, s1
	v_cndmask_b32_e32 v1, v12, v2, vcc_lo
	v_xor_b32_e32 v2, 8, v12
	v_cmp_gt_i32_e32 vcc_lo, 32, v0
	s_mov_b32 s9, s8
	s_mov_b32 s10, s8
	v_lshlrev_b32_e32 v43, 2, v1
	s_mov_b32 s11, s8
	v_cndmask_b32_e32 v0, v12, v0, vcc_lo
	v_cmp_gt_i32_e32 vcc_lo, 32, v2
	v_mov_b32_e32 v17, v8
	s_cmp_lg_u32 s0, 0
	v_bfrev_b32_e32 v48, 0.5
	v_or_b32_e32 v49, 64, v44
	v_cndmask_b32_e32 v2, v12, v2, vcc_lo
	v_cmp_gt_i32_e32 vcc_lo, 32, v3
	v_cmp_gt_u64_e64 s3, s[12:13], v[16:17]
	v_or_b32_e32 v50, 0x80, v44
	v_or_b32_e32 v51, 0xc0, v44
	v_dual_cndmask_b32 v3, v12, v3 :: v_dual_lshlrev_b32 v46, 2, v2
	v_or_b32_e32 v2, 8, v10
	v_mad_u64_u32 v[12:13], null, v10, s12, 0
	v_cmp_gt_u64_e32 vcc_lo, s[12:13], v[10:11]
	v_mov_b32_e32 v11, v26
	s_delay_alu instid0(VALU_DEP_4)
	v_mad_u64_u32 v[18:19], null, v2, s12, 0
	v_lshlrev_b32_e32 v47, 2, v3
	s_mul_i32 s21, s12, s12
	v_mov_b32_e32 v1, v13
	s_cselect_b32 s22, -1, 0
	s_and_b32 s23, s2, vcc_lo
	s_sub_i32 s26, 0, s12
	s_delay_alu instid0(VALU_DEP_3) | instskip(SKIP_2) | instid1(VALU_DEP_3)
	v_mov_b32_e32 v9, v19
	v_mad_u64_u32 v[23:24], null, v10, s13, v[1:2]
	v_dual_mov_b32 v1, v8 :: v_dual_mov_b32 v52, 1
	v_mad_u64_u32 v[26:27], null, v2, s13, v[9:10]
	v_mad_u64_u32 v[27:28], null, v16, s13, v[11:12]
	v_lshlrev_b32_e32 v45, 2, v0
	v_or_b32_e32 v0, 4, v10
	v_mov_b32_e32 v13, v23
	v_mov_b32_e32 v23, 0
	;; [unrolled: 1-line block ×3, first 2 shown]
	s_delay_alu instid0(VALU_DEP_4) | instskip(SKIP_2) | instid1(VALU_DEP_3)
	v_mad_u64_u32 v[14:15], null, v0, s12, 0
	v_cmp_gt_u64_e64 s0, s[12:13], v[0:1]
	v_lshlrev_b64 v[11:12], 4, v[12:13]
	v_mov_b32_e32 v3, v15
	s_delay_alu instid0(VALU_DEP_3) | instskip(NEXT) | instid1(VALU_DEP_1)
	s_and_b32 s24, s2, s0
	v_mad_u64_u32 v[19:20], null, v0, s13, v[3:4]
	v_mov_b32_e32 v3, v8
	s_delay_alu instid0(VALU_DEP_1) | instskip(NEXT) | instid1(VALU_DEP_3)
	v_cmp_gt_u64_e64 s1, s[12:13], v[2:3]
	v_mov_b32_e32 v15, v19
	v_dual_mov_b32 v19, v26 :: v_dual_mov_b32 v26, v27
	v_dual_mov_b32 v0, s8 :: v_dual_mov_b32 v1, s9
	s_delay_alu instid0(VALU_DEP_3) | instskip(NEXT) | instid1(VALU_DEP_3)
	v_lshlrev_b64 v[13:14], 4, v[14:15]
	v_lshlrev_b64 v[15:16], 4, v[18:19]
	s_delay_alu instid0(VALU_DEP_4)
	v_lshlrev_b64 v[17:18], 4, v[25:26]
	v_dual_mov_b32 v2, s10 :: v_dual_mov_b32 v3, s11
	s_and_b32 s25, s2, s1
	s_and_b32 s9, s2, s3
	s_ashr_i32 s2, s13, 31
	s_branch .LBB172_11
.LBB172_8:                              ;   in Loop: Header=BB172_11 Depth=1
	v_dual_mov_b32 v26, s1 :: v_dual_mov_b32 v25, s0
.LBB172_9:                              ;   in Loop: Header=BB172_11 Depth=1
	s_or_b32 exec_lo, exec_lo, s10
.LBB172_10:                             ;   in Loop: Header=BB172_11 Depth=1
	s_delay_alu instid0(SALU_CYCLE_1) | instskip(SKIP_3) | instid1(VALU_DEP_1)
	s_or_b32 exec_lo, exec_lo, s3
	ds_bpermute_b32 v23, v43, v19
	ds_bpermute_b32 v24, v43, v20
	v_add_co_u32 v6, s0, v25, v6
	v_add_co_ci_u32_e64 v7, s0, v26, v7, s0
	s_waitcnt lgkmcnt(0)
	s_waitcnt_vscnt null, 0x0
	buffer_gl0_inv
	buffer_gl0_inv
	v_cmp_lt_i64_e32 vcc_lo, v[23:24], v[19:20]
	v_dual_cndmask_b32 v20, v20, v24 :: v_dual_cndmask_b32 v19, v19, v23
	ds_bpermute_b32 v24, v45, v20
	ds_bpermute_b32 v23, v45, v19
	s_waitcnt lgkmcnt(0)
	v_cmp_lt_i64_e32 vcc_lo, v[23:24], v[19:20]
	v_dual_cndmask_b32 v20, v20, v24 :: v_dual_cndmask_b32 v19, v19, v23
	ds_bpermute_b32 v24, v46, v20
	ds_bpermute_b32 v23, v46, v19
	s_waitcnt lgkmcnt(0)
	;; [unrolled: 5-line block ×5, first 2 shown]
	v_cmp_lt_i64_e32 vcc_lo, v[23:24], v[19:20]
	v_cndmask_b32_e32 v9, v20, v24, vcc_lo
	v_cndmask_b32_e32 v19, v19, v23, vcc_lo
	ds_bpermute_b32 v24, v48, v9
	ds_bpermute_b32 v23, v48, v19
	s_waitcnt lgkmcnt(0)
	v_cmp_le_i64_e32 vcc_lo, s[6:7], v[23:24]
	s_or_b32 s8, vcc_lo, s8
	s_delay_alu instid0(SALU_CYCLE_1)
	s_and_not1_b32 exec_lo, exec_lo, s8
	s_cbranch_execz .LBB172_44
.LBB172_11:                             ; =>This Loop Header: Depth=1
                                        ;     Child Loop BB172_14 Depth 2
	v_add_co_u32 v21, vcc_lo, v21, v10
	v_add_co_ci_u32_e32 v22, vcc_lo, 0, v22, vcc_lo
	v_dual_mov_b32 v20, s7 :: v_dual_mov_b32 v19, s6
	v_dual_mov_b32 v33, v5 :: v_dual_mov_b32 v32, v4
	s_mov_b32 s1, exec_lo
	ds_store_b8 v34, v8 offset:16384
	ds_store_b128 v44, v[0:3]
	ds_store_b128 v44, v[0:3] offset:64
	ds_store_b128 v44, v[0:3] offset:128
	ds_store_b128 v44, v[0:3] offset:192
	s_waitcnt lgkmcnt(0)
	buffer_gl0_inv
	v_cmpx_lt_i64_e64 v[21:22], v[4:5]
	s_cbranch_execz .LBB172_23
; %bb.12:                               ;   in Loop: Header=BB172_11 Depth=1
	v_lshlrev_b64 v[19:20], 4, v[21:22]
	v_lshlrev_b64 v[28:29], 3, v[21:22]
	v_mad_u64_u32 v[25:26], null, v23, s12, 0
	v_dual_mov_b32 v31, v5 :: v_dual_mov_b32 v30, v4
	s_delay_alu instid0(VALU_DEP_4)
	v_add_co_u32 v26, vcc_lo, s16, v19
	v_add_co_ci_u32_e32 v27, vcc_lo, s17, v20, vcc_lo
	v_add_co_u32 v28, vcc_lo, s14, v28
	v_add_co_ci_u32_e32 v29, vcc_lo, s15, v29, vcc_lo
	v_dual_mov_b32 v20, s7 :: v_dual_mov_b32 v19, s6
	s_mov_b32 s27, 0
	s_branch .LBB172_14
.LBB172_13:                             ;   in Loop: Header=BB172_14 Depth=2
	s_or_b32 exec_lo, exec_lo, s0
	v_add_co_u32 v21, s0, v21, 4
	s_delay_alu instid0(VALU_DEP_1) | instskip(SKIP_2) | instid1(VALU_DEP_2)
	v_add_co_ci_u32_e64 v22, s0, 0, v22, s0
	s_xor_b32 s3, vcc_lo, -1
	v_add_co_u32 v26, vcc_lo, v26, 64
	v_cmp_ge_i64_e64 s0, v[21:22], v[4:5]
	v_add_co_ci_u32_e32 v27, vcc_lo, 0, v27, vcc_lo
	v_add_co_u32 v28, vcc_lo, v28, 32
	v_add_co_ci_u32_e32 v29, vcc_lo, 0, v29, vcc_lo
	s_delay_alu instid0(VALU_DEP_4) | instskip(SKIP_2) | instid1(SALU_CYCLE_1)
	s_or_b32 s0, s3, s0
	v_dual_mov_b32 v30, v32 :: v_dual_mov_b32 v31, v33
	s_and_b32 s0, exec_lo, s0
	s_or_b32 s27, s0, s27
	s_delay_alu instid0(SALU_CYCLE_1)
	s_and_not1_b32 exec_lo, exec_lo, s27
	s_cbranch_execz .LBB172_22
.LBB172_14:                             ;   Parent Loop BB172_11 Depth=1
                                        ; =>  This Inner Loop Header: Depth=2
	global_load_b64 v[32:33], v[28:29], off
	s_mov_b32 s0, exec_lo
	s_waitcnt vmcnt(0)
	v_sub_co_u32 v53, vcc_lo, v32, s18
	v_subrev_co_ci_u32_e32 v54, vcc_lo, 0, v33, vcc_lo
                                        ; implicit-def: $vgpr32_vgpr33
	s_delay_alu instid0(VALU_DEP_1) | instskip(NEXT) | instid1(VALU_DEP_1)
	v_or_b32_e32 v9, s13, v54
	v_cmpx_ne_u64_e32 0, v[8:9]
	s_xor_b32 s28, exec_lo, s0
	s_cbranch_execz .LBB172_16
; %bb.15:                               ;   in Loop: Header=BB172_14 Depth=2
	s_add_u32 s10, s12, s2
	s_mov_b32 s3, s2
	s_addc_u32 s11, s13, s2
	s_delay_alu instid0(SALU_CYCLE_1) | instskip(NEXT) | instid1(SALU_CYCLE_1)
	s_xor_b64 s[10:11], s[10:11], s[2:3]
	v_cvt_f32_u32_e32 v9, s10
	v_cvt_f32_u32_e32 v32, s11
	s_sub_u32 s0, 0, s10
	s_subb_u32 s3, 0, s11
	s_delay_alu instid0(VALU_DEP_1) | instskip(NEXT) | instid1(VALU_DEP_1)
	v_fmac_f32_e32 v9, 0x4f800000, v32
	v_rcp_f32_e32 v9, v9
	s_waitcnt_depctr 0xfff
	v_mul_f32_e32 v9, 0x5f7ffffc, v9
	s_delay_alu instid0(VALU_DEP_1) | instskip(NEXT) | instid1(VALU_DEP_1)
	v_mul_f32_e32 v32, 0x2f800000, v9
	v_trunc_f32_e32 v32, v32
	s_delay_alu instid0(VALU_DEP_1) | instskip(SKIP_1) | instid1(VALU_DEP_2)
	v_fmac_f32_e32 v9, 0xcf800000, v32
	v_cvt_u32_f32_e32 v32, v32
	v_cvt_u32_f32_e32 v9, v9
	s_delay_alu instid0(VALU_DEP_2) | instskip(NEXT) | instid1(VALU_DEP_2)
	v_mul_lo_u32 v33, s0, v32
	v_mul_hi_u32 v55, s0, v9
	v_mul_lo_u32 v56, s3, v9
	s_delay_alu instid0(VALU_DEP_2) | instskip(SKIP_1) | instid1(VALU_DEP_2)
	v_add_nc_u32_e32 v33, v55, v33
	v_mul_lo_u32 v55, s0, v9
	v_add_nc_u32_e32 v33, v33, v56
	s_delay_alu instid0(VALU_DEP_2) | instskip(NEXT) | instid1(VALU_DEP_2)
	v_mul_hi_u32 v56, v9, v55
	v_mul_lo_u32 v57, v9, v33
	v_mul_hi_u32 v58, v9, v33
	v_mul_hi_u32 v59, v32, v55
	v_mul_lo_u32 v55, v32, v55
	v_mul_hi_u32 v60, v32, v33
	v_mul_lo_u32 v33, v32, v33
	v_add_co_u32 v56, vcc_lo, v56, v57
	v_add_co_ci_u32_e32 v57, vcc_lo, 0, v58, vcc_lo
	s_delay_alu instid0(VALU_DEP_2) | instskip(NEXT) | instid1(VALU_DEP_2)
	v_add_co_u32 v55, vcc_lo, v56, v55
	v_add_co_ci_u32_e32 v55, vcc_lo, v57, v59, vcc_lo
	v_add_co_ci_u32_e32 v56, vcc_lo, 0, v60, vcc_lo
	v_ashrrev_i32_e32 v59, 31, v54
	s_delay_alu instid0(VALU_DEP_3) | instskip(NEXT) | instid1(VALU_DEP_3)
	v_add_co_u32 v33, vcc_lo, v55, v33
	v_add_co_ci_u32_e32 v55, vcc_lo, 0, v56, vcc_lo
	s_delay_alu instid0(VALU_DEP_2) | instskip(NEXT) | instid1(VALU_DEP_2)
	v_add_co_u32 v9, vcc_lo, v9, v33
	v_add_co_ci_u32_e32 v32, vcc_lo, v32, v55, vcc_lo
	s_delay_alu instid0(VALU_DEP_2) | instskip(SKIP_1) | instid1(VALU_DEP_3)
	v_mul_hi_u32 v33, s0, v9
	v_mul_lo_u32 v56, s3, v9
	v_mul_lo_u32 v55, s0, v32
	s_delay_alu instid0(VALU_DEP_1) | instskip(SKIP_1) | instid1(VALU_DEP_2)
	v_add_nc_u32_e32 v33, v33, v55
	v_mul_lo_u32 v55, s0, v9
	v_add_nc_u32_e32 v33, v33, v56
	s_delay_alu instid0(VALU_DEP_2) | instskip(NEXT) | instid1(VALU_DEP_2)
	v_mul_hi_u32 v56, v9, v55
	v_mul_lo_u32 v57, v9, v33
	v_mul_hi_u32 v58, v9, v33
	v_mul_hi_u32 v60, v32, v55
	v_mul_lo_u32 v55, v32, v55
	v_mul_hi_u32 v61, v32, v33
	v_mul_lo_u32 v33, v32, v33
	v_add_co_u32 v56, vcc_lo, v56, v57
	v_add_co_ci_u32_e32 v57, vcc_lo, 0, v58, vcc_lo
	s_delay_alu instid0(VALU_DEP_2) | instskip(NEXT) | instid1(VALU_DEP_2)
	v_add_co_u32 v55, vcc_lo, v56, v55
	v_add_co_ci_u32_e32 v55, vcc_lo, v57, v60, vcc_lo
	v_add_co_ci_u32_e32 v56, vcc_lo, 0, v61, vcc_lo
	v_add_co_u32 v57, vcc_lo, v53, v59
	v_add_co_ci_u32_e32 v54, vcc_lo, v54, v59, vcc_lo
	s_delay_alu instid0(VALU_DEP_4) | instskip(NEXT) | instid1(VALU_DEP_4)
	v_add_co_u32 v33, vcc_lo, v55, v33
	v_add_co_ci_u32_e32 v55, vcc_lo, 0, v56, vcc_lo
	s_delay_alu instid0(VALU_DEP_4) | instskip(NEXT) | instid1(VALU_DEP_3)
	v_xor_b32_e32 v58, v57, v59
	v_add_co_u32 v9, vcc_lo, v9, v33
	s_delay_alu instid0(VALU_DEP_3) | instskip(SKIP_1) | instid1(VALU_DEP_3)
	v_add_co_ci_u32_e32 v60, vcc_lo, v32, v55, vcc_lo
	v_xor_b32_e32 v61, v54, v59
	v_mul_hi_u32 v62, v58, v9
	s_delay_alu instid0(VALU_DEP_3) | instskip(NEXT) | instid1(VALU_DEP_3)
	v_mad_u64_u32 v[32:33], null, v58, v60, 0
	v_mad_u64_u32 v[54:55], null, v61, v9, 0
	;; [unrolled: 1-line block ×3, first 2 shown]
	s_delay_alu instid0(VALU_DEP_3) | instskip(NEXT) | instid1(VALU_DEP_4)
	v_add_co_u32 v9, vcc_lo, v62, v32
	v_add_co_ci_u32_e32 v32, vcc_lo, 0, v33, vcc_lo
	s_delay_alu instid0(VALU_DEP_2) | instskip(NEXT) | instid1(VALU_DEP_2)
	v_add_co_u32 v9, vcc_lo, v9, v54
	v_add_co_ci_u32_e32 v9, vcc_lo, v32, v55, vcc_lo
	v_add_co_ci_u32_e32 v32, vcc_lo, 0, v57, vcc_lo
	s_delay_alu instid0(VALU_DEP_2) | instskip(NEXT) | instid1(VALU_DEP_2)
	v_add_co_u32 v9, vcc_lo, v9, v56
	v_add_co_ci_u32_e32 v54, vcc_lo, 0, v32, vcc_lo
	s_delay_alu instid0(VALU_DEP_2) | instskip(SKIP_1) | instid1(VALU_DEP_3)
	v_mul_lo_u32 v55, s11, v9
	v_mad_u64_u32 v[32:33], null, s10, v9, 0
	v_mul_lo_u32 v56, s10, v54
	s_delay_alu instid0(VALU_DEP_2) | instskip(NEXT) | instid1(VALU_DEP_2)
	v_sub_co_u32 v32, vcc_lo, v58, v32
	v_add3_u32 v33, v33, v56, v55
	s_delay_alu instid0(VALU_DEP_1) | instskip(NEXT) | instid1(VALU_DEP_1)
	v_sub_nc_u32_e32 v55, v61, v33
	v_subrev_co_ci_u32_e64 v55, s0, s11, v55, vcc_lo
	v_add_co_u32 v56, s0, v9, 2
	s_delay_alu instid0(VALU_DEP_1) | instskip(SKIP_3) | instid1(VALU_DEP_3)
	v_add_co_ci_u32_e64 v57, s0, 0, v54, s0
	v_sub_co_u32 v58, s0, v32, s10
	v_sub_co_ci_u32_e32 v33, vcc_lo, v61, v33, vcc_lo
	v_subrev_co_ci_u32_e64 v55, s0, 0, v55, s0
	v_cmp_le_u32_e32 vcc_lo, s10, v58
	s_delay_alu instid0(VALU_DEP_3) | instskip(SKIP_1) | instid1(VALU_DEP_4)
	v_cmp_eq_u32_e64 s0, s11, v33
	v_cndmask_b32_e64 v58, 0, -1, vcc_lo
	v_cmp_le_u32_e32 vcc_lo, s11, v55
	v_cndmask_b32_e64 v60, 0, -1, vcc_lo
	v_cmp_le_u32_e32 vcc_lo, s10, v32
	;; [unrolled: 2-line block ×3, first 2 shown]
	v_cndmask_b32_e64 v61, 0, -1, vcc_lo
	v_cmp_eq_u32_e32 vcc_lo, s11, v55
	s_delay_alu instid0(VALU_DEP_2) | instskip(SKIP_3) | instid1(VALU_DEP_3)
	v_cndmask_b32_e64 v32, v61, v32, s0
	v_cndmask_b32_e32 v55, v60, v58, vcc_lo
	v_add_co_u32 v58, vcc_lo, v9, 1
	v_add_co_ci_u32_e32 v60, vcc_lo, 0, v54, vcc_lo
	v_cmp_ne_u32_e32 vcc_lo, 0, v55
	s_delay_alu instid0(VALU_DEP_2) | instskip(NEXT) | instid1(VALU_DEP_4)
	v_cndmask_b32_e32 v33, v60, v57, vcc_lo
	v_cndmask_b32_e32 v55, v58, v56, vcc_lo
	v_cmp_ne_u32_e32 vcc_lo, 0, v32
	v_xor_b32_e32 v56, s2, v59
	s_delay_alu instid0(VALU_DEP_3) | instskip(NEXT) | instid1(VALU_DEP_1)
	v_dual_cndmask_b32 v9, v9, v55 :: v_dual_cndmask_b32 v32, v54, v33
	v_xor_b32_e32 v9, v9, v56
	s_delay_alu instid0(VALU_DEP_2) | instskip(NEXT) | instid1(VALU_DEP_2)
	v_xor_b32_e32 v33, v32, v56
	v_sub_co_u32 v32, vcc_lo, v9, v56
	s_delay_alu instid0(VALU_DEP_2)
	v_sub_co_ci_u32_e32 v33, vcc_lo, v33, v56, vcc_lo
.LBB172_16:                             ;   in Loop: Header=BB172_14 Depth=2
	s_and_not1_saveexec_b32 s0, s28
	s_cbranch_execz .LBB172_18
; %bb.17:                               ;   in Loop: Header=BB172_14 Depth=2
	v_cvt_f32_u32_e32 v9, s12
	s_delay_alu instid0(VALU_DEP_1) | instskip(SKIP_2) | instid1(VALU_DEP_1)
	v_rcp_iflag_f32_e32 v9, v9
	s_waitcnt_depctr 0xfff
	v_mul_f32_e32 v9, 0x4f7ffffe, v9
	v_cvt_u32_f32_e32 v9, v9
	s_delay_alu instid0(VALU_DEP_1) | instskip(NEXT) | instid1(VALU_DEP_1)
	v_mul_lo_u32 v32, s26, v9
	v_mul_hi_u32 v32, v9, v32
	s_delay_alu instid0(VALU_DEP_1) | instskip(NEXT) | instid1(VALU_DEP_1)
	v_add_nc_u32_e32 v9, v9, v32
	v_mul_hi_u32 v9, v53, v9
	s_delay_alu instid0(VALU_DEP_1) | instskip(SKIP_1) | instid1(VALU_DEP_2)
	v_mul_lo_u32 v32, v9, s12
	v_add_nc_u32_e32 v33, 1, v9
	v_sub_nc_u32_e32 v32, v53, v32
	s_delay_alu instid0(VALU_DEP_1) | instskip(SKIP_1) | instid1(VALU_DEP_2)
	v_subrev_nc_u32_e32 v54, s12, v32
	v_cmp_le_u32_e32 vcc_lo, s12, v32
	v_dual_cndmask_b32 v32, v32, v54 :: v_dual_cndmask_b32 v9, v9, v33
	s_delay_alu instid0(VALU_DEP_1) | instskip(NEXT) | instid1(VALU_DEP_2)
	v_cmp_le_u32_e32 vcc_lo, s12, v32
	v_add_nc_u32_e32 v33, 1, v9
	s_delay_alu instid0(VALU_DEP_1)
	v_dual_cndmask_b32 v32, v9, v33 :: v_dual_mov_b32 v33, v8
.LBB172_18:                             ;   in Loop: Header=BB172_14 Depth=2
	s_or_b32 exec_lo, exec_lo, s0
	s_delay_alu instid0(VALU_DEP_1)
	v_cmp_eq_u64_e32 vcc_lo, v[32:33], v[23:24]
	s_mov_b32 s3, exec_lo
	v_cmpx_ne_u64_e64 v[32:33], v[23:24]
	s_xor_b32 s3, exec_lo, s3
; %bb.19:                               ;   in Loop: Header=BB172_14 Depth=2
	v_cmp_lt_i64_e64 s0, v[32:33], v[19:20]
                                        ; implicit-def: $vgpr53
                                        ; implicit-def: $vgpr30_vgpr31
	s_delay_alu instid0(VALU_DEP_1)
	v_cndmask_b32_e64 v20, v20, v33, s0
	v_cndmask_b32_e64 v19, v19, v32, s0
; %bb.20:                               ;   in Loop: Header=BB172_14 Depth=2
	s_or_saveexec_b32 s0, s3
	v_dual_mov_b32 v33, v22 :: v_dual_mov_b32 v32, v21
	s_xor_b32 exec_lo, exec_lo, s0
	s_cbranch_execz .LBB172_13
; %bb.21:                               ;   in Loop: Header=BB172_14 Depth=2
	global_load_b128 v[54:57], v[26:27], off
	v_sub_nc_u32_e32 v9, v53, v25
	v_dual_mov_b32 v33, v31 :: v_dual_mov_b32 v32, v30
	s_delay_alu instid0(VALU_DEP_2)
	v_add_lshl_u32 v9, v37, v9, 4
	ds_store_b8 v34, v52 offset:16384
	s_waitcnt vmcnt(0)
	ds_store_2addr_b64 v9, v[54:55], v[56:57] offset1:1
	s_branch .LBB172_13
.LBB172_22:                             ;   in Loop: Header=BB172_11 Depth=1
	s_or_b32 exec_lo, exec_lo, s27
.LBB172_23:                             ;   in Loop: Header=BB172_11 Depth=1
	s_delay_alu instid0(SALU_CYCLE_1)
	s_or_b32 exec_lo, exec_lo, s1
	ds_bpermute_b32 v21, v38, v32
	ds_bpermute_b32 v22, v38, v33
	s_waitcnt lgkmcnt(0)
	buffer_gl0_inv
	ds_load_u8 v9, v34 offset:16384
	s_mov_b32 s3, exec_lo
	v_cmp_lt_i64_e32 vcc_lo, v[21:22], v[32:33]
	s_waitcnt lgkmcnt(0)
	v_dual_cndmask_b32 v22, v33, v22 :: v_dual_and_b32 v9, 1, v9
	v_cndmask_b32_e32 v21, v32, v21, vcc_lo
	ds_bpermute_b32 v26, v39, v22
	ds_bpermute_b32 v25, v39, v21
	s_waitcnt lgkmcnt(0)
	v_cmp_lt_i64_e32 vcc_lo, v[25:26], v[21:22]
	v_dual_cndmask_b32 v22, v22, v26 :: v_dual_cndmask_b32 v21, v21, v25
	v_mov_b32_e32 v25, 0
	v_mov_b32_e32 v26, 0
	ds_bpermute_b32 v22, v40, v22
	ds_bpermute_b32 v21, v40, v21
	v_cmpx_eq_u32_e32 1, v9
	s_cbranch_execz .LBB172_10
; %bb.24:                               ;   in Loop: Header=BB172_11 Depth=1
	v_mul_lo_u32 v9, s20, v6
	v_mul_lo_u32 v29, s21, v7
	v_mad_u64_u32 v[25:26], null, s21, v6, 0
	v_lshlrev_b64 v[27:28], 3, v[6:7]
	s_delay_alu instid0(VALU_DEP_2) | instskip(SKIP_2) | instid1(VALU_DEP_3)
	v_add3_u32 v26, v26, v29, v9
	v_add_co_u32 v29, vcc_lo, v23, s19
	v_add_co_ci_u32_e32 v30, vcc_lo, 0, v24, vcc_lo
	v_lshlrev_b64 v[25:26], 4, v[25:26]
	v_add_co_u32 v31, vcc_lo, s4, v27
	v_add_co_ci_u32_e32 v32, vcc_lo, s5, v28, vcc_lo
	s_delay_alu instid0(VALU_DEP_3) | instskip(NEXT) | instid1(VALU_DEP_4)
	v_add_co_u32 v24, vcc_lo, v35, v25
	v_add_co_ci_u32_e32 v27, vcc_lo, v36, v26, vcc_lo
	v_add_co_u32 v9, vcc_lo, v41, v25
	v_add_co_ci_u32_e32 v23, vcc_lo, v42, v26, vcc_lo
	global_store_b64 v[31:32], v[29:30], off
	s_and_saveexec_b32 s0, s23
	s_cbranch_execz .LBB172_28
; %bb.25:                               ;   in Loop: Header=BB172_11 Depth=1
	s_and_b32 vcc_lo, exec_lo, s22
	s_cbranch_vccz .LBB172_39
; %bb.26:                               ;   in Loop: Header=BB172_11 Depth=1
	ds_load_2addr_b64 v[28:31], v44 offset1:1
	v_add_co_u32 v25, vcc_lo, v24, v11
	v_add_co_ci_u32_e32 v26, vcc_lo, v27, v12, vcc_lo
	s_waitcnt lgkmcnt(0)
	global_store_b128 v[25:26], v[28:31], off
	s_cbranch_execnz .LBB172_28
.LBB172_27:                             ;   in Loop: Header=BB172_11 Depth=1
	ds_load_2addr_b64 v[28:31], v44 offset1:1
	v_lshlrev_b32_e32 v25, 4, v10
	s_delay_alu instid0(VALU_DEP_1)
	v_add_co_u32 v25, vcc_lo, v9, v25
	v_add_co_ci_u32_e32 v26, vcc_lo, 0, v23, vcc_lo
	s_waitcnt lgkmcnt(0)
	global_store_b128 v[25:26], v[28:31], off
.LBB172_28:                             ;   in Loop: Header=BB172_11 Depth=1
	s_or_b32 exec_lo, exec_lo, s0
	s_and_saveexec_b32 s0, s24
	s_cbranch_execz .LBB172_32
; %bb.29:                               ;   in Loop: Header=BB172_11 Depth=1
	s_and_not1_b32 vcc_lo, exec_lo, s22
	s_cbranch_vccnz .LBB172_40
; %bb.30:                               ;   in Loop: Header=BB172_11 Depth=1
	ds_load_2addr_b64 v[28:31], v49 offset1:1
	v_add_co_u32 v25, vcc_lo, v24, v13
	v_add_co_ci_u32_e32 v26, vcc_lo, v27, v14, vcc_lo
	s_waitcnt lgkmcnt(0)
	global_store_b128 v[25:26], v[28:31], off
	s_cbranch_execnz .LBB172_32
.LBB172_31:                             ;   in Loop: Header=BB172_11 Depth=1
	ds_load_2addr_b64 v[28:31], v49 offset1:1
	v_lshlrev_b32_e32 v25, 4, v10
	s_delay_alu instid0(VALU_DEP_1)
	v_add_co_u32 v25, vcc_lo, v9, v25
	v_add_co_ci_u32_e32 v26, vcc_lo, 0, v23, vcc_lo
	s_waitcnt lgkmcnt(0)
	global_store_b128 v[25:26], v[28:31], off offset:64
.LBB172_32:                             ;   in Loop: Header=BB172_11 Depth=1
	s_or_b32 exec_lo, exec_lo, s0
	s_and_saveexec_b32 s0, s25
	s_cbranch_execz .LBB172_36
; %bb.33:                               ;   in Loop: Header=BB172_11 Depth=1
	s_and_not1_b32 vcc_lo, exec_lo, s22
	s_cbranch_vccnz .LBB172_41
; %bb.34:                               ;   in Loop: Header=BB172_11 Depth=1
	ds_load_2addr_b64 v[28:31], v50 offset1:1
	v_add_co_u32 v25, vcc_lo, v24, v15
	v_add_co_ci_u32_e32 v26, vcc_lo, v27, v16, vcc_lo
	s_waitcnt lgkmcnt(0)
	global_store_b128 v[25:26], v[28:31], off
	s_cbranch_execnz .LBB172_36
.LBB172_35:                             ;   in Loop: Header=BB172_11 Depth=1
	ds_load_2addr_b64 v[28:31], v50 offset1:1
	v_lshlrev_b32_e32 v25, 4, v10
	s_delay_alu instid0(VALU_DEP_1)
	v_add_co_u32 v25, vcc_lo, v9, v25
	v_add_co_ci_u32_e32 v26, vcc_lo, 0, v23, vcc_lo
	s_waitcnt lgkmcnt(0)
	global_store_b128 v[25:26], v[28:31], off offset:128
.LBB172_36:                             ;   in Loop: Header=BB172_11 Depth=1
	s_or_b32 exec_lo, exec_lo, s0
	v_mov_b32_e32 v25, 1
	v_mov_b32_e32 v26, 0
	s_and_saveexec_b32 s10, s9
	s_cbranch_execz .LBB172_9
; %bb.37:                               ;   in Loop: Header=BB172_11 Depth=1
	s_and_not1_b32 vcc_lo, exec_lo, s22
	s_cbranch_vccnz .LBB172_42
; %bb.38:                               ;   in Loop: Header=BB172_11 Depth=1
	ds_load_2addr_b64 v[28:31], v51 offset1:1
	v_add_co_u32 v24, vcc_lo, v24, v17
	v_add_co_ci_u32_e32 v25, vcc_lo, v27, v18, vcc_lo
	s_mov_b64 s[0:1], 1
	s_waitcnt lgkmcnt(0)
	global_store_b128 v[24:25], v[28:31], off
	s_cbranch_execnz .LBB172_8
	s_branch .LBB172_43
.LBB172_39:                             ;   in Loop: Header=BB172_11 Depth=1
	s_branch .LBB172_27
.LBB172_40:                             ;   in Loop: Header=BB172_11 Depth=1
	s_branch .LBB172_31
.LBB172_41:                             ;   in Loop: Header=BB172_11 Depth=1
	s_branch .LBB172_35
.LBB172_42:                             ;   in Loop: Header=BB172_11 Depth=1
                                        ; implicit-def: $sgpr0_sgpr1
.LBB172_43:                             ;   in Loop: Header=BB172_11 Depth=1
	ds_load_2addr_b64 v[24:27], v51 offset1:1
	v_lshlrev_b32_e32 v28, 4, v10
	s_mov_b64 s[0:1], 1
	s_delay_alu instid0(VALU_DEP_1)
	v_add_co_u32 v28, vcc_lo, v9, v28
	v_add_co_ci_u32_e32 v29, vcc_lo, 0, v23, vcc_lo
	s_waitcnt lgkmcnt(0)
	global_store_b128 v[28:29], v[24:27], off offset:192
	s_branch .LBB172_8
.LBB172_44:
	s_endpgm
	.section	.rodata,"a",@progbits
	.p2align	6, 0x0
	.amdhsa_kernel _ZN9rocsparseL42csr2bsr_wavefront_per_row_multipass_kernelILj256ELj64ELj16E21rocsparse_complex_numIdEllEEv20rocsparse_direction_T4_S4_S4_S4_S4_21rocsparse_index_base_PKT2_PKT3_PKS4_S5_PS6_PS9_PS4_
		.amdhsa_group_segment_fixed_size 16392
		.amdhsa_private_segment_fixed_size 0
		.amdhsa_kernarg_size 112
		.amdhsa_user_sgpr_count 15
		.amdhsa_user_sgpr_dispatch_ptr 0
		.amdhsa_user_sgpr_queue_ptr 0
		.amdhsa_user_sgpr_kernarg_segment_ptr 1
		.amdhsa_user_sgpr_dispatch_id 0
		.amdhsa_user_sgpr_private_segment_size 0
		.amdhsa_wavefront_size32 1
		.amdhsa_uses_dynamic_stack 0
		.amdhsa_enable_private_segment 0
		.amdhsa_system_sgpr_workgroup_id_x 1
		.amdhsa_system_sgpr_workgroup_id_y 0
		.amdhsa_system_sgpr_workgroup_id_z 0
		.amdhsa_system_sgpr_workgroup_info 0
		.amdhsa_system_vgpr_workitem_id 0
		.amdhsa_next_free_vgpr 63
		.amdhsa_next_free_sgpr 29
		.amdhsa_reserve_vcc 1
		.amdhsa_float_round_mode_32 0
		.amdhsa_float_round_mode_16_64 0
		.amdhsa_float_denorm_mode_32 3
		.amdhsa_float_denorm_mode_16_64 3
		.amdhsa_dx10_clamp 1
		.amdhsa_ieee_mode 1
		.amdhsa_fp16_overflow 0
		.amdhsa_workgroup_processor_mode 1
		.amdhsa_memory_ordered 1
		.amdhsa_forward_progress 0
		.amdhsa_shared_vgpr_count 0
		.amdhsa_exception_fp_ieee_invalid_op 0
		.amdhsa_exception_fp_denorm_src 0
		.amdhsa_exception_fp_ieee_div_zero 0
		.amdhsa_exception_fp_ieee_overflow 0
		.amdhsa_exception_fp_ieee_underflow 0
		.amdhsa_exception_fp_ieee_inexact 0
		.amdhsa_exception_int_div_zero 0
	.end_amdhsa_kernel
	.section	.text._ZN9rocsparseL42csr2bsr_wavefront_per_row_multipass_kernelILj256ELj64ELj16E21rocsparse_complex_numIdEllEEv20rocsparse_direction_T4_S4_S4_S4_S4_21rocsparse_index_base_PKT2_PKT3_PKS4_S5_PS6_PS9_PS4_,"axG",@progbits,_ZN9rocsparseL42csr2bsr_wavefront_per_row_multipass_kernelILj256ELj64ELj16E21rocsparse_complex_numIdEllEEv20rocsparse_direction_T4_S4_S4_S4_S4_21rocsparse_index_base_PKT2_PKT3_PKS4_S5_PS6_PS9_PS4_,comdat
.Lfunc_end172:
	.size	_ZN9rocsparseL42csr2bsr_wavefront_per_row_multipass_kernelILj256ELj64ELj16E21rocsparse_complex_numIdEllEEv20rocsparse_direction_T4_S4_S4_S4_S4_21rocsparse_index_base_PKT2_PKT3_PKS4_S5_PS6_PS9_PS4_, .Lfunc_end172-_ZN9rocsparseL42csr2bsr_wavefront_per_row_multipass_kernelILj256ELj64ELj16E21rocsparse_complex_numIdEllEEv20rocsparse_direction_T4_S4_S4_S4_S4_21rocsparse_index_base_PKT2_PKT3_PKS4_S5_PS6_PS9_PS4_
                                        ; -- End function
	.section	.AMDGPU.csdata,"",@progbits
; Kernel info:
; codeLenInByte = 3356
; NumSgprs: 31
; NumVgprs: 63
; ScratchSize: 0
; MemoryBound: 0
; FloatMode: 240
; IeeeMode: 1
; LDSByteSize: 16392 bytes/workgroup (compile time only)
; SGPRBlocks: 3
; VGPRBlocks: 7
; NumSGPRsForWavesPerEU: 31
; NumVGPRsForWavesPerEU: 63
; Occupancy: 14
; WaveLimiterHint : 0
; COMPUTE_PGM_RSRC2:SCRATCH_EN: 0
; COMPUTE_PGM_RSRC2:USER_SGPR: 15
; COMPUTE_PGM_RSRC2:TRAP_HANDLER: 0
; COMPUTE_PGM_RSRC2:TGID_X_EN: 1
; COMPUTE_PGM_RSRC2:TGID_Y_EN: 0
; COMPUTE_PGM_RSRC2:TGID_Z_EN: 0
; COMPUTE_PGM_RSRC2:TIDIG_COMP_CNT: 0
	.section	.text._ZN9rocsparseL42csr2bsr_wavefront_per_row_multipass_kernelILj256ELj32ELj16E21rocsparse_complex_numIdEllEEv20rocsparse_direction_T4_S4_S4_S4_S4_21rocsparse_index_base_PKT2_PKT3_PKS4_S5_PS6_PS9_PS4_,"axG",@progbits,_ZN9rocsparseL42csr2bsr_wavefront_per_row_multipass_kernelILj256ELj32ELj16E21rocsparse_complex_numIdEllEEv20rocsparse_direction_T4_S4_S4_S4_S4_21rocsparse_index_base_PKT2_PKT3_PKS4_S5_PS6_PS9_PS4_,comdat
	.globl	_ZN9rocsparseL42csr2bsr_wavefront_per_row_multipass_kernelILj256ELj32ELj16E21rocsparse_complex_numIdEllEEv20rocsparse_direction_T4_S4_S4_S4_S4_21rocsparse_index_base_PKT2_PKT3_PKS4_S5_PS6_PS9_PS4_ ; -- Begin function _ZN9rocsparseL42csr2bsr_wavefront_per_row_multipass_kernelILj256ELj32ELj16E21rocsparse_complex_numIdEllEEv20rocsparse_direction_T4_S4_S4_S4_S4_21rocsparse_index_base_PKT2_PKT3_PKS4_S5_PS6_PS9_PS4_
	.p2align	8
	.type	_ZN9rocsparseL42csr2bsr_wavefront_per_row_multipass_kernelILj256ELj32ELj16E21rocsparse_complex_numIdEllEEv20rocsparse_direction_T4_S4_S4_S4_S4_21rocsparse_index_base_PKT2_PKT3_PKS4_S5_PS6_PS9_PS4_,@function
_ZN9rocsparseL42csr2bsr_wavefront_per_row_multipass_kernelILj256ELj32ELj16E21rocsparse_complex_numIdEllEEv20rocsparse_direction_T4_S4_S4_S4_S4_21rocsparse_index_base_PKT2_PKT3_PKS4_S5_PS6_PS9_PS4_: ; @_ZN9rocsparseL42csr2bsr_wavefront_per_row_multipass_kernelILj256ELj32ELj16E21rocsparse_complex_numIdEllEEv20rocsparse_direction_T4_S4_S4_S4_S4_21rocsparse_index_base_PKT2_PKT3_PKS4_S5_PS6_PS9_PS4_
; %bb.0:
	s_load_b64 s[16:17], s[0:1], 0x28
	v_lshrrev_b32_e32 v42, 5, v0
	s_mov_b32 s4, s15
	s_ashr_i32 s5, s15, 31
	s_clause 0x1
	s_load_b64 s[12:13], s[0:1], 0x8
	s_load_b128 s[8:11], s[0:1], 0x18
	s_lshl_b64 s[2:3], s[4:5], 3
	v_mov_b32_e32 v2, 0
	v_or_b32_e32 v3, s2, v42
	v_bfe_u32 v1, v0, 1, 4
	s_clause 0x1
	s_load_b32 s22, s[0:1], 0x30
	s_load_b64 s[6:7], s[0:1], 0x40
	s_waitcnt lgkmcnt(0)
	v_mul_lo_u32 v4, v3, s17
	v_mad_u64_u32 v[6:7], null, v3, s16, v[1:2]
	s_mul_i32 s2, s3, s16
	s_delay_alu instid0(VALU_DEP_1) | instid1(SALU_CYCLE_1)
	v_add3_u32 v7, s2, v7, v4
	v_mov_b32_e32 v4, 0
	v_mov_b32_e32 v5, 0
	v_cmp_gt_i64_e64 s2, s[16:17], v[1:2]
	s_delay_alu instid0(VALU_DEP_4) | instskip(NEXT) | instid1(VALU_DEP_3)
	v_cmp_gt_i64_e32 vcc_lo, s[12:13], v[6:7]
	v_dual_mov_b32 v28, v5 :: v_dual_mov_b32 v27, v4
	s_delay_alu instid0(VALU_DEP_3) | instskip(NEXT) | instid1(SALU_CYCLE_1)
	s_and_b32 s3, s2, vcc_lo
	s_and_saveexec_b32 s5, s3
	s_cbranch_execz .LBB173_2
; %bb.1:
	v_lshlrev_b64 v[2:3], 3, v[6:7]
	s_delay_alu instid0(VALU_DEP_1) | instskip(NEXT) | instid1(VALU_DEP_2)
	v_add_co_u32 v2, vcc_lo, s6, v2
	v_add_co_ci_u32_e32 v3, vcc_lo, s7, v3, vcc_lo
	global_load_b64 v[2:3], v[2:3], off
	s_waitcnt vmcnt(0)
	v_sub_co_u32 v27, vcc_lo, v2, s22
	v_subrev_co_ci_u32_e32 v28, vcc_lo, 0, v3, vcc_lo
.LBB173_2:
	s_or_b32 exec_lo, exec_lo, s5
	s_and_saveexec_b32 s5, s3
	s_cbranch_execz .LBB173_4
; %bb.3:
	v_lshlrev_b64 v[2:3], 3, v[6:7]
	s_delay_alu instid0(VALU_DEP_1) | instskip(NEXT) | instid1(VALU_DEP_2)
	v_add_co_u32 v2, vcc_lo, s6, v2
	v_add_co_ci_u32_e32 v3, vcc_lo, s7, v3, vcc_lo
	global_load_b64 v[2:3], v[2:3], off offset:8
	s_waitcnt vmcnt(0)
	v_sub_co_u32 v4, vcc_lo, v2, s22
	v_subrev_co_ci_u32_e32 v5, vcc_lo, 0, v3, vcc_lo
.LBB173_4:
	s_or_b32 exec_lo, exec_lo, s5
	s_load_b32 s23, s[0:1], 0x50
	v_dual_mov_b32 v3, 0 :: v_dual_mov_b32 v6, 0
	v_lshl_or_b32 v2, s4, 3, v42
	v_mov_b32_e32 v7, 0
	s_mov_b32 s3, exec_lo
	s_delay_alu instid0(VALU_DEP_2)
	v_cmpx_gt_i64_e64 s[8:9], v[2:3]
	s_cbranch_execz .LBB173_6
; %bb.5:
	s_load_b64 s[4:5], s[0:1], 0x60
	v_lshlrev_b64 v[2:3], 3, v[2:3]
	s_waitcnt lgkmcnt(0)
	s_delay_alu instid0(VALU_DEP_1) | instskip(NEXT) | instid1(VALU_DEP_2)
	v_add_co_u32 v2, vcc_lo, s4, v2
	v_add_co_ci_u32_e32 v3, vcc_lo, s5, v3, vcc_lo
	global_load_b64 v[2:3], v[2:3], off
	s_waitcnt vmcnt(0)
	v_sub_co_u32 v6, vcc_lo, v2, s23
	v_subrev_co_ci_u32_e32 v7, vcc_lo, 0, v3, vcc_lo
.LBB173_6:
	s_or_b32 exec_lo, exec_lo, s3
	v_cmp_lt_i64_e64 s3, s[10:11], 1
	s_delay_alu instid0(VALU_DEP_1)
	s_and_b32 vcc_lo, exec_lo, s3
	s_cbranch_vccnz .LBB173_64
; %bb.7:
	v_mad_u64_u32 v[2:3], null, v1, s16, 0
	v_mbcnt_lo_u32_b32 v12, -1, 0
	v_dual_mov_b32 v8, 0 :: v_dual_lshlrev_b32 v11, 4, v1
	s_clause 0x4
	s_load_b64 s[4:5], s[0:1], 0x58
	s_load_b64 s[8:9], s[0:1], 0x68
	;; [unrolled: 1-line block ×4, first 2 shown]
	s_load_b32 s0, s[0:1], 0x0
	v_mad_u64_u32 v[9:10], null, v1, s17, v[3:4]
	v_xor_b32_e32 v1, 1, v12
	v_lshl_or_b32 v45, v42, 8, v11
	s_mul_i32 s3, s16, s17
	s_mul_hi_u32 s6, s16, s16
	v_lshl_or_b32 v47, v12, 2, 4
	v_cmp_gt_i32_e32 vcc_lo, 32, v1
	s_add_i32 s6, s6, s3
	s_mov_b32 s12, 0
	v_and_b32_e32 v10, 1, v0
	s_add_i32 s24, s6, s3
	v_cndmask_b32_e32 v1, v12, v1, vcc_lo
	v_mov_b32_e32 v3, v9
	s_mov_b32 s13, s12
	v_or_b32_e32 v9, v45, v10
	v_or_b32_e32 v15, 6, v10
	v_lshlrev_b32_e32 v46, 2, v1
	v_lshlrev_b64 v[0:1], 4, v[2:3]
	v_xor_b32_e32 v2, 16, v12
	v_xor_b32_e32 v3, 2, v12
	v_mad_u64_u32 v[19:20], null, v15, s16, 0
	s_waitcnt lgkmcnt(0)
	v_add_co_u32 v43, s1, s4, v11
	v_add_co_u32 v48, vcc_lo, s4, v0
	v_add_co_ci_u32_e32 v49, vcc_lo, s5, v1, vcc_lo
	v_xor_b32_e32 v0, 8, v12
	v_cmp_gt_i32_e32 vcc_lo, 32, v2
	s_cmp_lg_u32 s0, 0
	v_add_co_ci_u32_e64 v44, null, s5, 0, s1
	v_lshlrev_b32_e32 v51, 4, v9
	v_cndmask_b32_e32 v1, v12, v2, vcc_lo
	v_xor_b32_e32 v2, 4, v12
	v_cmp_gt_i32_e32 vcc_lo, 32, v0
	s_cselect_b32 s26, -1, 0
	v_mov_b32_e32 v55, 0x7c
	s_mov_b32 s14, s12
	s_mov_b32 s15, s12
	v_cndmask_b32_e32 v0, v12, v0, vcc_lo
	v_cmp_gt_i32_e32 vcc_lo, 32, v2
	v_or_b32_e32 v56, 32, v51
	v_or_b32_e32 v57, 64, v51
	;; [unrolled: 1-line block ×3, first 2 shown]
	v_lshlrev_b32_e32 v52, 2, v0
	v_cndmask_b32_e32 v2, v12, v2, vcc_lo
	v_or_b32_e32 v0, 2, v10
	v_cmp_gt_i32_e32 vcc_lo, 32, v3
	v_dual_mov_b32 v11, v8 :: v_dual_lshlrev_b32 v50, 2, v1
	s_delay_alu instid0(VALU_DEP_4) | instskip(SKIP_4) | instid1(VALU_DEP_4)
	v_lshlrev_b32_e32 v53, 2, v2
	v_or_b32_e32 v2, 4, v10
	v_mad_u64_u32 v[13:14], null, v0, s16, 0
	v_cndmask_b32_e32 v3, v12, v3, vcc_lo
	v_mov_b32_e32 v16, v8
	v_mad_u64_u32 v[17:18], null, v2, s16, 0
	v_cmp_gt_u64_e32 vcc_lo, s[16:17], v[10:11]
	s_delay_alu instid0(VALU_DEP_4)
	v_dual_mov_b32 v3, v14 :: v_dual_lshlrev_b32 v54, 2, v3
	v_mov_b32_e32 v14, v20
	v_cmp_gt_u64_e64 s3, s[16:17], v[15:16]
	v_cvt_f32_u32_e32 v16, s16
	v_mov_b32_e32 v9, v18
	v_mad_u64_u32 v[21:22], null, v0, s17, v[3:4]
	v_or_b32_e32 v22, 8, v10
	v_mad_u64_u32 v[29:30], null, v15, s17, v[14:15]
	s_delay_alu instid0(VALU_DEP_4) | instskip(SKIP_1) | instid1(VALU_DEP_4)
	v_mad_u64_u32 v[23:24], null, v2, s17, v[9:10]
	v_mov_b32_e32 v1, v8
	v_mad_u64_u32 v[24:25], null, v22, s16, 0
	s_delay_alu instid0(VALU_DEP_4)
	v_dual_mov_b32 v3, v8 :: v_dual_mov_b32 v20, v29
	v_or_b32_e32 v15, 12, v10
	v_dual_mov_b32 v18, v23 :: v_dual_mov_b32 v23, v8
	v_cmp_gt_u64_e64 s0, s[16:17], v[0:1]
	v_or_b32_e32 v1, 10, v10
	v_mov_b32_e32 v0, v25
	v_cmp_gt_u64_e64 s1, s[16:17], v[2:3]
	v_rcp_iflag_f32_e32 v26, v16
	v_mad_u64_u32 v[33:34], null, v15, s16, 0
	v_mad_u64_u32 v[29:30], null, v1, s16, 0
	;; [unrolled: 1-line block ×3, first 2 shown]
	v_or_b32_e32 v0, 14, v10
	v_mov_b32_e32 v14, v21
	v_cmp_gt_u64_e64 s4, s[16:17], v[22:23]
	v_dual_mov_b32 v16, v8 :: v_dual_mov_b32 v3, v30
	s_delay_alu instid0(VALU_DEP_4) | instskip(SKIP_1) | instid1(VALU_DEP_3)
	v_mad_u64_u32 v[35:36], null, v0, s16, 0
	v_dual_mov_b32 v25, v2 :: v_dual_mov_b32 v2, v8
	v_mad_u64_u32 v[21:22], null, v1, s17, v[3:4]
	v_mov_b32_e32 v9, v34
	s_and_b32 s28, s2, s0
	s_delay_alu instid0(VALU_DEP_3) | instskip(SKIP_2) | instid1(VALU_DEP_4)
	v_cmp_gt_u64_e64 s5, s[16:17], v[1:2]
	v_dual_mov_b32 v1, v8 :: v_dual_mul_f32 v2, 0x4f7ffffe, v26
	s_sub_i32 s0, 0, s16
	v_mov_b32_e32 v30, v21
	v_mad_u64_u32 v[22:23], null, v15, s17, v[9:10]
	s_delay_alu instid0(VALU_DEP_3)
	v_cvt_u32_f32_e32 v9, v2
	v_mov_b32_e32 v3, v36
	v_cmp_gt_u64_e64 s6, s[16:17], v[15:16]
	v_mul_lo_u32 v12, v10, s17
	v_mul_lo_u32 v11, v10, s16
	;; [unrolled: 1-line block ×3, first 2 shown]
	v_mov_b32_e32 v34, v22
	v_mad_u64_u32 v[31:32], null, v0, s17, v[3:4]
	v_cmp_gt_u64_e64 s7, s[16:17], v[0:1]
	v_dual_mov_b32 v0, s12 :: v_dual_mov_b32 v3, s15
	v_lshlrev_b64 v[11:12], 4, v[11:12]
	v_mul_hi_u32 v37, v9, v15
	v_lshlrev_b64 v[13:14], 4, v[13:14]
	v_dual_mov_b32 v36, v31 :: v_dual_mov_b32 v31, 0
	v_lshlrev_b64 v[15:16], 4, v[17:18]
	v_lshlrev_b64 v[17:18], 4, v[19:20]
	;; [unrolled: 1-line block ×6, first 2 shown]
	v_or_b32_e32 v59, 0x80, v51
	v_or_b32_e32 v60, 0xa0, v51
	;; [unrolled: 1-line block ×4, first 2 shown]
	v_dual_mov_b32 v32, 0 :: v_dual_mov_b32 v1, s13
	v_dual_mov_b32 v2, s14 :: v_dual_add_nc_u32 v63, v9, v37
	v_mov_b32_e32 v64, 1
	s_mul_i32 s25, s16, s16
	s_and_b32 s27, s2, vcc_lo
	s_and_b32 s29, s2, s1
	s_and_b32 s30, s2, s3
	;; [unrolled: 1-line block ×6, first 2 shown]
	s_ashr_i32 s2, s17, 31
	s_branch .LBB173_11
.LBB173_8:                              ;   in Loop: Header=BB173_11 Depth=1
	v_dual_mov_b32 v34, s1 :: v_dual_mov_b32 v33, s0
.LBB173_9:                              ;   in Loop: Header=BB173_11 Depth=1
	s_or_b32 exec_lo, exec_lo, s4
.LBB173_10:                             ;   in Loop: Header=BB173_11 Depth=1
	s_delay_alu instid0(SALU_CYCLE_1) | instskip(SKIP_3) | instid1(VALU_DEP_1)
	s_or_b32 exec_lo, exec_lo, s3
	ds_bpermute_b32 v31, v50, v29
	ds_bpermute_b32 v32, v50, v30
	v_add_co_u32 v6, s0, v33, v6
	v_add_co_ci_u32_e64 v7, s0, v34, v7, s0
	s_waitcnt lgkmcnt(0)
	s_waitcnt_vscnt null, 0x0
	buffer_gl0_inv
	buffer_gl0_inv
	v_cmp_lt_i64_e32 vcc_lo, v[31:32], v[29:30]
	v_dual_cndmask_b32 v30, v30, v32 :: v_dual_cndmask_b32 v29, v29, v31
	ds_bpermute_b32 v32, v52, v30
	ds_bpermute_b32 v31, v52, v29
	s_waitcnt lgkmcnt(0)
	v_cmp_lt_i64_e32 vcc_lo, v[31:32], v[29:30]
	v_dual_cndmask_b32 v30, v30, v32 :: v_dual_cndmask_b32 v29, v29, v31
	ds_bpermute_b32 v32, v53, v30
	ds_bpermute_b32 v31, v53, v29
	s_waitcnt lgkmcnt(0)
	;; [unrolled: 5-line block ×4, first 2 shown]
	v_cmp_lt_i64_e32 vcc_lo, v[31:32], v[29:30]
	v_cndmask_b32_e32 v9, v30, v32, vcc_lo
	v_cndmask_b32_e32 v29, v29, v31, vcc_lo
	ds_bpermute_b32 v32, v55, v9
	ds_bpermute_b32 v31, v55, v29
	s_waitcnt lgkmcnt(0)
	v_cmp_le_i64_e32 vcc_lo, s[10:11], v[31:32]
	s_or_b32 s12, vcc_lo, s12
	s_delay_alu instid0(SALU_CYCLE_1)
	s_and_not1_b32 exec_lo, exec_lo, s12
	s_cbranch_execz .LBB173_64
.LBB173_11:                             ; =>This Loop Header: Depth=1
                                        ;     Child Loop BB173_14 Depth 2
	v_add_co_u32 v27, vcc_lo, v27, v10
	v_add_co_ci_u32_e32 v28, vcc_lo, 0, v28, vcc_lo
	v_dual_mov_b32 v30, s11 :: v_dual_mov_b32 v29, s10
	v_dual_mov_b32 v41, v5 :: v_dual_mov_b32 v40, v4
	s_mov_b32 s1, exec_lo
	ds_store_b8 v42, v8 offset:32768
	ds_store_b128 v51, v[0:3]
	ds_store_b128 v51, v[0:3] offset:32
	ds_store_b128 v51, v[0:3] offset:64
	;; [unrolled: 1-line block ×7, first 2 shown]
	s_waitcnt lgkmcnt(0)
	buffer_gl0_inv
	v_cmpx_lt_i64_e64 v[27:28], v[4:5]
	s_cbranch_execz .LBB173_23
; %bb.12:                               ;   in Loop: Header=BB173_11 Depth=1
	v_lshlrev_b64 v[29:30], 4, v[27:28]
	v_lshlrev_b64 v[36:37], 3, v[27:28]
	v_mad_u64_u32 v[33:34], null, v31, s16, 0
	v_dual_mov_b32 v39, v5 :: v_dual_mov_b32 v38, v4
	s_delay_alu instid0(VALU_DEP_4)
	v_add_co_u32 v34, vcc_lo, s20, v29
	v_add_co_ci_u32_e32 v35, vcc_lo, s21, v30, vcc_lo
	v_add_co_u32 v36, vcc_lo, s18, v36
	v_add_co_ci_u32_e32 v37, vcc_lo, s19, v37, vcc_lo
	v_dual_mov_b32 v30, s11 :: v_dual_mov_b32 v29, s10
	s_mov_b32 s13, 0
	s_branch .LBB173_14
.LBB173_13:                             ;   in Loop: Header=BB173_14 Depth=2
	s_or_b32 exec_lo, exec_lo, s0
	v_add_co_u32 v27, s0, v27, 2
	s_delay_alu instid0(VALU_DEP_1) | instskip(SKIP_2) | instid1(VALU_DEP_2)
	v_add_co_ci_u32_e64 v28, s0, 0, v28, s0
	s_xor_b32 s3, vcc_lo, -1
	v_add_co_u32 v34, vcc_lo, v34, 32
	v_cmp_ge_i64_e64 s0, v[27:28], v[4:5]
	v_add_co_ci_u32_e32 v35, vcc_lo, 0, v35, vcc_lo
	v_add_co_u32 v36, vcc_lo, v36, 16
	v_add_co_ci_u32_e32 v37, vcc_lo, 0, v37, vcc_lo
	s_delay_alu instid0(VALU_DEP_4) | instskip(SKIP_2) | instid1(SALU_CYCLE_1)
	s_or_b32 s0, s3, s0
	v_dual_mov_b32 v38, v40 :: v_dual_mov_b32 v39, v41
	s_and_b32 s0, exec_lo, s0
	s_or_b32 s13, s0, s13
	s_delay_alu instid0(SALU_CYCLE_1)
	s_and_not1_b32 exec_lo, exec_lo, s13
	s_cbranch_execz .LBB173_22
.LBB173_14:                             ;   Parent Loop BB173_11 Depth=1
                                        ; =>  This Inner Loop Header: Depth=2
	global_load_b64 v[40:41], v[36:37], off
	s_mov_b32 s0, exec_lo
	s_waitcnt vmcnt(0)
	v_sub_co_u32 v65, vcc_lo, v40, s22
	v_subrev_co_ci_u32_e32 v66, vcc_lo, 0, v41, vcc_lo
                                        ; implicit-def: $vgpr40_vgpr41
	s_delay_alu instid0(VALU_DEP_1) | instskip(NEXT) | instid1(VALU_DEP_1)
	v_or_b32_e32 v9, s17, v66
	v_cmpx_ne_u64_e32 0, v[8:9]
	s_xor_b32 s14, exec_lo, s0
	s_cbranch_execz .LBB173_16
; %bb.15:                               ;   in Loop: Header=BB173_14 Depth=2
	s_add_u32 s4, s16, s2
	s_mov_b32 s3, s2
	s_addc_u32 s5, s17, s2
	s_delay_alu instid0(SALU_CYCLE_1) | instskip(NEXT) | instid1(SALU_CYCLE_1)
	s_xor_b64 s[4:5], s[4:5], s[2:3]
	v_cvt_f32_u32_e32 v9, s4
	v_cvt_f32_u32_e32 v40, s5
	s_sub_u32 s0, 0, s4
	s_subb_u32 s3, 0, s5
	s_delay_alu instid0(VALU_DEP_1) | instskip(NEXT) | instid1(VALU_DEP_1)
	v_fmac_f32_e32 v9, 0x4f800000, v40
	v_rcp_f32_e32 v9, v9
	s_waitcnt_depctr 0xfff
	v_mul_f32_e32 v9, 0x5f7ffffc, v9
	s_delay_alu instid0(VALU_DEP_1) | instskip(NEXT) | instid1(VALU_DEP_1)
	v_mul_f32_e32 v40, 0x2f800000, v9
	v_trunc_f32_e32 v40, v40
	s_delay_alu instid0(VALU_DEP_1) | instskip(SKIP_1) | instid1(VALU_DEP_2)
	v_fmac_f32_e32 v9, 0xcf800000, v40
	v_cvt_u32_f32_e32 v40, v40
	v_cvt_u32_f32_e32 v9, v9
	s_delay_alu instid0(VALU_DEP_2) | instskip(NEXT) | instid1(VALU_DEP_2)
	v_mul_lo_u32 v41, s0, v40
	v_mul_hi_u32 v67, s0, v9
	v_mul_lo_u32 v68, s3, v9
	s_delay_alu instid0(VALU_DEP_2) | instskip(SKIP_1) | instid1(VALU_DEP_2)
	v_add_nc_u32_e32 v41, v67, v41
	v_mul_lo_u32 v67, s0, v9
	v_add_nc_u32_e32 v41, v41, v68
	s_delay_alu instid0(VALU_DEP_2) | instskip(NEXT) | instid1(VALU_DEP_2)
	v_mul_hi_u32 v68, v9, v67
	v_mul_lo_u32 v69, v9, v41
	v_mul_hi_u32 v70, v9, v41
	v_mul_hi_u32 v71, v40, v67
	v_mul_lo_u32 v67, v40, v67
	v_mul_hi_u32 v72, v40, v41
	v_mul_lo_u32 v41, v40, v41
	v_add_co_u32 v68, vcc_lo, v68, v69
	v_add_co_ci_u32_e32 v69, vcc_lo, 0, v70, vcc_lo
	s_delay_alu instid0(VALU_DEP_2) | instskip(NEXT) | instid1(VALU_DEP_2)
	v_add_co_u32 v67, vcc_lo, v68, v67
	v_add_co_ci_u32_e32 v67, vcc_lo, v69, v71, vcc_lo
	v_add_co_ci_u32_e32 v68, vcc_lo, 0, v72, vcc_lo
	v_ashrrev_i32_e32 v71, 31, v66
	s_delay_alu instid0(VALU_DEP_3) | instskip(NEXT) | instid1(VALU_DEP_3)
	v_add_co_u32 v41, vcc_lo, v67, v41
	v_add_co_ci_u32_e32 v67, vcc_lo, 0, v68, vcc_lo
	s_delay_alu instid0(VALU_DEP_2) | instskip(NEXT) | instid1(VALU_DEP_2)
	v_add_co_u32 v9, vcc_lo, v9, v41
	v_add_co_ci_u32_e32 v40, vcc_lo, v40, v67, vcc_lo
	s_delay_alu instid0(VALU_DEP_2) | instskip(SKIP_1) | instid1(VALU_DEP_3)
	v_mul_hi_u32 v41, s0, v9
	v_mul_lo_u32 v68, s3, v9
	v_mul_lo_u32 v67, s0, v40
	s_delay_alu instid0(VALU_DEP_1) | instskip(SKIP_1) | instid1(VALU_DEP_2)
	v_add_nc_u32_e32 v41, v41, v67
	v_mul_lo_u32 v67, s0, v9
	v_add_nc_u32_e32 v41, v41, v68
	s_delay_alu instid0(VALU_DEP_2) | instskip(NEXT) | instid1(VALU_DEP_2)
	v_mul_hi_u32 v68, v9, v67
	v_mul_lo_u32 v69, v9, v41
	v_mul_hi_u32 v70, v9, v41
	v_mul_hi_u32 v72, v40, v67
	v_mul_lo_u32 v67, v40, v67
	v_mul_hi_u32 v73, v40, v41
	v_mul_lo_u32 v41, v40, v41
	v_add_co_u32 v68, vcc_lo, v68, v69
	v_add_co_ci_u32_e32 v69, vcc_lo, 0, v70, vcc_lo
	s_delay_alu instid0(VALU_DEP_2) | instskip(NEXT) | instid1(VALU_DEP_2)
	v_add_co_u32 v67, vcc_lo, v68, v67
	v_add_co_ci_u32_e32 v67, vcc_lo, v69, v72, vcc_lo
	v_add_co_ci_u32_e32 v68, vcc_lo, 0, v73, vcc_lo
	v_add_co_u32 v69, vcc_lo, v65, v71
	v_add_co_ci_u32_e32 v66, vcc_lo, v66, v71, vcc_lo
	s_delay_alu instid0(VALU_DEP_4) | instskip(NEXT) | instid1(VALU_DEP_4)
	v_add_co_u32 v41, vcc_lo, v67, v41
	v_add_co_ci_u32_e32 v67, vcc_lo, 0, v68, vcc_lo
	s_delay_alu instid0(VALU_DEP_4) | instskip(NEXT) | instid1(VALU_DEP_3)
	v_xor_b32_e32 v70, v69, v71
	v_add_co_u32 v9, vcc_lo, v9, v41
	s_delay_alu instid0(VALU_DEP_3) | instskip(SKIP_1) | instid1(VALU_DEP_3)
	v_add_co_ci_u32_e32 v72, vcc_lo, v40, v67, vcc_lo
	v_xor_b32_e32 v73, v66, v71
	v_mul_hi_u32 v74, v70, v9
	s_delay_alu instid0(VALU_DEP_3) | instskip(NEXT) | instid1(VALU_DEP_3)
	v_mad_u64_u32 v[40:41], null, v70, v72, 0
	v_mad_u64_u32 v[66:67], null, v73, v9, 0
	;; [unrolled: 1-line block ×3, first 2 shown]
	s_delay_alu instid0(VALU_DEP_3) | instskip(NEXT) | instid1(VALU_DEP_4)
	v_add_co_u32 v9, vcc_lo, v74, v40
	v_add_co_ci_u32_e32 v40, vcc_lo, 0, v41, vcc_lo
	s_delay_alu instid0(VALU_DEP_2) | instskip(NEXT) | instid1(VALU_DEP_2)
	v_add_co_u32 v9, vcc_lo, v9, v66
	v_add_co_ci_u32_e32 v9, vcc_lo, v40, v67, vcc_lo
	v_add_co_ci_u32_e32 v40, vcc_lo, 0, v69, vcc_lo
	s_delay_alu instid0(VALU_DEP_2) | instskip(NEXT) | instid1(VALU_DEP_2)
	v_add_co_u32 v9, vcc_lo, v9, v68
	v_add_co_ci_u32_e32 v66, vcc_lo, 0, v40, vcc_lo
	s_delay_alu instid0(VALU_DEP_2) | instskip(SKIP_1) | instid1(VALU_DEP_3)
	v_mul_lo_u32 v67, s5, v9
	v_mad_u64_u32 v[40:41], null, s4, v9, 0
	v_mul_lo_u32 v68, s4, v66
	s_delay_alu instid0(VALU_DEP_2) | instskip(NEXT) | instid1(VALU_DEP_2)
	v_sub_co_u32 v40, vcc_lo, v70, v40
	v_add3_u32 v41, v41, v68, v67
	s_delay_alu instid0(VALU_DEP_1) | instskip(NEXT) | instid1(VALU_DEP_1)
	v_sub_nc_u32_e32 v67, v73, v41
	v_subrev_co_ci_u32_e64 v67, s0, s5, v67, vcc_lo
	v_add_co_u32 v68, s0, v9, 2
	s_delay_alu instid0(VALU_DEP_1) | instskip(SKIP_3) | instid1(VALU_DEP_3)
	v_add_co_ci_u32_e64 v69, s0, 0, v66, s0
	v_sub_co_u32 v70, s0, v40, s4
	v_sub_co_ci_u32_e32 v41, vcc_lo, v73, v41, vcc_lo
	v_subrev_co_ci_u32_e64 v67, s0, 0, v67, s0
	v_cmp_le_u32_e32 vcc_lo, s4, v70
	s_delay_alu instid0(VALU_DEP_3) | instskip(SKIP_1) | instid1(VALU_DEP_4)
	v_cmp_eq_u32_e64 s0, s5, v41
	v_cndmask_b32_e64 v70, 0, -1, vcc_lo
	v_cmp_le_u32_e32 vcc_lo, s5, v67
	v_cndmask_b32_e64 v72, 0, -1, vcc_lo
	v_cmp_le_u32_e32 vcc_lo, s4, v40
	;; [unrolled: 2-line block ×3, first 2 shown]
	v_cndmask_b32_e64 v73, 0, -1, vcc_lo
	v_cmp_eq_u32_e32 vcc_lo, s5, v67
	s_delay_alu instid0(VALU_DEP_2) | instskip(SKIP_3) | instid1(VALU_DEP_3)
	v_cndmask_b32_e64 v40, v73, v40, s0
	v_cndmask_b32_e32 v67, v72, v70, vcc_lo
	v_add_co_u32 v70, vcc_lo, v9, 1
	v_add_co_ci_u32_e32 v72, vcc_lo, 0, v66, vcc_lo
	v_cmp_ne_u32_e32 vcc_lo, 0, v67
	s_delay_alu instid0(VALU_DEP_2) | instskip(NEXT) | instid1(VALU_DEP_4)
	v_cndmask_b32_e32 v41, v72, v69, vcc_lo
	v_cndmask_b32_e32 v67, v70, v68, vcc_lo
	v_cmp_ne_u32_e32 vcc_lo, 0, v40
	v_xor_b32_e32 v68, s2, v71
	s_delay_alu instid0(VALU_DEP_3) | instskip(NEXT) | instid1(VALU_DEP_1)
	v_dual_cndmask_b32 v9, v9, v67 :: v_dual_cndmask_b32 v40, v66, v41
	v_xor_b32_e32 v9, v9, v68
	s_delay_alu instid0(VALU_DEP_2) | instskip(NEXT) | instid1(VALU_DEP_2)
	v_xor_b32_e32 v41, v40, v68
	v_sub_co_u32 v40, vcc_lo, v9, v68
	s_delay_alu instid0(VALU_DEP_2)
	v_sub_co_ci_u32_e32 v41, vcc_lo, v41, v68, vcc_lo
.LBB173_16:                             ;   in Loop: Header=BB173_14 Depth=2
	s_and_not1_saveexec_b32 s0, s14
; %bb.17:                               ;   in Loop: Header=BB173_14 Depth=2
	v_mul_hi_u32 v9, v65, v63
	s_delay_alu instid0(VALU_DEP_1) | instskip(NEXT) | instid1(VALU_DEP_1)
	v_mul_lo_u32 v40, v9, s16
	v_sub_nc_u32_e32 v40, v65, v40
	s_delay_alu instid0(VALU_DEP_1) | instskip(SKIP_1) | instid1(VALU_DEP_2)
	v_subrev_nc_u32_e32 v66, s16, v40
	v_cmp_le_u32_e32 vcc_lo, s16, v40
	v_dual_cndmask_b32 v40, v40, v66 :: v_dual_add_nc_u32 v41, 1, v9
	s_delay_alu instid0(VALU_DEP_1) | instskip(NEXT) | instid1(VALU_DEP_2)
	v_cndmask_b32_e32 v9, v9, v41, vcc_lo
	v_cmp_le_u32_e32 vcc_lo, s16, v40
	s_delay_alu instid0(VALU_DEP_2) | instskip(NEXT) | instid1(VALU_DEP_1)
	v_add_nc_u32_e32 v41, 1, v9
	v_dual_cndmask_b32 v40, v9, v41 :: v_dual_mov_b32 v41, v8
; %bb.18:                               ;   in Loop: Header=BB173_14 Depth=2
	s_or_b32 exec_lo, exec_lo, s0
	s_delay_alu instid0(VALU_DEP_1)
	v_cmp_eq_u64_e32 vcc_lo, v[40:41], v[31:32]
	s_mov_b32 s3, exec_lo
	v_cmpx_ne_u64_e64 v[40:41], v[31:32]
	s_xor_b32 s3, exec_lo, s3
; %bb.19:                               ;   in Loop: Header=BB173_14 Depth=2
	v_cmp_lt_i64_e64 s0, v[40:41], v[29:30]
                                        ; implicit-def: $vgpr65
                                        ; implicit-def: $vgpr38_vgpr39
	s_delay_alu instid0(VALU_DEP_1)
	v_cndmask_b32_e64 v30, v30, v41, s0
	v_cndmask_b32_e64 v29, v29, v40, s0
; %bb.20:                               ;   in Loop: Header=BB173_14 Depth=2
	s_or_saveexec_b32 s0, s3
	v_dual_mov_b32 v41, v28 :: v_dual_mov_b32 v40, v27
	s_xor_b32 exec_lo, exec_lo, s0
	s_cbranch_execz .LBB173_13
; %bb.21:                               ;   in Loop: Header=BB173_14 Depth=2
	global_load_b128 v[66:69], v[34:35], off
	v_sub_nc_u32_e32 v9, v65, v33
	v_dual_mov_b32 v41, v39 :: v_dual_mov_b32 v40, v38
	s_delay_alu instid0(VALU_DEP_2)
	v_add_lshl_u32 v9, v45, v9, 4
	ds_store_b8 v42, v64 offset:32768
	s_waitcnt vmcnt(0)
	ds_store_2addr_b64 v9, v[66:67], v[68:69] offset1:1
	s_branch .LBB173_13
.LBB173_22:                             ;   in Loop: Header=BB173_11 Depth=1
	s_or_b32 exec_lo, exec_lo, s13
.LBB173_23:                             ;   in Loop: Header=BB173_11 Depth=1
	s_delay_alu instid0(SALU_CYCLE_1)
	s_or_b32 exec_lo, exec_lo, s1
	ds_bpermute_b32 v27, v46, v40
	ds_bpermute_b32 v28, v46, v41
	s_waitcnt lgkmcnt(0)
	buffer_gl0_inv
	ds_load_u8 v9, v42 offset:32768
	v_mov_b32_e32 v33, 0
	s_mov_b32 s3, exec_lo
	v_mov_b32_e32 v34, 0
	v_cmp_lt_i64_e32 vcc_lo, v[27:28], v[40:41]
	s_waitcnt lgkmcnt(0)
	v_dual_cndmask_b32 v28, v41, v28 :: v_dual_and_b32 v9, 1, v9
	v_cndmask_b32_e32 v27, v40, v27, vcc_lo
	ds_bpermute_b32 v28, v47, v28
	ds_bpermute_b32 v27, v47, v27
	v_cmpx_eq_u32_e32 1, v9
	s_cbranch_execz .LBB173_10
; %bb.24:                               ;   in Loop: Header=BB173_11 Depth=1
	v_mul_lo_u32 v9, s24, v6
	v_mul_lo_u32 v37, s25, v7
	v_mad_u64_u32 v[33:34], null, s25, v6, 0
	v_lshlrev_b64 v[35:36], 3, v[6:7]
	s_delay_alu instid0(VALU_DEP_2) | instskip(SKIP_2) | instid1(VALU_DEP_3)
	v_add3_u32 v34, v34, v37, v9
	v_add_co_u32 v37, vcc_lo, v31, s23
	v_add_co_ci_u32_e32 v38, vcc_lo, 0, v32, vcc_lo
	v_lshlrev_b64 v[33:34], 4, v[33:34]
	v_add_co_u32 v39, vcc_lo, s8, v35
	v_add_co_ci_u32_e32 v40, vcc_lo, s9, v36, vcc_lo
	s_delay_alu instid0(VALU_DEP_3) | instskip(NEXT) | instid1(VALU_DEP_4)
	v_add_co_u32 v32, vcc_lo, v43, v33
	v_add_co_ci_u32_e32 v35, vcc_lo, v44, v34, vcc_lo
	v_add_co_u32 v9, vcc_lo, v48, v33
	v_add_co_ci_u32_e32 v31, vcc_lo, v49, v34, vcc_lo
	global_store_b64 v[39:40], v[37:38], off
	s_and_saveexec_b32 s0, s27
	s_cbranch_execz .LBB173_28
; %bb.25:                               ;   in Loop: Header=BB173_11 Depth=1
	s_and_b32 vcc_lo, exec_lo, s26
	s_cbranch_vccz .LBB173_55
; %bb.26:                               ;   in Loop: Header=BB173_11 Depth=1
	ds_load_2addr_b64 v[36:39], v51 offset1:1
	v_add_co_u32 v33, vcc_lo, v32, v11
	v_add_co_ci_u32_e32 v34, vcc_lo, v35, v12, vcc_lo
	s_waitcnt lgkmcnt(0)
	global_store_b128 v[33:34], v[36:39], off
	s_cbranch_execnz .LBB173_28
.LBB173_27:                             ;   in Loop: Header=BB173_11 Depth=1
	ds_load_2addr_b64 v[36:39], v51 offset1:1
	v_lshlrev_b32_e32 v33, 4, v10
	s_delay_alu instid0(VALU_DEP_1)
	v_add_co_u32 v33, vcc_lo, v9, v33
	v_add_co_ci_u32_e32 v34, vcc_lo, 0, v31, vcc_lo
	s_waitcnt lgkmcnt(0)
	global_store_b128 v[33:34], v[36:39], off
.LBB173_28:                             ;   in Loop: Header=BB173_11 Depth=1
	s_or_b32 exec_lo, exec_lo, s0
	s_and_saveexec_b32 s0, s28
	s_cbranch_execz .LBB173_32
; %bb.29:                               ;   in Loop: Header=BB173_11 Depth=1
	s_and_not1_b32 vcc_lo, exec_lo, s26
	s_cbranch_vccnz .LBB173_56
; %bb.30:                               ;   in Loop: Header=BB173_11 Depth=1
	ds_load_2addr_b64 v[36:39], v56 offset1:1
	v_add_co_u32 v33, vcc_lo, v32, v13
	v_add_co_ci_u32_e32 v34, vcc_lo, v35, v14, vcc_lo
	s_waitcnt lgkmcnt(0)
	global_store_b128 v[33:34], v[36:39], off
	s_cbranch_execnz .LBB173_32
.LBB173_31:                             ;   in Loop: Header=BB173_11 Depth=1
	ds_load_2addr_b64 v[36:39], v56 offset1:1
	v_lshlrev_b32_e32 v33, 4, v10
	s_delay_alu instid0(VALU_DEP_1)
	v_add_co_u32 v33, vcc_lo, v9, v33
	v_add_co_ci_u32_e32 v34, vcc_lo, 0, v31, vcc_lo
	s_waitcnt lgkmcnt(0)
	global_store_b128 v[33:34], v[36:39], off offset:32
.LBB173_32:                             ;   in Loop: Header=BB173_11 Depth=1
	s_or_b32 exec_lo, exec_lo, s0
	s_and_saveexec_b32 s0, s29
	s_cbranch_execz .LBB173_36
; %bb.33:                               ;   in Loop: Header=BB173_11 Depth=1
	s_and_not1_b32 vcc_lo, exec_lo, s26
	s_cbranch_vccnz .LBB173_57
; %bb.34:                               ;   in Loop: Header=BB173_11 Depth=1
	ds_load_2addr_b64 v[36:39], v57 offset1:1
	v_add_co_u32 v33, vcc_lo, v32, v15
	v_add_co_ci_u32_e32 v34, vcc_lo, v35, v16, vcc_lo
	s_waitcnt lgkmcnt(0)
	global_store_b128 v[33:34], v[36:39], off
	s_cbranch_execnz .LBB173_36
.LBB173_35:                             ;   in Loop: Header=BB173_11 Depth=1
	ds_load_2addr_b64 v[36:39], v57 offset1:1
	v_lshlrev_b32_e32 v33, 4, v10
	s_delay_alu instid0(VALU_DEP_1)
	v_add_co_u32 v33, vcc_lo, v9, v33
	v_add_co_ci_u32_e32 v34, vcc_lo, 0, v31, vcc_lo
	s_waitcnt lgkmcnt(0)
	global_store_b128 v[33:34], v[36:39], off offset:64
.LBB173_36:                             ;   in Loop: Header=BB173_11 Depth=1
	s_or_b32 exec_lo, exec_lo, s0
	s_and_saveexec_b32 s0, s30
	s_cbranch_execz .LBB173_40
; %bb.37:                               ;   in Loop: Header=BB173_11 Depth=1
	s_and_not1_b32 vcc_lo, exec_lo, s26
	s_cbranch_vccnz .LBB173_58
; %bb.38:                               ;   in Loop: Header=BB173_11 Depth=1
	ds_load_2addr_b64 v[36:39], v58 offset1:1
	v_add_co_u32 v33, vcc_lo, v32, v17
	v_add_co_ci_u32_e32 v34, vcc_lo, v35, v18, vcc_lo
	s_waitcnt lgkmcnt(0)
	global_store_b128 v[33:34], v[36:39], off
	s_cbranch_execnz .LBB173_40
.LBB173_39:                             ;   in Loop: Header=BB173_11 Depth=1
	ds_load_2addr_b64 v[36:39], v58 offset1:1
	v_lshlrev_b32_e32 v33, 4, v10
	s_delay_alu instid0(VALU_DEP_1)
	v_add_co_u32 v33, vcc_lo, v9, v33
	v_add_co_ci_u32_e32 v34, vcc_lo, 0, v31, vcc_lo
	s_waitcnt lgkmcnt(0)
	global_store_b128 v[33:34], v[36:39], off offset:96
.LBB173_40:                             ;   in Loop: Header=BB173_11 Depth=1
	s_or_b32 exec_lo, exec_lo, s0
	s_and_saveexec_b32 s0, s31
	s_cbranch_execz .LBB173_44
; %bb.41:                               ;   in Loop: Header=BB173_11 Depth=1
	s_and_not1_b32 vcc_lo, exec_lo, s26
	s_cbranch_vccnz .LBB173_59
; %bb.42:                               ;   in Loop: Header=BB173_11 Depth=1
	ds_load_2addr_b64 v[36:39], v59 offset1:1
	v_add_co_u32 v33, vcc_lo, v32, v19
	v_add_co_ci_u32_e32 v34, vcc_lo, v35, v20, vcc_lo
	s_waitcnt lgkmcnt(0)
	global_store_b128 v[33:34], v[36:39], off
	s_cbranch_execnz .LBB173_44
.LBB173_43:                             ;   in Loop: Header=BB173_11 Depth=1
	ds_load_2addr_b64 v[36:39], v59 offset1:1
	v_lshlrev_b32_e32 v33, 4, v10
	s_delay_alu instid0(VALU_DEP_1)
	v_add_co_u32 v33, vcc_lo, v9, v33
	v_add_co_ci_u32_e32 v34, vcc_lo, 0, v31, vcc_lo
	s_waitcnt lgkmcnt(0)
	global_store_b128 v[33:34], v[36:39], off offset:128
.LBB173_44:                             ;   in Loop: Header=BB173_11 Depth=1
	s_or_b32 exec_lo, exec_lo, s0
	s_and_saveexec_b32 s0, s33
	s_cbranch_execz .LBB173_48
; %bb.45:                               ;   in Loop: Header=BB173_11 Depth=1
	s_and_not1_b32 vcc_lo, exec_lo, s26
	s_cbranch_vccnz .LBB173_60
; %bb.46:                               ;   in Loop: Header=BB173_11 Depth=1
	ds_load_2addr_b64 v[36:39], v60 offset1:1
	v_add_co_u32 v33, vcc_lo, v32, v21
	v_add_co_ci_u32_e32 v34, vcc_lo, v35, v22, vcc_lo
	s_waitcnt lgkmcnt(0)
	global_store_b128 v[33:34], v[36:39], off
	s_cbranch_execnz .LBB173_48
.LBB173_47:                             ;   in Loop: Header=BB173_11 Depth=1
	ds_load_2addr_b64 v[36:39], v60 offset1:1
	v_lshlrev_b32_e32 v33, 4, v10
	s_delay_alu instid0(VALU_DEP_1)
	v_add_co_u32 v33, vcc_lo, v9, v33
	v_add_co_ci_u32_e32 v34, vcc_lo, 0, v31, vcc_lo
	s_waitcnt lgkmcnt(0)
	global_store_b128 v[33:34], v[36:39], off offset:160
.LBB173_48:                             ;   in Loop: Header=BB173_11 Depth=1
	s_or_b32 exec_lo, exec_lo, s0
	s_and_saveexec_b32 s0, s6
	s_cbranch_execz .LBB173_52
; %bb.49:                               ;   in Loop: Header=BB173_11 Depth=1
	s_and_not1_b32 vcc_lo, exec_lo, s26
	s_cbranch_vccnz .LBB173_61
; %bb.50:                               ;   in Loop: Header=BB173_11 Depth=1
	ds_load_2addr_b64 v[36:39], v61 offset1:1
	v_add_co_u32 v33, vcc_lo, v32, v23
	v_add_co_ci_u32_e32 v34, vcc_lo, v35, v24, vcc_lo
	s_waitcnt lgkmcnt(0)
	global_store_b128 v[33:34], v[36:39], off
	s_cbranch_execnz .LBB173_52
.LBB173_51:                             ;   in Loop: Header=BB173_11 Depth=1
	ds_load_2addr_b64 v[36:39], v61 offset1:1
	v_lshlrev_b32_e32 v33, 4, v10
	s_delay_alu instid0(VALU_DEP_1)
	v_add_co_u32 v33, vcc_lo, v9, v33
	v_add_co_ci_u32_e32 v34, vcc_lo, 0, v31, vcc_lo
	s_waitcnt lgkmcnt(0)
	global_store_b128 v[33:34], v[36:39], off offset:192
.LBB173_52:                             ;   in Loop: Header=BB173_11 Depth=1
	s_or_b32 exec_lo, exec_lo, s0
	v_mov_b32_e32 v33, 1
	v_mov_b32_e32 v34, 0
	s_and_saveexec_b32 s4, s7
	s_cbranch_execz .LBB173_9
; %bb.53:                               ;   in Loop: Header=BB173_11 Depth=1
	s_and_not1_b32 vcc_lo, exec_lo, s26
	s_cbranch_vccnz .LBB173_62
; %bb.54:                               ;   in Loop: Header=BB173_11 Depth=1
	ds_load_2addr_b64 v[36:39], v62 offset1:1
	v_add_co_u32 v32, vcc_lo, v32, v25
	v_add_co_ci_u32_e32 v33, vcc_lo, v35, v26, vcc_lo
	s_mov_b64 s[0:1], 1
	s_waitcnt lgkmcnt(0)
	global_store_b128 v[32:33], v[36:39], off
	s_cbranch_execnz .LBB173_8
	s_branch .LBB173_63
.LBB173_55:                             ;   in Loop: Header=BB173_11 Depth=1
	s_branch .LBB173_27
.LBB173_56:                             ;   in Loop: Header=BB173_11 Depth=1
	s_branch .LBB173_31
.LBB173_57:                             ;   in Loop: Header=BB173_11 Depth=1
	s_branch .LBB173_35
.LBB173_58:                             ;   in Loop: Header=BB173_11 Depth=1
	s_branch .LBB173_39
.LBB173_59:                             ;   in Loop: Header=BB173_11 Depth=1
	s_branch .LBB173_43
.LBB173_60:                             ;   in Loop: Header=BB173_11 Depth=1
	s_branch .LBB173_47
.LBB173_61:                             ;   in Loop: Header=BB173_11 Depth=1
	s_branch .LBB173_51
.LBB173_62:                             ;   in Loop: Header=BB173_11 Depth=1
                                        ; implicit-def: $sgpr0_sgpr1
.LBB173_63:                             ;   in Loop: Header=BB173_11 Depth=1
	ds_load_2addr_b64 v[32:35], v62 offset1:1
	v_lshlrev_b32_e32 v36, 4, v10
	s_mov_b64 s[0:1], 1
	s_delay_alu instid0(VALU_DEP_1)
	v_add_co_u32 v36, vcc_lo, v9, v36
	v_add_co_ci_u32_e32 v37, vcc_lo, 0, v31, vcc_lo
	s_waitcnt lgkmcnt(0)
	global_store_b128 v[36:37], v[32:35], off offset:224
	s_branch .LBB173_8
.LBB173_64:
	s_endpgm
	.section	.rodata,"a",@progbits
	.p2align	6, 0x0
	.amdhsa_kernel _ZN9rocsparseL42csr2bsr_wavefront_per_row_multipass_kernelILj256ELj32ELj16E21rocsparse_complex_numIdEllEEv20rocsparse_direction_T4_S4_S4_S4_S4_21rocsparse_index_base_PKT2_PKT3_PKS4_S5_PS6_PS9_PS4_
		.amdhsa_group_segment_fixed_size 32776
		.amdhsa_private_segment_fixed_size 0
		.amdhsa_kernarg_size 112
		.amdhsa_user_sgpr_count 15
		.amdhsa_user_sgpr_dispatch_ptr 0
		.amdhsa_user_sgpr_queue_ptr 0
		.amdhsa_user_sgpr_kernarg_segment_ptr 1
		.amdhsa_user_sgpr_dispatch_id 0
		.amdhsa_user_sgpr_private_segment_size 0
		.amdhsa_wavefront_size32 1
		.amdhsa_uses_dynamic_stack 0
		.amdhsa_enable_private_segment 0
		.amdhsa_system_sgpr_workgroup_id_x 1
		.amdhsa_system_sgpr_workgroup_id_y 0
		.amdhsa_system_sgpr_workgroup_id_z 0
		.amdhsa_system_sgpr_workgroup_info 0
		.amdhsa_system_vgpr_workitem_id 0
		.amdhsa_next_free_vgpr 75
		.amdhsa_next_free_sgpr 34
		.amdhsa_reserve_vcc 1
		.amdhsa_float_round_mode_32 0
		.amdhsa_float_round_mode_16_64 0
		.amdhsa_float_denorm_mode_32 3
		.amdhsa_float_denorm_mode_16_64 3
		.amdhsa_dx10_clamp 1
		.amdhsa_ieee_mode 1
		.amdhsa_fp16_overflow 0
		.amdhsa_workgroup_processor_mode 1
		.amdhsa_memory_ordered 1
		.amdhsa_forward_progress 0
		.amdhsa_shared_vgpr_count 0
		.amdhsa_exception_fp_ieee_invalid_op 0
		.amdhsa_exception_fp_denorm_src 0
		.amdhsa_exception_fp_ieee_div_zero 0
		.amdhsa_exception_fp_ieee_overflow 0
		.amdhsa_exception_fp_ieee_underflow 0
		.amdhsa_exception_fp_ieee_inexact 0
		.amdhsa_exception_int_div_zero 0
	.end_amdhsa_kernel
	.section	.text._ZN9rocsparseL42csr2bsr_wavefront_per_row_multipass_kernelILj256ELj32ELj16E21rocsparse_complex_numIdEllEEv20rocsparse_direction_T4_S4_S4_S4_S4_21rocsparse_index_base_PKT2_PKT3_PKS4_S5_PS6_PS9_PS4_,"axG",@progbits,_ZN9rocsparseL42csr2bsr_wavefront_per_row_multipass_kernelILj256ELj32ELj16E21rocsparse_complex_numIdEllEEv20rocsparse_direction_T4_S4_S4_S4_S4_21rocsparse_index_base_PKT2_PKT3_PKS4_S5_PS6_PS9_PS4_,comdat
.Lfunc_end173:
	.size	_ZN9rocsparseL42csr2bsr_wavefront_per_row_multipass_kernelILj256ELj32ELj16E21rocsparse_complex_numIdEllEEv20rocsparse_direction_T4_S4_S4_S4_S4_21rocsparse_index_base_PKT2_PKT3_PKS4_S5_PS6_PS9_PS4_, .Lfunc_end173-_ZN9rocsparseL42csr2bsr_wavefront_per_row_multipass_kernelILj256ELj32ELj16E21rocsparse_complex_numIdEllEEv20rocsparse_direction_T4_S4_S4_S4_S4_21rocsparse_index_base_PKT2_PKT3_PKS4_S5_PS6_PS9_PS4_
                                        ; -- End function
	.section	.AMDGPU.csdata,"",@progbits
; Kernel info:
; codeLenInByte = 3912
; NumSgprs: 36
; NumVgprs: 75
; ScratchSize: 0
; MemoryBound: 0
; FloatMode: 240
; IeeeMode: 1
; LDSByteSize: 32776 bytes/workgroup (compile time only)
; SGPRBlocks: 4
; VGPRBlocks: 9
; NumSGPRsForWavesPerEU: 36
; NumVGPRsForWavesPerEU: 75
; Occupancy: 6
; WaveLimiterHint : 0
; COMPUTE_PGM_RSRC2:SCRATCH_EN: 0
; COMPUTE_PGM_RSRC2:USER_SGPR: 15
; COMPUTE_PGM_RSRC2:TRAP_HANDLER: 0
; COMPUTE_PGM_RSRC2:TGID_X_EN: 1
; COMPUTE_PGM_RSRC2:TGID_Y_EN: 0
; COMPUTE_PGM_RSRC2:TGID_Z_EN: 0
; COMPUTE_PGM_RSRC2:TIDIG_COMP_CNT: 0
	.section	.text._ZN9rocsparseL38csr2bsr_block_per_row_multipass_kernelILj256ELj32E21rocsparse_complex_numIdEllEEv20rocsparse_direction_T3_S4_S4_S4_S4_21rocsparse_index_base_PKT1_PKT2_PKS4_S5_PS6_PS9_PS4_,"axG",@progbits,_ZN9rocsparseL38csr2bsr_block_per_row_multipass_kernelILj256ELj32E21rocsparse_complex_numIdEllEEv20rocsparse_direction_T3_S4_S4_S4_S4_21rocsparse_index_base_PKT1_PKT2_PKS4_S5_PS6_PS9_PS4_,comdat
	.globl	_ZN9rocsparseL38csr2bsr_block_per_row_multipass_kernelILj256ELj32E21rocsparse_complex_numIdEllEEv20rocsparse_direction_T3_S4_S4_S4_S4_21rocsparse_index_base_PKT1_PKT2_PKS4_S5_PS6_PS9_PS4_ ; -- Begin function _ZN9rocsparseL38csr2bsr_block_per_row_multipass_kernelILj256ELj32E21rocsparse_complex_numIdEllEEv20rocsparse_direction_T3_S4_S4_S4_S4_21rocsparse_index_base_PKT1_PKT2_PKS4_S5_PS6_PS9_PS4_
	.p2align	8
	.type	_ZN9rocsparseL38csr2bsr_block_per_row_multipass_kernelILj256ELj32E21rocsparse_complex_numIdEllEEv20rocsparse_direction_T3_S4_S4_S4_S4_21rocsparse_index_base_PKT1_PKT2_PKS4_S5_PS6_PS9_PS4_,@function
_ZN9rocsparseL38csr2bsr_block_per_row_multipass_kernelILj256ELj32E21rocsparse_complex_numIdEllEEv20rocsparse_direction_T3_S4_S4_S4_S4_21rocsparse_index_base_PKT1_PKT2_PKS4_S5_PS6_PS9_PS4_: ; @_ZN9rocsparseL38csr2bsr_block_per_row_multipass_kernelILj256ELj32E21rocsparse_complex_numIdEllEEv20rocsparse_direction_T3_S4_S4_S4_S4_21rocsparse_index_base_PKT1_PKT2_PKS4_S5_PS6_PS9_PS4_
; %bb.0:
	s_mov_b32 s2, s15
	s_clause 0x1
	s_load_b128 s[12:15], s[0:1], 0x20
	s_load_b64 s[6:7], s[0:1], 0x8
	v_mov_b32_e32 v2, 0
	v_lshrrev_b32_e32 v1, 3, v0
	v_mov_b32_e32 v4, 0
	v_mov_b32_e32 v5, 0
	s_clause 0x1
	s_load_b32 s28, s[0:1], 0x30
	s_load_b64 s[4:5], s[0:1], 0x40
	s_ashr_i32 s3, s2, 31
	v_dual_mov_b32 v18, v5 :: v_dual_mov_b32 v17, v4
	s_waitcnt lgkmcnt(0)
	v_mad_u64_u32 v[6:7], null, s2, s14, v[1:2]
	s_mul_i32 s8, s2, s15
	s_mul_i32 s9, s3, s14
	s_delay_alu instid0(VALU_DEP_1) | instid1(SALU_CYCLE_1)
	v_add3_u32 v7, s8, s9, v7
	v_cmp_gt_i64_e64 s9, s[14:15], v[1:2]
	s_delay_alu instid0(VALU_DEP_2) | instskip(NEXT) | instid1(VALU_DEP_2)
	v_cmp_gt_i64_e32 vcc_lo, s[6:7], v[6:7]
	s_and_b32 s6, s9, vcc_lo
	s_delay_alu instid0(SALU_CYCLE_1)
	s_and_saveexec_b32 s7, s6
	s_cbranch_execnz .LBB174_3
; %bb.1:
	s_or_b32 exec_lo, exec_lo, s7
	s_and_saveexec_b32 s7, s6
	s_cbranch_execnz .LBB174_4
.LBB174_2:
	s_or_b32 exec_lo, exec_lo, s7
	v_cmp_lt_i64_e64 s4, s[12:13], 1
	s_delay_alu instid0(VALU_DEP_1)
	s_and_b32 vcc_lo, exec_lo, s4
	s_cbranch_vccz .LBB174_5
	s_branch .LBB174_45
.LBB174_3:
	v_lshlrev_b64 v[2:3], 3, v[6:7]
	s_delay_alu instid0(VALU_DEP_1) | instskip(NEXT) | instid1(VALU_DEP_2)
	v_add_co_u32 v2, vcc_lo, s4, v2
	v_add_co_ci_u32_e32 v3, vcc_lo, s5, v3, vcc_lo
	global_load_b64 v[2:3], v[2:3], off
	s_waitcnt vmcnt(0)
	v_sub_co_u32 v17, vcc_lo, v2, s28
	v_subrev_co_ci_u32_e32 v18, vcc_lo, 0, v3, vcc_lo
	s_or_b32 exec_lo, exec_lo, s7
	s_and_saveexec_b32 s7, s6
	s_cbranch_execz .LBB174_2
.LBB174_4:
	v_lshlrev_b64 v[2:3], 3, v[6:7]
	s_delay_alu instid0(VALU_DEP_1) | instskip(NEXT) | instid1(VALU_DEP_2)
	v_add_co_u32 v2, vcc_lo, s4, v2
	v_add_co_ci_u32_e32 v3, vcc_lo, s5, v3, vcc_lo
	global_load_b64 v[2:3], v[2:3], off offset:8
	s_waitcnt vmcnt(0)
	v_sub_co_u32 v4, vcc_lo, v2, s28
	v_subrev_co_ci_u32_e32 v5, vcc_lo, 0, v3, vcc_lo
	s_or_b32 exec_lo, exec_lo, s7
	v_cmp_lt_i64_e64 s4, s[12:13], 1
	s_delay_alu instid0(VALU_DEP_1)
	s_and_b32 vcc_lo, exec_lo, s4
	s_cbranch_vccnz .LBB174_45
.LBB174_5:
	s_clause 0x2
	s_load_b128 s[4:7], s[0:1], 0x58
	s_load_b64 s[20:21], s[0:1], 0x68
	s_load_b32 s29, s[0:1], 0x50
	v_mbcnt_lo_u32_b32 v12, -1, 0
	v_mad_u64_u32 v[2:3], null, v1, s14, 0
	s_mul_i32 s8, s14, s15
	s_mul_hi_u32 s10, s14, s14
	s_delay_alu instid0(VALU_DEP_2)
	v_xor_b32_e32 v9, 4, v12
	v_xor_b32_e32 v13, 2, v12
	s_clause 0x2
	s_load_b64 s[22:23], s[0:1], 0x48
	s_load_b64 s[24:25], s[0:1], 0x38
	s_load_b32 s11, s[0:1], 0x0
	s_lshl_b64 s[0:1], s[2:3], 3
	s_add_i32 s2, s10, s8
	v_cmp_gt_i32_e32 vcc_lo, 32, v9
	s_add_i32 s31, s2, s8
	v_mad_u64_u32 v[10:11], null, v1, s15, v[3:4]
	v_dual_cndmask_b32 v15, v12, v9 :: v_dual_and_b32 v8, 7, v0
	v_xor_b32_e32 v14, 1, v12
	s_waitcnt lgkmcnt(0)
	s_add_u32 s0, s6, s0
	s_addc_u32 s1, s7, s1
	v_cmp_gt_i32_e32 vcc_lo, 32, v13
	s_load_b64 s[0:1], s[0:1], 0x0
	v_dual_mov_b32 v6, 0 :: v_dual_lshlrev_b32 v7, 4, v1
	v_lshlrev_b32_e32 v29, 5, v1
	v_dual_cndmask_b32 v1, v12, v13 :: v_dual_lshlrev_b32 v30, 2, v15
	v_cmp_gt_i32_e32 vcc_lo, 32, v14
	v_dual_mov_b32 v3, v10 :: v_dual_lshlrev_b32 v38, 3, v0
	s_delay_alu instid0(VALU_DEP_3) | instskip(SKIP_2) | instid1(VALU_DEP_4)
	v_lshlrev_b32_e32 v31, 2, v1
	v_add_co_u32 v32, s2, s4, v7
	v_cndmask_b32_e32 v11, v12, v14, vcc_lo
	v_lshlrev_b64 v[1:2], 4, v[2:3]
	v_mov_b32_e32 v9, v6
	v_lshlrev_b32_e32 v3, 4, v8
	v_add_co_ci_u32_e64 v33, null, s5, 0, s2
	v_lshlrev_b32_e32 v34, 2, v11
	v_mad_u64_u32 v[10:11], null, v8, s14, 0
	v_add_co_u32 v1, vcc_lo, s4, v1
	s_waitcnt lgkmcnt(0)
	s_sub_u32 s26, s0, s29
	v_add_co_ci_u32_e32 v2, vcc_lo, s5, v2, vcc_lo
	s_subb_u32 s27, s1, 0
	v_add_co_u32 v36, vcc_lo, v1, v3
	v_cmp_gt_u32_e64 s1, 0x80, v0
	v_cmp_gt_u32_e64 s2, 64, v0
	;; [unrolled: 1-line block ×7, first 2 shown]
	v_cmp_eq_u32_e64 s8, 0, v0
	v_mov_b32_e32 v0, v11
	v_or_b32_e32 v1, v29, v8
	v_lshl_or_b32 v35, v12, 2, 28
	v_add_co_ci_u32_e32 v37, vcc_lo, 0, v2, vcc_lo
	v_cmp_gt_i64_e32 vcc_lo, s[14:15], v[8:9]
	s_delay_alu instid0(VALU_DEP_4)
	v_lshlrev_b32_e32 v39, 4, v1
	v_or_b32_e32 v1, 8, v8
	v_mov_b32_e32 v2, v6
	s_cmp_eq_u32 s11, 0
	s_mov_b32 s16, 0
	s_cselect_b32 s0, -1, 0
	v_mad_u64_u32 v[11:12], null, v8, s15, v[0:1]
	v_or_b32_e32 v12, 16, v8
	v_mad_u64_u32 v[14:15], null, v1, s14, 0
	v_or_b32_e32 v0, 24, v8
	s_and_b32 s33, s9, vcc_lo
	s_delay_alu instid0(VALU_DEP_3) | instskip(SKIP_1) | instid1(VALU_DEP_3)
	v_mad_u64_u32 v[19:20], null, v12, s14, 0
	v_cmp_gt_i64_e32 vcc_lo, s[14:15], v[1:2]
	v_mad_u64_u32 v[21:22], null, v0, s14, 0
	v_mov_b32_e32 v3, v15
	s_mov_b32 s17, s16
	s_mov_b32 s18, s16
	s_delay_alu instid0(VALU_DEP_4)
	v_mov_b32_e32 v2, v20
	s_mov_b32 s19, s16
	v_mov_b32_e32 v13, v6
	s_and_b32 s34, s9, vcc_lo
	v_lshlrev_b64 v[9:10], 4, v[10:11]
	v_mad_u64_u32 v[23:24], null, v12, s15, v[2:3]
	v_mov_b32_e32 v2, v22
	v_cmp_gt_i64_e64 s10, s[14:15], v[12:13]
	v_mov_b32_e32 v43, 1
	s_mul_i32 s30, s14, s14
	s_delay_alu instid0(VALU_DEP_3)
	v_mad_u64_u32 v[12:13], null, v0, s15, v[2:3]
	v_mov_b32_e32 v20, v23
	v_or_b32_e32 v40, 0x80, v39
	v_or_b32_e32 v41, 0x100, v39
	;; [unrolled: 1-line block ×3, first 2 shown]
	s_and_b32 s35, s9, s10
	s_ashr_i32 s10, s15, 31
	v_mov_b32_e32 v22, v12
	v_mad_u64_u32 v[15:16], null, v1, s15, v[3:4]
	v_mov_b32_e32 v1, v6
	s_delay_alu instid0(VALU_DEP_1)
	v_cmp_gt_i64_e32 vcc_lo, s[14:15], v[0:1]
	v_mov_b32_e32 v0, s16
	v_mov_b32_e32 v2, s18
	v_lshlrev_b64 v[11:12], 4, v[14:15]
	v_lshlrev_b64 v[13:14], 4, v[19:20]
	;; [unrolled: 1-line block ×3, first 2 shown]
	v_mov_b32_e32 v1, s17
	v_mov_b32_e32 v3, s19
	s_and_b32 s36, s9, vcc_lo
	s_mov_b64 s[16:17], 0
	s_branch .LBB174_7
.LBB174_6:                              ;   in Loop: Header=BB174_7 Depth=1
	s_or_b32 exec_lo, exec_lo, s9
	s_waitcnt lgkmcnt(0)
	s_barrier
	buffer_gl0_inv
	ds_load_b64 v[19:20], v6
	s_add_u32 s26, s18, s26
	s_addc_u32 s27, s19, s27
	s_waitcnt lgkmcnt(0)
	s_barrier
	buffer_gl0_inv
	v_cmp_gt_i64_e32 vcc_lo, s[12:13], v[19:20]
	v_readfirstlane_b32 s16, v19
	v_readfirstlane_b32 s17, v20
	s_cbranch_vccz .LBB174_45
.LBB174_7:                              ; =>This Loop Header: Depth=1
                                        ;     Child Loop BB174_10 Depth 2
	v_add_co_u32 v17, vcc_lo, v17, v8
	v_add_co_ci_u32_e32 v18, vcc_lo, 0, v18, vcc_lo
	v_dual_mov_b32 v20, s13 :: v_dual_mov_b32 v19, s12
	v_dual_mov_b32 v28, v5 :: v_dual_mov_b32 v27, v4
	s_mov_b32 s37, exec_lo
	ds_store_b8 v6, v6 offset:16384
	ds_store_b128 v39, v[0:3]
	ds_store_b128 v39, v[0:3] offset:128
	ds_store_b128 v39, v[0:3] offset:256
	ds_store_b128 v39, v[0:3] offset:384
	s_waitcnt lgkmcnt(0)
	s_barrier
	buffer_gl0_inv
	v_cmpx_lt_i64_e64 v[17:18], v[4:5]
	s_cbranch_execz .LBB174_19
; %bb.8:                                ;   in Loop: Header=BB174_7 Depth=1
	v_lshlrev_b64 v[19:20], 4, v[17:18]
	v_lshlrev_b64 v[23:24], 3, v[17:18]
	v_dual_mov_b32 v26, v5 :: v_dual_mov_b32 v25, v4
	s_mul_i32 s39, s16, s14
	s_mov_b32 s38, 0
	s_delay_alu instid0(VALU_DEP_3)
	v_add_co_u32 v21, vcc_lo, s24, v19
	v_add_co_ci_u32_e32 v22, vcc_lo, s25, v20, vcc_lo
	v_add_co_u32 v23, vcc_lo, s22, v23
	v_add_co_ci_u32_e32 v24, vcc_lo, s23, v24, vcc_lo
	v_dual_mov_b32 v20, s13 :: v_dual_mov_b32 v19, s12
	s_branch .LBB174_10
.LBB174_9:                              ;   in Loop: Header=BB174_10 Depth=2
	s_or_b32 exec_lo, exec_lo, s9
	v_add_co_u32 v17, s9, v17, 8
	s_delay_alu instid0(VALU_DEP_1) | instskip(SKIP_2) | instid1(VALU_DEP_2)
	v_add_co_ci_u32_e64 v18, s9, 0, v18, s9
	s_xor_b32 s11, vcc_lo, -1
	v_add_co_u32 v21, vcc_lo, 0x80, v21
	v_cmp_ge_i64_e64 s9, v[17:18], v[4:5]
	v_add_co_ci_u32_e32 v22, vcc_lo, 0, v22, vcc_lo
	v_add_co_u32 v23, vcc_lo, v23, 64
	v_add_co_ci_u32_e32 v24, vcc_lo, 0, v24, vcc_lo
	s_delay_alu instid0(VALU_DEP_4) | instskip(SKIP_2) | instid1(SALU_CYCLE_1)
	s_or_b32 s9, s11, s9
	v_dual_mov_b32 v25, v27 :: v_dual_mov_b32 v26, v28
	s_and_b32 s9, exec_lo, s9
	s_or_b32 s38, s9, s38
	s_delay_alu instid0(SALU_CYCLE_1)
	s_and_not1_b32 exec_lo, exec_lo, s38
	s_cbranch_execz .LBB174_18
.LBB174_10:                             ;   Parent Loop BB174_7 Depth=1
                                        ; =>  This Inner Loop Header: Depth=2
	global_load_b64 v[27:28], v[23:24], off
	s_mov_b32 s9, exec_lo
	s_waitcnt vmcnt(0)
	v_sub_co_u32 v44, vcc_lo, v27, s28
	v_subrev_co_ci_u32_e32 v45, vcc_lo, 0, v28, vcc_lo
                                        ; implicit-def: $vgpr27_vgpr28
	s_delay_alu instid0(VALU_DEP_1) | instskip(NEXT) | instid1(VALU_DEP_1)
	v_or_b32_e32 v7, s15, v45
	v_cmpx_ne_u64_e32 0, v[6:7]
	s_xor_b32 s40, exec_lo, s9
	s_cbranch_execz .LBB174_12
; %bb.11:                               ;   in Loop: Header=BB174_10 Depth=2
	s_add_u32 s18, s14, s10
	s_mov_b32 s11, s10
	s_addc_u32 s19, s15, s10
	s_delay_alu instid0(SALU_CYCLE_1) | instskip(NEXT) | instid1(SALU_CYCLE_1)
	s_xor_b64 s[18:19], s[18:19], s[10:11]
	v_cvt_f32_u32_e32 v7, s18
	v_cvt_f32_u32_e32 v27, s19
	s_sub_u32 s9, 0, s18
	s_subb_u32 s11, 0, s19
	s_delay_alu instid0(VALU_DEP_1) | instskip(NEXT) | instid1(VALU_DEP_1)
	v_fmac_f32_e32 v7, 0x4f800000, v27
	v_rcp_f32_e32 v7, v7
	s_waitcnt_depctr 0xfff
	v_mul_f32_e32 v7, 0x5f7ffffc, v7
	s_delay_alu instid0(VALU_DEP_1) | instskip(NEXT) | instid1(VALU_DEP_1)
	v_mul_f32_e32 v27, 0x2f800000, v7
	v_trunc_f32_e32 v27, v27
	s_delay_alu instid0(VALU_DEP_1) | instskip(SKIP_1) | instid1(VALU_DEP_2)
	v_fmac_f32_e32 v7, 0xcf800000, v27
	v_cvt_u32_f32_e32 v27, v27
	v_cvt_u32_f32_e32 v7, v7
	s_delay_alu instid0(VALU_DEP_2) | instskip(NEXT) | instid1(VALU_DEP_2)
	v_mul_lo_u32 v28, s9, v27
	v_mul_hi_u32 v46, s9, v7
	v_mul_lo_u32 v47, s11, v7
	s_delay_alu instid0(VALU_DEP_2) | instskip(SKIP_1) | instid1(VALU_DEP_2)
	v_add_nc_u32_e32 v28, v46, v28
	v_mul_lo_u32 v46, s9, v7
	v_add_nc_u32_e32 v28, v28, v47
	s_delay_alu instid0(VALU_DEP_2) | instskip(NEXT) | instid1(VALU_DEP_2)
	v_mul_hi_u32 v47, v7, v46
	v_mul_lo_u32 v48, v7, v28
	v_mul_hi_u32 v49, v7, v28
	v_mul_hi_u32 v50, v27, v46
	v_mul_lo_u32 v46, v27, v46
	v_mul_hi_u32 v51, v27, v28
	v_mul_lo_u32 v28, v27, v28
	v_add_co_u32 v47, vcc_lo, v47, v48
	v_add_co_ci_u32_e32 v48, vcc_lo, 0, v49, vcc_lo
	s_delay_alu instid0(VALU_DEP_2) | instskip(NEXT) | instid1(VALU_DEP_2)
	v_add_co_u32 v46, vcc_lo, v47, v46
	v_add_co_ci_u32_e32 v46, vcc_lo, v48, v50, vcc_lo
	v_add_co_ci_u32_e32 v47, vcc_lo, 0, v51, vcc_lo
	v_ashrrev_i32_e32 v50, 31, v45
	s_delay_alu instid0(VALU_DEP_3) | instskip(NEXT) | instid1(VALU_DEP_3)
	v_add_co_u32 v28, vcc_lo, v46, v28
	v_add_co_ci_u32_e32 v46, vcc_lo, 0, v47, vcc_lo
	s_delay_alu instid0(VALU_DEP_2) | instskip(NEXT) | instid1(VALU_DEP_2)
	v_add_co_u32 v7, vcc_lo, v7, v28
	v_add_co_ci_u32_e32 v27, vcc_lo, v27, v46, vcc_lo
	s_delay_alu instid0(VALU_DEP_2) | instskip(SKIP_1) | instid1(VALU_DEP_3)
	v_mul_hi_u32 v28, s9, v7
	v_mul_lo_u32 v47, s11, v7
	v_mul_lo_u32 v46, s9, v27
	s_delay_alu instid0(VALU_DEP_1) | instskip(SKIP_1) | instid1(VALU_DEP_2)
	v_add_nc_u32_e32 v28, v28, v46
	v_mul_lo_u32 v46, s9, v7
	v_add_nc_u32_e32 v28, v28, v47
	s_delay_alu instid0(VALU_DEP_2) | instskip(NEXT) | instid1(VALU_DEP_2)
	v_mul_hi_u32 v47, v7, v46
	v_mul_lo_u32 v48, v7, v28
	v_mul_hi_u32 v49, v7, v28
	v_mul_hi_u32 v51, v27, v46
	v_mul_lo_u32 v46, v27, v46
	v_mul_hi_u32 v52, v27, v28
	v_mul_lo_u32 v28, v27, v28
	v_add_co_u32 v47, vcc_lo, v47, v48
	v_add_co_ci_u32_e32 v48, vcc_lo, 0, v49, vcc_lo
	s_delay_alu instid0(VALU_DEP_2) | instskip(NEXT) | instid1(VALU_DEP_2)
	v_add_co_u32 v46, vcc_lo, v47, v46
	v_add_co_ci_u32_e32 v46, vcc_lo, v48, v51, vcc_lo
	v_add_co_ci_u32_e32 v47, vcc_lo, 0, v52, vcc_lo
	v_add_co_u32 v48, vcc_lo, v44, v50
	v_add_co_ci_u32_e32 v45, vcc_lo, v45, v50, vcc_lo
	s_delay_alu instid0(VALU_DEP_4) | instskip(NEXT) | instid1(VALU_DEP_4)
	v_add_co_u32 v28, vcc_lo, v46, v28
	v_add_co_ci_u32_e32 v46, vcc_lo, 0, v47, vcc_lo
	s_delay_alu instid0(VALU_DEP_4) | instskip(NEXT) | instid1(VALU_DEP_3)
	v_xor_b32_e32 v49, v48, v50
	v_add_co_u32 v7, vcc_lo, v7, v28
	s_delay_alu instid0(VALU_DEP_3) | instskip(SKIP_1) | instid1(VALU_DEP_3)
	v_add_co_ci_u32_e32 v51, vcc_lo, v27, v46, vcc_lo
	v_xor_b32_e32 v52, v45, v50
	v_mul_hi_u32 v53, v49, v7
	s_delay_alu instid0(VALU_DEP_3) | instskip(NEXT) | instid1(VALU_DEP_3)
	v_mad_u64_u32 v[27:28], null, v49, v51, 0
	v_mad_u64_u32 v[45:46], null, v52, v7, 0
	;; [unrolled: 1-line block ×3, first 2 shown]
	s_delay_alu instid0(VALU_DEP_3) | instskip(NEXT) | instid1(VALU_DEP_4)
	v_add_co_u32 v7, vcc_lo, v53, v27
	v_add_co_ci_u32_e32 v27, vcc_lo, 0, v28, vcc_lo
	s_delay_alu instid0(VALU_DEP_2) | instskip(NEXT) | instid1(VALU_DEP_2)
	v_add_co_u32 v7, vcc_lo, v7, v45
	v_add_co_ci_u32_e32 v7, vcc_lo, v27, v46, vcc_lo
	v_add_co_ci_u32_e32 v27, vcc_lo, 0, v48, vcc_lo
	s_delay_alu instid0(VALU_DEP_2) | instskip(NEXT) | instid1(VALU_DEP_2)
	v_add_co_u32 v7, vcc_lo, v7, v47
	v_add_co_ci_u32_e32 v45, vcc_lo, 0, v27, vcc_lo
	s_delay_alu instid0(VALU_DEP_2) | instskip(SKIP_1) | instid1(VALU_DEP_3)
	v_mul_lo_u32 v46, s19, v7
	v_mad_u64_u32 v[27:28], null, s18, v7, 0
	v_mul_lo_u32 v47, s18, v45
	s_delay_alu instid0(VALU_DEP_2) | instskip(NEXT) | instid1(VALU_DEP_2)
	v_sub_co_u32 v27, vcc_lo, v49, v27
	v_add3_u32 v28, v28, v47, v46
	s_delay_alu instid0(VALU_DEP_1) | instskip(NEXT) | instid1(VALU_DEP_1)
	v_sub_nc_u32_e32 v46, v52, v28
	v_subrev_co_ci_u32_e64 v46, s9, s19, v46, vcc_lo
	v_add_co_u32 v47, s9, v7, 2
	s_delay_alu instid0(VALU_DEP_1) | instskip(SKIP_3) | instid1(VALU_DEP_3)
	v_add_co_ci_u32_e64 v48, s9, 0, v45, s9
	v_sub_co_u32 v49, s9, v27, s18
	v_sub_co_ci_u32_e32 v28, vcc_lo, v52, v28, vcc_lo
	v_subrev_co_ci_u32_e64 v46, s9, 0, v46, s9
	v_cmp_le_u32_e32 vcc_lo, s18, v49
	s_delay_alu instid0(VALU_DEP_3) | instskip(SKIP_1) | instid1(VALU_DEP_4)
	v_cmp_eq_u32_e64 s9, s19, v28
	v_cndmask_b32_e64 v49, 0, -1, vcc_lo
	v_cmp_le_u32_e32 vcc_lo, s19, v46
	v_cndmask_b32_e64 v51, 0, -1, vcc_lo
	v_cmp_le_u32_e32 vcc_lo, s18, v27
	;; [unrolled: 2-line block ×3, first 2 shown]
	v_cndmask_b32_e64 v52, 0, -1, vcc_lo
	v_cmp_eq_u32_e32 vcc_lo, s19, v46
	s_delay_alu instid0(VALU_DEP_2) | instskip(SKIP_3) | instid1(VALU_DEP_3)
	v_cndmask_b32_e64 v27, v52, v27, s9
	v_cndmask_b32_e32 v46, v51, v49, vcc_lo
	v_add_co_u32 v49, vcc_lo, v7, 1
	v_add_co_ci_u32_e32 v51, vcc_lo, 0, v45, vcc_lo
	v_cmp_ne_u32_e32 vcc_lo, 0, v46
	s_delay_alu instid0(VALU_DEP_2) | instskip(NEXT) | instid1(VALU_DEP_4)
	v_cndmask_b32_e32 v28, v51, v48, vcc_lo
	v_cndmask_b32_e32 v46, v49, v47, vcc_lo
	v_cmp_ne_u32_e32 vcc_lo, 0, v27
	v_xor_b32_e32 v47, s10, v50
	s_delay_alu instid0(VALU_DEP_3) | instskip(SKIP_1) | instid1(VALU_DEP_2)
	v_cndmask_b32_e32 v7, v7, v46, vcc_lo
	v_cndmask_b32_e32 v27, v45, v28, vcc_lo
	v_xor_b32_e32 v7, v7, v47
	s_delay_alu instid0(VALU_DEP_2) | instskip(NEXT) | instid1(VALU_DEP_2)
	v_xor_b32_e32 v28, v27, v47
	v_sub_co_u32 v27, vcc_lo, v7, v47
	s_delay_alu instid0(VALU_DEP_2)
	v_sub_co_ci_u32_e32 v28, vcc_lo, v28, v47, vcc_lo
.LBB174_12:                             ;   in Loop: Header=BB174_10 Depth=2
	s_and_not1_saveexec_b32 s9, s40
	s_cbranch_execz .LBB174_14
; %bb.13:                               ;   in Loop: Header=BB174_10 Depth=2
	v_cvt_f32_u32_e32 v7, s14
	s_sub_i32 s11, 0, s14
	s_delay_alu instid0(VALU_DEP_1) | instskip(SKIP_2) | instid1(VALU_DEP_1)
	v_rcp_iflag_f32_e32 v7, v7
	s_waitcnt_depctr 0xfff
	v_mul_f32_e32 v7, 0x4f7ffffe, v7
	v_cvt_u32_f32_e32 v7, v7
	s_delay_alu instid0(VALU_DEP_1) | instskip(NEXT) | instid1(VALU_DEP_1)
	v_mul_lo_u32 v27, s11, v7
	v_mul_hi_u32 v27, v7, v27
	s_delay_alu instid0(VALU_DEP_1) | instskip(NEXT) | instid1(VALU_DEP_1)
	v_add_nc_u32_e32 v7, v7, v27
	v_mul_hi_u32 v7, v44, v7
	s_delay_alu instid0(VALU_DEP_1) | instskip(NEXT) | instid1(VALU_DEP_1)
	v_mul_lo_u32 v27, v7, s14
	v_sub_nc_u32_e32 v27, v44, v27
	s_delay_alu instid0(VALU_DEP_1) | instskip(SKIP_1) | instid1(VALU_DEP_2)
	v_subrev_nc_u32_e32 v45, s14, v27
	v_cmp_le_u32_e32 vcc_lo, s14, v27
	v_dual_cndmask_b32 v27, v27, v45 :: v_dual_add_nc_u32 v28, 1, v7
	s_delay_alu instid0(VALU_DEP_1) | instskip(NEXT) | instid1(VALU_DEP_2)
	v_cndmask_b32_e32 v7, v7, v28, vcc_lo
	v_cmp_le_u32_e32 vcc_lo, s14, v27
	s_delay_alu instid0(VALU_DEP_2) | instskip(NEXT) | instid1(VALU_DEP_1)
	v_add_nc_u32_e32 v28, 1, v7
	v_dual_cndmask_b32 v27, v7, v28 :: v_dual_mov_b32 v28, v6
.LBB174_14:                             ;   in Loop: Header=BB174_10 Depth=2
	s_or_b32 exec_lo, exec_lo, s9
	s_delay_alu instid0(VALU_DEP_1)
	v_cmp_eq_u64_e32 vcc_lo, s[16:17], v[27:28]
	s_mov_b32 s11, exec_lo
	v_cmpx_ne_u64_e64 s[16:17], v[27:28]
	s_xor_b32 s11, exec_lo, s11
; %bb.15:                               ;   in Loop: Header=BB174_10 Depth=2
	v_cmp_lt_i64_e64 s9, v[27:28], v[19:20]
                                        ; implicit-def: $vgpr44
                                        ; implicit-def: $vgpr25_vgpr26
	s_delay_alu instid0(VALU_DEP_1)
	v_cndmask_b32_e64 v20, v20, v28, s9
	v_cndmask_b32_e64 v19, v19, v27, s9
; %bb.16:                               ;   in Loop: Header=BB174_10 Depth=2
	s_or_saveexec_b32 s9, s11
	v_dual_mov_b32 v28, v18 :: v_dual_mov_b32 v27, v17
	s_xor_b32 exec_lo, exec_lo, s9
	s_cbranch_execz .LBB174_9
; %bb.17:                               ;   in Loop: Header=BB174_10 Depth=2
	global_load_b128 v[45:48], v[21:22], off
	v_subrev_nc_u32_e32 v7, s39, v44
	v_dual_mov_b32 v28, v26 :: v_dual_mov_b32 v27, v25
	s_delay_alu instid0(VALU_DEP_2)
	v_add_lshl_u32 v7, v29, v7, 4
	ds_store_b8 v6, v43 offset:16384
	s_waitcnt vmcnt(0)
	ds_store_2addr_b64 v7, v[45:46], v[47:48] offset1:1
	s_branch .LBB174_9
.LBB174_18:                             ;   in Loop: Header=BB174_7 Depth=1
	s_or_b32 exec_lo, exec_lo, s38
.LBB174_19:                             ;   in Loop: Header=BB174_7 Depth=1
	s_delay_alu instid0(SALU_CYCLE_1)
	s_or_b32 exec_lo, exec_lo, s37
	ds_bpermute_b32 v17, v30, v27
	ds_bpermute_b32 v18, v30, v28
	s_waitcnt lgkmcnt(0)
	s_barrier
	buffer_gl0_inv
	ds_load_u8 v7, v6 offset:16384
	s_mov_b64 s[18:19], 0
	v_cmp_lt_i64_e32 vcc_lo, v[17:18], v[27:28]
	v_dual_cndmask_b32 v18, v28, v18 :: v_dual_cndmask_b32 v17, v27, v17
	ds_bpermute_b32 v22, v31, v18
	ds_bpermute_b32 v21, v31, v17
	s_waitcnt lgkmcnt(0)
	v_cmp_lt_i64_e32 vcc_lo, v[21:22], v[17:18]
	v_dual_cndmask_b32 v18, v18, v22 :: v_dual_cndmask_b32 v17, v17, v21
	ds_bpermute_b32 v22, v34, v18
	ds_bpermute_b32 v21, v34, v17
	s_waitcnt lgkmcnt(0)
	v_cmp_lt_i64_e32 vcc_lo, v[21:22], v[17:18]
	v_dual_cndmask_b32 v18, v18, v22 :: v_dual_cndmask_b32 v17, v17, v21
	v_cmp_eq_u32_e32 vcc_lo, 0, v7
	ds_bpermute_b32 v18, v35, v18
	ds_bpermute_b32 v17, v35, v17
	s_cbranch_vccnz .LBB174_26
; %bb.20:                               ;   in Loop: Header=BB174_7 Depth=1
	s_add_u32 s16, s16, s29
	s_addc_u32 s17, s17, 0
	s_lshl_b64 s[18:19], s[26:27], 3
	s_mul_i32 s9, s30, s27
	s_mul_hi_u32 s11, s30, s26
	s_add_u32 s18, s20, s18
	s_addc_u32 s19, s21, s19
	s_add_i32 s9, s11, s9
	s_mul_i32 s11, s31, s26
	s_mul_i32 s38, s30, s26
	s_add_i32 s39, s9, s11
	v_dual_mov_b32 v25, s17 :: v_dual_mov_b32 v24, s16
	s_lshl_b64 s[16:17], s[38:39], 4
	s_delay_alu instid0(SALU_CYCLE_1)
	v_add_co_u32 v7, vcc_lo, v32, s16
	v_add_co_ci_u32_e32 v21, vcc_lo, s17, v33, vcc_lo
	v_add_co_u32 v22, vcc_lo, v36, s16
	v_add_co_ci_u32_e32 v23, vcc_lo, s17, v37, vcc_lo
	global_store_b64 v6, v[24:25], s[18:19]
	s_and_saveexec_b32 s9, s33
	s_cbranch_execnz .LBB174_42
; %bb.21:                               ;   in Loop: Header=BB174_7 Depth=1
	s_or_b32 exec_lo, exec_lo, s9
	s_and_saveexec_b32 s9, s34
	s_cbranch_execnz .LBB174_43
.LBB174_22:                             ;   in Loop: Header=BB174_7 Depth=1
	s_or_b32 exec_lo, exec_lo, s9
	s_and_saveexec_b32 s9, s35
	s_cbranch_execnz .LBB174_44
.LBB174_23:                             ;   in Loop: Header=BB174_7 Depth=1
	s_or_b32 exec_lo, exec_lo, s9
	s_and_saveexec_b32 s9, s36
	s_cbranch_execz .LBB174_25
.LBB174_24:                             ;   in Loop: Header=BB174_7 Depth=1
	ds_load_2addr_b64 v[24:27], v42 offset1:1
	v_add_co_u32 v28, vcc_lo, 0x180, v22
	v_add_co_ci_u32_e32 v22, vcc_lo, 0, v23, vcc_lo
	v_add_co_u32 v7, vcc_lo, v7, v15
	v_add_co_ci_u32_e32 v21, vcc_lo, v21, v16, vcc_lo
	s_delay_alu instid0(VALU_DEP_1) | instskip(NEXT) | instid1(VALU_DEP_3)
	v_cndmask_b32_e64 v22, v21, v22, s0
	v_cndmask_b32_e64 v21, v7, v28, s0
	s_waitcnt lgkmcnt(0)
	global_store_b128 v[21:22], v[24:27], off
.LBB174_25:                             ;   in Loop: Header=BB174_7 Depth=1
	s_or_b32 exec_lo, exec_lo, s9
	s_mov_b64 s[18:19], 1
.LBB174_26:                             ;   in Loop: Header=BB174_7 Depth=1
	s_waitcnt lgkmcnt(0)
	s_waitcnt_vscnt null, 0x0
	s_barrier
	buffer_gl0_inv
	ds_store_b64 v38, v[19:20]
	s_waitcnt lgkmcnt(0)
	s_barrier
	buffer_gl0_inv
	s_and_saveexec_b32 s9, s1
	s_cbranch_execz .LBB174_28
; %bb.27:                               ;   in Loop: Header=BB174_7 Depth=1
	ds_load_2addr_stride64_b64 v[19:22], v38 offset1:2
	s_waitcnt lgkmcnt(0)
	v_cmp_lt_i64_e32 vcc_lo, v[21:22], v[19:20]
	v_dual_cndmask_b32 v20, v20, v22 :: v_dual_cndmask_b32 v19, v19, v21
	ds_store_b64 v38, v[19:20]
.LBB174_28:                             ;   in Loop: Header=BB174_7 Depth=1
	s_or_b32 exec_lo, exec_lo, s9
	s_waitcnt lgkmcnt(0)
	s_barrier
	buffer_gl0_inv
	s_and_saveexec_b32 s9, s2
	s_cbranch_execz .LBB174_30
; %bb.29:                               ;   in Loop: Header=BB174_7 Depth=1
	ds_load_2addr_stride64_b64 v[19:22], v38 offset1:1
	s_waitcnt lgkmcnt(0)
	v_cmp_lt_i64_e32 vcc_lo, v[21:22], v[19:20]
	v_dual_cndmask_b32 v20, v20, v22 :: v_dual_cndmask_b32 v19, v19, v21
	ds_store_b64 v38, v[19:20]
.LBB174_30:                             ;   in Loop: Header=BB174_7 Depth=1
	s_or_b32 exec_lo, exec_lo, s9
	s_waitcnt lgkmcnt(0)
	s_barrier
	buffer_gl0_inv
	s_and_saveexec_b32 s9, s3
	s_cbranch_execz .LBB174_32
; %bb.31:                               ;   in Loop: Header=BB174_7 Depth=1
	ds_load_2addr_b64 v[19:22], v38 offset1:32
	s_waitcnt lgkmcnt(0)
	v_cmp_lt_i64_e32 vcc_lo, v[21:22], v[19:20]
	v_dual_cndmask_b32 v20, v20, v22 :: v_dual_cndmask_b32 v19, v19, v21
	ds_store_b64 v38, v[19:20]
.LBB174_32:                             ;   in Loop: Header=BB174_7 Depth=1
	s_or_b32 exec_lo, exec_lo, s9
	s_waitcnt lgkmcnt(0)
	s_barrier
	buffer_gl0_inv
	s_and_saveexec_b32 s9, s4
	s_cbranch_execz .LBB174_34
; %bb.33:                               ;   in Loop: Header=BB174_7 Depth=1
	ds_load_2addr_b64 v[19:22], v38 offset1:16
	s_waitcnt lgkmcnt(0)
	v_cmp_lt_i64_e32 vcc_lo, v[21:22], v[19:20]
	v_dual_cndmask_b32 v20, v20, v22 :: v_dual_cndmask_b32 v19, v19, v21
	ds_store_b64 v38, v[19:20]
.LBB174_34:                             ;   in Loop: Header=BB174_7 Depth=1
	;; [unrolled: 13-line block ×5, first 2 shown]
	s_or_b32 exec_lo, exec_lo, s9
	s_waitcnt lgkmcnt(0)
	s_barrier
	buffer_gl0_inv
	s_and_saveexec_b32 s9, s8
	s_cbranch_execz .LBB174_6
; %bb.41:                               ;   in Loop: Header=BB174_7 Depth=1
	ds_load_b128 v[19:22], v6
	s_waitcnt lgkmcnt(0)
	v_cmp_lt_i64_e32 vcc_lo, v[21:22], v[19:20]
	v_dual_cndmask_b32 v20, v20, v22 :: v_dual_cndmask_b32 v19, v19, v21
	ds_store_b64 v6, v[19:20]
	s_branch .LBB174_6
.LBB174_42:                             ;   in Loop: Header=BB174_7 Depth=1
	ds_load_2addr_b64 v[24:27], v39 offset1:1
	v_add_co_u32 v28, vcc_lo, v7, v9
	v_add_co_ci_u32_e32 v44, vcc_lo, v21, v10, vcc_lo
	s_delay_alu instid0(VALU_DEP_1) | instskip(NEXT) | instid1(VALU_DEP_3)
	v_cndmask_b32_e64 v45, v44, v23, s0
	v_cndmask_b32_e64 v44, v28, v22, s0
	s_waitcnt lgkmcnt(0)
	global_store_b128 v[44:45], v[24:27], off
	s_or_b32 exec_lo, exec_lo, s9
	s_and_saveexec_b32 s9, s34
	s_cbranch_execz .LBB174_22
.LBB174_43:                             ;   in Loop: Header=BB174_7 Depth=1
	ds_load_2addr_b64 v[24:27], v40 offset1:1
	v_add_co_u32 v28, vcc_lo, 0x80, v22
	v_add_co_ci_u32_e32 v44, vcc_lo, 0, v23, vcc_lo
	v_add_co_u32 v46, vcc_lo, v7, v11
	v_add_co_ci_u32_e32 v45, vcc_lo, v21, v12, vcc_lo
	s_delay_alu instid0(VALU_DEP_1) | instskip(NEXT) | instid1(VALU_DEP_3)
	v_cndmask_b32_e64 v45, v45, v44, s0
	v_cndmask_b32_e64 v44, v46, v28, s0
	s_waitcnt lgkmcnt(0)
	global_store_b128 v[44:45], v[24:27], off
	s_or_b32 exec_lo, exec_lo, s9
	s_and_saveexec_b32 s9, s35
	s_cbranch_execz .LBB174_23
.LBB174_44:                             ;   in Loop: Header=BB174_7 Depth=1
	ds_load_2addr_b64 v[24:27], v41 offset1:1
	v_add_co_u32 v28, vcc_lo, 0x100, v22
	v_add_co_ci_u32_e32 v44, vcc_lo, 0, v23, vcc_lo
	v_add_co_u32 v46, vcc_lo, v7, v13
	v_add_co_ci_u32_e32 v45, vcc_lo, v21, v14, vcc_lo
	s_delay_alu instid0(VALU_DEP_1) | instskip(NEXT) | instid1(VALU_DEP_3)
	v_cndmask_b32_e64 v45, v45, v44, s0
	v_cndmask_b32_e64 v44, v46, v28, s0
	s_waitcnt lgkmcnt(0)
	global_store_b128 v[44:45], v[24:27], off
	s_or_b32 exec_lo, exec_lo, s9
	s_and_saveexec_b32 s9, s36
	s_cbranch_execnz .LBB174_24
	s_branch .LBB174_25
.LBB174_45:
	s_endpgm
	.section	.rodata,"a",@progbits
	.p2align	6, 0x0
	.amdhsa_kernel _ZN9rocsparseL38csr2bsr_block_per_row_multipass_kernelILj256ELj32E21rocsparse_complex_numIdEllEEv20rocsparse_direction_T3_S4_S4_S4_S4_21rocsparse_index_base_PKT1_PKT2_PKS4_S5_PS6_PS9_PS4_
		.amdhsa_group_segment_fixed_size 16392
		.amdhsa_private_segment_fixed_size 0
		.amdhsa_kernarg_size 112
		.amdhsa_user_sgpr_count 15
		.amdhsa_user_sgpr_dispatch_ptr 0
		.amdhsa_user_sgpr_queue_ptr 0
		.amdhsa_user_sgpr_kernarg_segment_ptr 1
		.amdhsa_user_sgpr_dispatch_id 0
		.amdhsa_user_sgpr_private_segment_size 0
		.amdhsa_wavefront_size32 1
		.amdhsa_uses_dynamic_stack 0
		.amdhsa_enable_private_segment 0
		.amdhsa_system_sgpr_workgroup_id_x 1
		.amdhsa_system_sgpr_workgroup_id_y 0
		.amdhsa_system_sgpr_workgroup_id_z 0
		.amdhsa_system_sgpr_workgroup_info 0
		.amdhsa_system_vgpr_workitem_id 0
		.amdhsa_next_free_vgpr 54
		.amdhsa_next_free_sgpr 41
		.amdhsa_reserve_vcc 1
		.amdhsa_float_round_mode_32 0
		.amdhsa_float_round_mode_16_64 0
		.amdhsa_float_denorm_mode_32 3
		.amdhsa_float_denorm_mode_16_64 3
		.amdhsa_dx10_clamp 1
		.amdhsa_ieee_mode 1
		.amdhsa_fp16_overflow 0
		.amdhsa_workgroup_processor_mode 1
		.amdhsa_memory_ordered 1
		.amdhsa_forward_progress 0
		.amdhsa_shared_vgpr_count 0
		.amdhsa_exception_fp_ieee_invalid_op 0
		.amdhsa_exception_fp_denorm_src 0
		.amdhsa_exception_fp_ieee_div_zero 0
		.amdhsa_exception_fp_ieee_overflow 0
		.amdhsa_exception_fp_ieee_underflow 0
		.amdhsa_exception_fp_ieee_inexact 0
		.amdhsa_exception_int_div_zero 0
	.end_amdhsa_kernel
	.section	.text._ZN9rocsparseL38csr2bsr_block_per_row_multipass_kernelILj256ELj32E21rocsparse_complex_numIdEllEEv20rocsparse_direction_T3_S4_S4_S4_S4_21rocsparse_index_base_PKT1_PKT2_PKS4_S5_PS6_PS9_PS4_,"axG",@progbits,_ZN9rocsparseL38csr2bsr_block_per_row_multipass_kernelILj256ELj32E21rocsparse_complex_numIdEllEEv20rocsparse_direction_T3_S4_S4_S4_S4_21rocsparse_index_base_PKT1_PKT2_PKS4_S5_PS6_PS9_PS4_,comdat
.Lfunc_end174:
	.size	_ZN9rocsparseL38csr2bsr_block_per_row_multipass_kernelILj256ELj32E21rocsparse_complex_numIdEllEEv20rocsparse_direction_T3_S4_S4_S4_S4_21rocsparse_index_base_PKT1_PKT2_PKS4_S5_PS6_PS9_PS4_, .Lfunc_end174-_ZN9rocsparseL38csr2bsr_block_per_row_multipass_kernelILj256ELj32E21rocsparse_complex_numIdEllEEv20rocsparse_direction_T3_S4_S4_S4_S4_21rocsparse_index_base_PKT1_PKT2_PKS4_S5_PS6_PS9_PS4_
                                        ; -- End function
	.section	.AMDGPU.csdata,"",@progbits
; Kernel info:
; codeLenInByte = 3532
; NumSgprs: 43
; NumVgprs: 54
; ScratchSize: 0
; MemoryBound: 0
; FloatMode: 240
; IeeeMode: 1
; LDSByteSize: 16392 bytes/workgroup (compile time only)
; SGPRBlocks: 5
; VGPRBlocks: 6
; NumSGPRsForWavesPerEU: 43
; NumVGPRsForWavesPerEU: 54
; Occupancy: 14
; WaveLimiterHint : 1
; COMPUTE_PGM_RSRC2:SCRATCH_EN: 0
; COMPUTE_PGM_RSRC2:USER_SGPR: 15
; COMPUTE_PGM_RSRC2:TRAP_HANDLER: 0
; COMPUTE_PGM_RSRC2:TGID_X_EN: 1
; COMPUTE_PGM_RSRC2:TGID_Y_EN: 0
; COMPUTE_PGM_RSRC2:TGID_Z_EN: 0
; COMPUTE_PGM_RSRC2:TIDIG_COMP_CNT: 0
	.section	.text._ZN9rocsparseL21csr2bsr_65_inf_kernelILj32E21rocsparse_complex_numIdEllEEv20rocsparse_direction_T2_S4_S4_S4_S4_S4_21rocsparse_index_base_PKT0_PKT1_PKS4_S5_PS6_PS9_PS4_SF_SG_SE_,"axG",@progbits,_ZN9rocsparseL21csr2bsr_65_inf_kernelILj32E21rocsparse_complex_numIdEllEEv20rocsparse_direction_T2_S4_S4_S4_S4_S4_21rocsparse_index_base_PKT0_PKT1_PKS4_S5_PS6_PS9_PS4_SF_SG_SE_,comdat
	.globl	_ZN9rocsparseL21csr2bsr_65_inf_kernelILj32E21rocsparse_complex_numIdEllEEv20rocsparse_direction_T2_S4_S4_S4_S4_S4_21rocsparse_index_base_PKT0_PKT1_PKS4_S5_PS6_PS9_PS4_SF_SG_SE_ ; -- Begin function _ZN9rocsparseL21csr2bsr_65_inf_kernelILj32E21rocsparse_complex_numIdEllEEv20rocsparse_direction_T2_S4_S4_S4_S4_S4_21rocsparse_index_base_PKT0_PKT1_PKS4_S5_PS6_PS9_PS4_SF_SG_SE_
	.p2align	8
	.type	_ZN9rocsparseL21csr2bsr_65_inf_kernelILj32E21rocsparse_complex_numIdEllEEv20rocsparse_direction_T2_S4_S4_S4_S4_S4_21rocsparse_index_base_PKT0_PKT1_PKS4_S5_PS6_PS9_PS4_SF_SG_SE_,@function
_ZN9rocsparseL21csr2bsr_65_inf_kernelILj32E21rocsparse_complex_numIdEllEEv20rocsparse_direction_T2_S4_S4_S4_S4_S4_21rocsparse_index_base_PKT0_PKT1_PKS4_S5_PS6_PS9_PS4_SF_SG_SE_: ; @_ZN9rocsparseL21csr2bsr_65_inf_kernelILj32E21rocsparse_complex_numIdEllEEv20rocsparse_direction_T2_S4_S4_S4_S4_S4_21rocsparse_index_base_PKT0_PKT1_PKS4_S5_PS6_PS9_PS4_SF_SG_SE_
; %bb.0:
	s_clause 0x3
	s_load_b64 s[8:9], s[0:1], 0x18
	s_load_b128 s[4:7], s[0:1], 0x8
	s_load_b64 s[2:3], s[0:1], 0x78
	s_load_b32 s24, s[0:1], 0x58
	s_mov_b32 s12, s15
	s_mov_b32 s13, 0
	s_mov_b64 s[14:15], 0
	s_waitcnt lgkmcnt(0)
	v_cmp_ge_i64_e64 s8, s[12:13], s[8:9]
	s_delay_alu instid0(VALU_DEP_1)
	s_and_b32 vcc_lo, exec_lo, s8
	s_cbranch_vccnz .LBB175_2
; %bb.1:
	s_load_b64 s[8:9], s[0:1], 0x68
	s_lshl_b64 s[10:11], s[12:13], 3
	s_waitcnt lgkmcnt(0)
	s_add_u32 s8, s8, s10
	s_addc_u32 s9, s9, s11
	s_load_b64 s[8:9], s[8:9], 0x0
	s_waitcnt lgkmcnt(0)
	s_sub_u32 s14, s8, s24
	s_subb_u32 s15, s9, 0
.LBB175_2:
	s_clause 0x1
	s_load_b128 s[8:11], s[0:1], 0x28
	s_load_b32 s25, s[0:1], 0x38
	s_waitcnt lgkmcnt(0)
	v_mad_u64_u32 v[2:3], null, v0, s10, 0
	s_mul_i32 s13, s12, s11
	s_mul_hi_u32 s17, s12, s10
	s_mul_i32 s16, s12, s10
	s_add_i32 s17, s17, s13
	v_cmp_gt_i64_e64 s26, s[10:11], 0
	s_lshl_b64 s[16:17], s[16:17], 9
	s_delay_alu instid0(VALU_DEP_2)
	v_mov_b32_e32 v1, v3
	s_add_u32 s13, s2, s16
	s_addc_u32 s16, s3, s17
	s_lshl_b64 s[2:3], s[10:11], 8
	v_cmp_lt_i64_e64 s17, s[10:11], 1
	v_mad_u64_u32 v[3:4], null, v0, s11, v[1:2]
	s_add_u32 s2, s13, s2
	s_addc_u32 s3, s16, s3
	v_mov_b32_e32 v1, 0
	s_delay_alu instid0(VALU_DEP_2) | instskip(NEXT) | instid1(VALU_DEP_1)
	v_lshlrev_b64 v[4:5], 3, v[2:3]
	v_add_co_u32 v6, vcc_lo, s13, v4
	s_delay_alu instid0(VALU_DEP_2)
	v_add_co_ci_u32_e32 v7, vcc_lo, s16, v5, vcc_lo
	v_add_co_u32 v8, vcc_lo, s2, v4
	v_add_co_ci_u32_e32 v9, vcc_lo, s3, v5, vcc_lo
	s_and_b32 vcc_lo, exec_lo, s17
	s_cbranch_vccnz .LBB175_7
; %bb.3:
	s_load_b64 s[16:17], s[0:1], 0x48
	s_mul_i32 s2, s12, s9
	s_mul_hi_u32 s13, s12, s8
	s_mul_i32 s3, s12, s8
	s_add_i32 s13, s13, s2
	v_add_co_u32 v10, s2, s3, v0
	s_delay_alu instid0(VALU_DEP_1) | instskip(SKIP_2) | instid1(VALU_DEP_2)
	v_add_co_ci_u32_e64 v11, null, s13, 0, s2
	s_mov_b32 s18, 0
	v_dual_mov_b32 v13, v7 :: v_dual_mov_b32 v12, v6
	v_lshlrev_b64 v[14:15], 3, v[10:11]
	s_mov_b32 s19, s18
	v_dual_mov_b32 v11, v9 :: v_dual_mov_b32 v10, v8
	v_dual_mov_b32 v19, v1 :: v_dual_mov_b32 v18, v0
	s_waitcnt lgkmcnt(0)
	s_delay_alu instid0(VALU_DEP_3) | instskip(SKIP_2) | instid1(VALU_DEP_3)
	v_add_co_u32 v16, vcc_lo, v14, s16
	v_add_co_ci_u32_e32 v17, vcc_lo, s17, v15, vcc_lo
	v_dual_mov_b32 v14, s18 :: v_dual_mov_b32 v15, s19
	v_add_co_u32 v16, vcc_lo, v16, 8
	s_delay_alu instid0(VALU_DEP_3)
	v_add_co_ci_u32_e32 v17, vcc_lo, 0, v17, vcc_lo
	s_mov_b64 s[16:17], s[10:11]
	s_set_inst_prefetch_distance 0x1
	s_branch .LBB175_5
	.p2align	6
.LBB175_4:                              ;   in Loop: Header=BB175_5 Depth=1
	s_or_b32 exec_lo, exec_lo, s2
	v_add_co_u32 v18, vcc_lo, v18, 32
	v_add_co_ci_u32_e32 v19, vcc_lo, 0, v19, vcc_lo
	v_add_co_u32 v12, vcc_lo, v12, 8
	v_add_co_ci_u32_e32 v13, vcc_lo, 0, v13, vcc_lo
	;; [unrolled: 2-line block ×3, first 2 shown]
	v_add_co_u32 v10, vcc_lo, v10, 8
	s_add_u32 s16, s16, -1
	v_add_co_ci_u32_e32 v11, vcc_lo, 0, v11, vcc_lo
	s_addc_u32 s17, s17, -1
	s_delay_alu instid0(SALU_CYCLE_1)
	s_cmp_eq_u64 s[16:17], 0
	s_cbranch_scc1 .LBB175_7
.LBB175_5:                              ; =>This Inner Loop Header: Depth=1
	v_add_co_u32 v20, vcc_lo, s3, v18
	v_add_co_ci_u32_e32 v21, vcc_lo, s13, v19, vcc_lo
	v_cmp_gt_i64_e64 s2, s[8:9], v[18:19]
	global_store_b64 v[12:13], v[14:15], off
	global_store_b64 v[10:11], v[14:15], off
	v_cmp_gt_i64_e32 vcc_lo, s[4:5], v[20:21]
	s_and_b32 s18, vcc_lo, s2
	s_delay_alu instid0(SALU_CYCLE_1)
	s_and_saveexec_b32 s2, s18
	s_cbranch_execz .LBB175_4
; %bb.6:                                ;   in Loop: Header=BB175_5 Depth=1
	global_load_b128 v[20:23], v[16:17], off offset:-8
	s_waitcnt vmcnt(0)
	v_sub_co_u32 v20, vcc_lo, v20, s25
	v_subrev_co_ci_u32_e32 v21, vcc_lo, 0, v21, vcc_lo
	v_sub_co_u32 v22, vcc_lo, v22, s25
	v_subrev_co_ci_u32_e32 v23, vcc_lo, 0, v23, vcc_lo
	global_store_b64 v[12:13], v[20:21], off
	global_store_b64 v[10:11], v[22:23], off
	s_branch .LBB175_4
.LBB175_7:
	s_set_inst_prefetch_distance 0x2
	v_cmp_lt_i64_e64 s2, s[6:7], 1
	s_delay_alu instid0(VALU_DEP_1)
	s_and_b32 vcc_lo, exec_lo, s2
	s_cbranch_vccnz .LBB175_52
; %bb.8:
	s_clause 0x1
	s_load_b128 s[16:19], s[0:1], 0x80
	s_load_b64 s[20:21], s[0:1], 0x70
	s_lshl_b64 s[2:3], s[10:11], 5
	v_mbcnt_lo_u32_b32 v14, -1, 0
	s_mul_i32 s3, s3, s12
	s_mul_hi_u32 s4, s2, s12
	s_mul_i32 s2, s2, s12
	s_add_i32 s3, s4, s3
	v_lshlrev_b64 v[2:3], 4, v[2:3]
	s_lshl_b64 s[4:5], s[2:3], 3
	v_xor_b32_e32 v15, 16, v14
	v_mov_b32_e32 v20, 0
	s_mov_b32 s27, 0
	v_mov_b32_e32 v45, 0x7c
	v_mov_b32_e32 v21, 0
	s_delay_alu instid0(VALU_DEP_3) | instskip(NEXT) | instid1(VALU_DEP_2)
	v_mov_b32_e32 v18, v20
	v_dual_mov_b32 v16, v20 :: v_dual_mov_b32 v19, v21
	s_waitcnt lgkmcnt(0)
	s_add_u32 s4, s16, s4
	s_addc_u32 s5, s17, s5
	s_lshl_b64 s[2:3], s[2:3], 4
	v_add_co_u32 v10, vcc_lo, s4, v4
	s_add_u32 s2, s18, s2
	v_add_co_ci_u32_e32 v11, vcc_lo, s5, v5, vcc_lo
	s_addc_u32 s3, s19, s3
	v_add_co_u32 v12, vcc_lo, s2, v2
	v_add_co_ci_u32_e32 v13, vcc_lo, s3, v3, vcc_lo
	v_xor_b32_e32 v2, 8, v14
	v_cmp_gt_i32_e32 vcc_lo, 32, v15
	v_xor_b32_e32 v4, 4, v14
	v_xor_b32_e32 v5, 2, v14
	s_clause 0x3
	s_load_b64 s[2:3], s[0:1], 0x60
	s_load_b64 s[4:5], s[0:1], 0x50
	;; [unrolled: 1-line block ×3, first 2 shown]
	s_load_b32 s1, s[0:1], 0x0
	s_lshl_b64 s[16:17], s[14:15], 3
	v_cndmask_b32_e32 v3, v14, v15, vcc_lo
	v_cmp_gt_i32_e32 vcc_lo, 32, v2
	v_xor_b32_e32 v15, 1, v14
	s_add_u32 s28, s20, s16
	s_addc_u32 s29, s21, s17
	v_cmp_eq_u32_e64 s0, 31, v0
	v_cndmask_b32_e32 v2, v14, v2, vcc_lo
	v_cmp_gt_i32_e32 vcc_lo, 32, v4
	v_dual_mov_b32 v17, v21 :: v_dual_cndmask_b32 v4, v14, v4
	v_cmp_gt_i32_e32 vcc_lo, 32, v5
	v_cndmask_b32_e32 v5, v14, v5, vcc_lo
	v_cmp_gt_i32_e32 vcc_lo, 32, v15
	s_waitcnt lgkmcnt(0)
	s_cmp_lg_u32 s1, 0
	s_cselect_b32 s30, -1, 0
	v_dual_cndmask_b32 v14, v14, v15 :: v_dual_lshlrev_b32 v43, 2, v5
	v_lshlrev_b32_e32 v41, 2, v2
	v_lshlrev_b32_e32 v2, 4, v0
	;; [unrolled: 1-line block ×5, first 2 shown]
	s_add_u32 s31, s14, -1
	v_add_co_u32 v14, s1, s2, v2
	s_delay_alu instid0(VALU_DEP_1)
	v_add_co_ci_u32_e64 v15, null, s3, 0, s1
	v_mov_b32_e32 v2, 0
	s_addc_u32 s33, s15, -1
	s_lshl_b64 s[14:15], s[8:9], 4
	s_lshl_b64 s[16:17], s[8:9], 9
	s_ashr_i32 s18, s9, 31
	s_branch .LBB175_10
.LBB175_9:                              ;   in Loop: Header=BB175_10 Depth=1
	s_waitcnt lgkmcnt(3)
	v_add_co_u32 v20, vcc_lo, v34, 1
	s_waitcnt lgkmcnt(2)
	v_add_co_ci_u32_e32 v21, vcc_lo, 0, v35, vcc_lo
	s_delay_alu instid0(VALU_DEP_1) | instskip(SKIP_1) | instid1(SALU_CYCLE_1)
	v_cmp_le_i64_e32 vcc_lo, s[6:7], v[20:21]
	s_or_b32 s27, vcc_lo, s27
	s_and_not1_b32 exec_lo, exec_lo, s27
	s_cbranch_execz .LBB175_52
.LBB175_10:                             ; =>This Loop Header: Depth=1
                                        ;     Child Loop BB175_14 Depth 2
                                        ;       Child Loop BB175_17 Depth 3
                                        ;     Child Loop BB175_33 Depth 2
	v_dual_mov_b32 v23, s7 :: v_dual_mov_b32 v22, s6
	s_and_not1_b32 vcc_lo, exec_lo, s26
	s_cbranch_vccnz .LBB175_23
; %bb.11:                               ;   in Loop: Header=BB175_10 Depth=1
	v_dual_mov_b32 v23, s7 :: v_dual_mov_b32 v22, s6
	s_mov_b64 s[20:21], 0
	s_branch .LBB175_14
.LBB175_12:                             ;   in Loop: Header=BB175_14 Depth=2
	s_or_b32 exec_lo, exec_lo, s1
.LBB175_13:                             ;   in Loop: Header=BB175_14 Depth=2
	s_delay_alu instid0(SALU_CYCLE_1) | instskip(SKIP_2) | instid1(SALU_CYCLE_1)
	s_or_b32 exec_lo, exec_lo, s19
	s_add_u32 s20, s20, 1
	s_addc_u32 s21, s21, 0
	s_cmp_eq_u64 s[20:21], s[10:11]
	s_cbranch_scc1 .LBB175_23
.LBB175_14:                             ;   Parent Loop BB175_10 Depth=1
                                        ; =>  This Loop Header: Depth=2
                                        ;       Child Loop BB175_17 Depth 3
	s_lshl_b64 s[22:23], s[20:21], 3
	s_lshl_b64 s[34:35], s[20:21], 4
	v_add_co_u32 v24, vcc_lo, v6, s22
	v_add_co_ci_u32_e32 v25, vcc_lo, s23, v7, vcc_lo
	v_add_co_u32 v3, vcc_lo, v8, s22
	v_add_co_ci_u32_e32 v4, vcc_lo, s23, v9, vcc_lo
	v_add_co_u32 v30, vcc_lo, v12, s34
	s_clause 0x1
	global_load_b64 v[32:33], v[24:25], off
	global_load_b64 v[28:29], v[3:4], off
	v_add_co_ci_u32_e32 v31, vcc_lo, s35, v13, vcc_lo
	v_add_co_u32 v26, vcc_lo, v10, s22
	v_mov_b32_e32 v3, v2
	v_dual_mov_b32 v4, v2 :: v_dual_mov_b32 v35, s7
	v_mov_b32_e32 v5, v2
	v_add_co_ci_u32_e32 v27, vcc_lo, s23, v11, vcc_lo
	v_mov_b32_e32 v34, s6
	s_mov_b32 s19, exec_lo
	global_store_b128 v[30:31], v[2:5], off
	global_store_b64 v[26:27], v[34:35], off
	s_waitcnt vmcnt(0)
	v_cmpx_lt_i64_e64 v[32:33], v[28:29]
	s_cbranch_execz .LBB175_13
; %bb.15:                               ;   in Loop: Header=BB175_14 Depth=2
	v_lshlrev_b64 v[3:4], 3, v[32:33]
	v_lshlrev_b64 v[34:35], 4, v[32:33]
	s_mov_b32 s22, 0
                                        ; implicit-def: $sgpr23
                                        ; implicit-def: $sgpr35
                                        ; implicit-def: $sgpr34
	s_delay_alu instid0(VALU_DEP_2) | instskip(NEXT) | instid1(VALU_DEP_3)
	v_add_co_u32 v36, vcc_lo, s4, v3
	v_add_co_ci_u32_e32 v37, vcc_lo, s5, v4, vcc_lo
	s_delay_alu instid0(VALU_DEP_3) | instskip(NEXT) | instid1(VALU_DEP_4)
	v_add_co_u32 v38, vcc_lo, s12, v34
	v_add_co_ci_u32_e32 v39, vcc_lo, s13, v35, vcc_lo
	s_set_inst_prefetch_distance 0x1
	s_branch .LBB175_17
	.p2align	6
.LBB175_16:                             ;   in Loop: Header=BB175_17 Depth=3
	s_or_b32 exec_lo, exec_lo, s36
	s_delay_alu instid0(SALU_CYCLE_1) | instskip(NEXT) | instid1(SALU_CYCLE_1)
	s_and_b32 s1, exec_lo, s35
	s_or_b32 s22, s1, s22
	s_and_not1_b32 s1, s23, exec_lo
	s_and_b32 s23, s34, exec_lo
	s_delay_alu instid0(SALU_CYCLE_1)
	s_or_b32 s23, s1, s23
	s_and_not1_b32 exec_lo, exec_lo, s22
	s_cbranch_execz .LBB175_19
.LBB175_17:                             ;   Parent Loop BB175_10 Depth=1
                                        ;     Parent Loop BB175_14 Depth=2
                                        ; =>    This Inner Loop Header: Depth=3
	global_load_b128 v[46:49], v[38:39], off
	v_dual_mov_b32 v35, v33 :: v_dual_mov_b32 v34, v32
	s_or_b32 s34, s34, exec_lo
	s_or_b32 s35, s35, exec_lo
	s_mov_b32 s36, exec_lo
                                        ; implicit-def: $vgpr32_vgpr33
	s_waitcnt vmcnt(0)
	global_store_b128 v[30:31], v[46:49], off
	global_load_b64 v[3:4], v[36:37], off
	s_waitcnt vmcnt(0)
	v_sub_co_u32 v3, vcc_lo, v3, s25
	v_subrev_co_ci_u32_e32 v4, vcc_lo, 0, v4, vcc_lo
	s_delay_alu instid0(VALU_DEP_1)
	v_cmpx_lt_i64_e64 v[3:4], v[20:21]
	s_cbranch_execz .LBB175_16
; %bb.18:                               ;   in Loop: Header=BB175_17 Depth=3
	v_add_co_u32 v32, vcc_lo, v34, 1
	v_add_co_ci_u32_e32 v33, vcc_lo, 0, v35, vcc_lo
	v_add_co_u32 v36, vcc_lo, v36, 8
	v_add_co_ci_u32_e32 v37, vcc_lo, 0, v37, vcc_lo
	s_delay_alu instid0(VALU_DEP_3) | instskip(SKIP_1) | instid1(VALU_DEP_1)
	v_cmp_ge_i64_e32 vcc_lo, v[32:33], v[28:29]
	v_add_co_u32 v38, s1, v38, 16
	v_add_co_ci_u32_e64 v39, s1, 0, v39, s1
	s_and_not1_b32 s1, s35, exec_lo
	s_and_b32 s35, vcc_lo, exec_lo
	s_and_not1_b32 s34, s34, exec_lo
	s_or_b32 s35, s1, s35
	s_branch .LBB175_16
.LBB175_19:                             ;   in Loop: Header=BB175_14 Depth=2
	s_set_inst_prefetch_distance 0x2
	s_or_b32 exec_lo, exec_lo, s22
	s_xor_b32 s1, s23, -1
	s_delay_alu instid0(SALU_CYCLE_1) | instskip(NEXT) | instid1(SALU_CYCLE_1)
	s_and_saveexec_b32 s22, s1
	s_xor_b32 s1, exec_lo, s22
	s_cbranch_execz .LBB175_21
; %bb.20:                               ;   in Loop: Header=BB175_14 Depth=2
	global_store_b64 v[26:27], v[3:4], off
                                        ; implicit-def: $vgpr26_vgpr27
                                        ; implicit-def: $vgpr24_vgpr25
.LBB175_21:                             ;   in Loop: Header=BB175_14 Depth=2
	s_and_not1_saveexec_b32 s1, s1
	s_cbranch_execz .LBB175_12
; %bb.22:                               ;   in Loop: Header=BB175_14 Depth=2
	v_cmp_lt_i64_e32 vcc_lo, v[3:4], v[22:23]
	global_store_b64 v[26:27], v[3:4], off
	global_store_b64 v[24:25], v[34:35], off
	v_dual_cndmask_b32 v23, v23, v4 :: v_dual_cndmask_b32 v22, v22, v3
	s_branch .LBB175_12
.LBB175_23:                             ;   in Loop: Header=BB175_10 Depth=1
	ds_bpermute_b32 v3, v40, v22
	ds_bpermute_b32 v4, v40, v23
	s_waitcnt lgkmcnt(0)
	v_cmp_lt_i64_e32 vcc_lo, v[3:4], v[22:23]
	v_dual_cndmask_b32 v4, v23, v4 :: v_dual_cndmask_b32 v3, v22, v3
	ds_bpermute_b32 v21, v41, v4
	ds_bpermute_b32 v20, v41, v3
	s_waitcnt lgkmcnt(0)
	v_cmp_lt_i64_e32 vcc_lo, v[20:21], v[3:4]
	v_dual_cndmask_b32 v4, v4, v21 :: v_dual_cndmask_b32 v3, v3, v20
	ds_bpermute_b32 v21, v42, v4
	ds_bpermute_b32 v20, v42, v3
	s_waitcnt lgkmcnt(0)
	v_cmp_lt_i64_e32 vcc_lo, v[20:21], v[3:4]
	v_dual_cndmask_b32 v4, v4, v21 :: v_dual_cndmask_b32 v3, v3, v20
	ds_bpermute_b32 v21, v43, v4
	ds_bpermute_b32 v20, v43, v3
	s_waitcnt lgkmcnt(0)
	v_cmp_lt_i64_e32 vcc_lo, v[20:21], v[3:4]
	v_dual_cndmask_b32 v4, v4, v21 :: v_dual_cndmask_b32 v3, v3, v20
	ds_bpermute_b32 v21, v44, v4
	ds_bpermute_b32 v20, v44, v3
	s_waitcnt lgkmcnt(0)
	v_cmp_lt_i64_e32 vcc_lo, v[20:21], v[3:4]
	v_dual_cndmask_b32 v5, v4, v21 :: v_dual_cndmask_b32 v4, v3, v20
	s_delay_alu instid0(VALU_DEP_1) | instskip(SKIP_1) | instid1(SALU_CYCLE_1)
	v_cmp_gt_i64_e32 vcc_lo, s[6:7], v[4:5]
	s_and_b32 s1, s0, vcc_lo
	s_and_saveexec_b32 s22, s1
	s_cbranch_execz .LBB175_29
; %bb.24:                               ;   in Loop: Header=BB175_10 Depth=1
	v_or_b32_e32 v3, s9, v5
                                        ; implicit-def: $vgpr20_vgpr21
	s_mov_b32 s1, exec_lo
	s_delay_alu instid0(VALU_DEP_1)
	v_cmpx_ne_u64_e32 0, v[2:3]
	s_xor_b32 s23, exec_lo, s1
	s_cbranch_execnz .LBB175_50
; %bb.25:                               ;   in Loop: Header=BB175_10 Depth=1
	s_and_not1_saveexec_b32 s1, s23
	s_cbranch_execnz .LBB175_51
.LBB175_26:                             ;   in Loop: Header=BB175_10 Depth=1
	s_or_b32 exec_lo, exec_lo, s1
	s_delay_alu instid0(SALU_CYCLE_1)
	s_mov_b32 s1, exec_lo
	v_cmpx_ge_i64_e64 v[20:21], v[18:19]
	s_cbranch_execz .LBB175_28
.LBB175_27:                             ;   in Loop: Header=BB175_10 Depth=1
	v_lshlrev_b64 v[18:19], 3, v[16:17]
	v_add_co_u32 v22, vcc_lo, v20, s24
	v_add_co_ci_u32_e32 v23, vcc_lo, 0, v21, vcc_lo
	s_delay_alu instid0(VALU_DEP_3) | instskip(NEXT) | instid1(VALU_DEP_4)
	v_add_co_u32 v24, vcc_lo, s28, v18
	v_add_co_ci_u32_e32 v25, vcc_lo, s29, v19, vcc_lo
	v_add_co_u32 v16, vcc_lo, v16, 1
	v_add_co_ci_u32_e32 v17, vcc_lo, 0, v17, vcc_lo
	;; [unrolled: 2-line block ×3, first 2 shown]
	global_store_b64 v[24:25], v[22:23], off
.LBB175_28:                             ;   in Loop: Header=BB175_10 Depth=1
	s_or_b32 exec_lo, exec_lo, s1
.LBB175_29:                             ;   in Loop: Header=BB175_10 Depth=1
	s_delay_alu instid0(SALU_CYCLE_1)
	s_or_b32 exec_lo, exec_lo, s22
	ds_bpermute_b32 v34, v45, v4
	ds_bpermute_b32 v35, v45, v5
	;; [unrolled: 1-line block ×4, first 2 shown]
	s_and_not1_b32 vcc_lo, exec_lo, s26
	s_cbranch_vccnz .LBB175_9
; %bb.30:                               ;   in Loop: Header=BB175_10 Depth=1
	v_add_co_u32 v3, vcc_lo, s31, 0
	s_waitcnt lgkmcnt(0)
	v_add_co_ci_u32_e32 v4, vcc_lo, s33, v17, vcc_lo
	v_dual_mov_b32 v25, v13 :: v_dual_mov_b32 v24, v12
	s_delay_alu instid0(VALU_DEP_3) | instskip(NEXT) | instid1(VALU_DEP_3)
	v_add_co_u32 v5, vcc_lo, v3, v16
	v_add_co_ci_u32_e32 v3, vcc_lo, 0, v4, vcc_lo
	v_add_co_u32 v22, vcc_lo, s31, v16
	s_delay_alu instid0(VALU_DEP_3) | instskip(NEXT) | instid1(VALU_DEP_3)
	v_mul_lo_u32 v21, s9, v5
	v_mul_lo_u32 v20, s8, v3
	v_mad_u64_u32 v[3:4], null, s8, v5, v[0:1]
	v_add_co_ci_u32_e32 v5, vcc_lo, s33, v17, vcc_lo
	v_mul_lo_u32 v27, v22, s9
	s_mov_b64 s[20:21], s[10:11]
	s_delay_alu instid0(VALU_DEP_2) | instskip(NEXT) | instid1(VALU_DEP_4)
	v_mul_lo_u32 v26, v5, s8
	v_add3_u32 v23, v21, v4, v20
	v_mad_u64_u32 v[4:5], null, v22, s8, 0
	v_mul_lo_u32 v28, s15, v3
	v_mad_u64_u32 v[20:21], null, s14, v3, s[2:3]
	s_delay_alu instid0(VALU_DEP_4) | instskip(SKIP_3) | instid1(VALU_DEP_4)
	v_mul_lo_u32 v3, s14, v23
	v_dual_mov_b32 v23, v11 :: v_dual_mov_b32 v22, v10
	v_add3_u32 v5, v5, v27, v26
	v_dual_mov_b32 v27, v15 :: v_dual_mov_b32 v26, v14
	v_add3_u32 v21, v28, v21, v3
	s_branch .LBB175_33
.LBB175_31:                             ;   in Loop: Header=BB175_33 Depth=2
	s_or_b32 exec_lo, exec_lo, s1
	global_load_b128 v[36:39], v[24:25], off
	v_lshlrev_b64 v[28:29], 4, v[30:31]
	s_delay_alu instid0(VALU_DEP_1) | instskip(NEXT) | instid1(VALU_DEP_2)
	v_add_co_u32 v28, vcc_lo, v20, v28
	v_add_co_ci_u32_e32 v29, vcc_lo, v21, v29, vcc_lo
	s_waitcnt vmcnt(0)
	global_store_b128 v[28:29], v[36:39], off
.LBB175_32:                             ;   in Loop: Header=BB175_33 Depth=2
	s_or_b32 exec_lo, exec_lo, s34
	v_add_co_u32 v20, vcc_lo, v20, s16
	v_add_co_ci_u32_e32 v21, vcc_lo, s17, v21, vcc_lo
	v_add_co_u32 v26, vcc_lo, 0x200, v26
	v_add_co_ci_u32_e32 v27, vcc_lo, 0, v27, vcc_lo
	;; [unrolled: 2-line block ×3, first 2 shown]
	v_add_co_u32 v22, vcc_lo, v22, 8
	s_add_u32 s20, s20, -1
	v_add_co_ci_u32_e32 v23, vcc_lo, 0, v23, vcc_lo
	s_addc_u32 s21, s21, -1
	s_delay_alu instid0(SALU_CYCLE_1)
	s_cmp_eq_u64 s[20:21], 0
	s_cbranch_scc1 .LBB175_9
.LBB175_33:                             ;   Parent Loop BB175_10 Depth=1
                                        ; =>  This Inner Loop Header: Depth=2
	global_load_b64 v[28:29], v[22:23], off
	s_mov_b32 s34, exec_lo
	s_waitcnt vmcnt(0)
	v_cmpx_gt_i64_e64 s[6:7], v[28:29]
	s_cbranch_execz .LBB175_32
; %bb.34:                               ;   in Loop: Header=BB175_33 Depth=2
	v_or_b32_e32 v36, s9, v29
                                        ; implicit-def: $vgpr30_vgpr31
	s_mov_b32 s1, exec_lo
	s_delay_alu instid0(VALU_DEP_1) | instskip(NEXT) | instid1(VALU_DEP_1)
	v_mov_b32_e32 v3, v36
	v_cmpx_ne_u64_e32 0, v[2:3]
	s_xor_b32 s35, exec_lo, s1
	s_cbranch_execz .LBB175_36
; %bb.35:                               ;   in Loop: Header=BB175_33 Depth=2
	s_add_u32 s22, s8, s18
	s_mov_b32 s19, s18
	s_addc_u32 s23, s9, s18
	s_delay_alu instid0(SALU_CYCLE_1) | instskip(NEXT) | instid1(SALU_CYCLE_1)
	s_xor_b64 s[22:23], s[22:23], s[18:19]
	v_cvt_f32_u32_e32 v3, s22
	v_cvt_f32_u32_e32 v30, s23
	s_sub_u32 s1, 0, s22
	s_subb_u32 s19, 0, s23
	s_delay_alu instid0(VALU_DEP_1) | instskip(NEXT) | instid1(VALU_DEP_1)
	v_fmac_f32_e32 v3, 0x4f800000, v30
	v_rcp_f32_e32 v3, v3
	s_waitcnt_depctr 0xfff
	v_mul_f32_e32 v3, 0x5f7ffffc, v3
	s_delay_alu instid0(VALU_DEP_1) | instskip(NEXT) | instid1(VALU_DEP_1)
	v_mul_f32_e32 v30, 0x2f800000, v3
	v_trunc_f32_e32 v30, v30
	s_delay_alu instid0(VALU_DEP_1) | instskip(SKIP_1) | instid1(VALU_DEP_2)
	v_fmac_f32_e32 v3, 0xcf800000, v30
	v_cvt_u32_f32_e32 v30, v30
	v_cvt_u32_f32_e32 v3, v3
	s_delay_alu instid0(VALU_DEP_2) | instskip(NEXT) | instid1(VALU_DEP_2)
	v_mul_lo_u32 v31, s1, v30
	v_mul_hi_u32 v32, s1, v3
	v_mul_lo_u32 v33, s19, v3
	s_delay_alu instid0(VALU_DEP_2) | instskip(SKIP_1) | instid1(VALU_DEP_2)
	v_add_nc_u32_e32 v31, v32, v31
	v_mul_lo_u32 v32, s1, v3
	v_add_nc_u32_e32 v31, v31, v33
	s_delay_alu instid0(VALU_DEP_2) | instskip(NEXT) | instid1(VALU_DEP_2)
	v_mul_hi_u32 v33, v3, v32
	v_mul_lo_u32 v37, v3, v31
	v_mul_hi_u32 v38, v3, v31
	v_mul_hi_u32 v39, v30, v32
	v_mul_lo_u32 v32, v30, v32
	v_mul_hi_u32 v46, v30, v31
	v_mul_lo_u32 v31, v30, v31
	v_add_co_u32 v33, vcc_lo, v33, v37
	v_add_co_ci_u32_e32 v37, vcc_lo, 0, v38, vcc_lo
	s_delay_alu instid0(VALU_DEP_2) | instskip(NEXT) | instid1(VALU_DEP_2)
	v_add_co_u32 v32, vcc_lo, v33, v32
	v_add_co_ci_u32_e32 v32, vcc_lo, v37, v39, vcc_lo
	v_add_co_ci_u32_e32 v33, vcc_lo, 0, v46, vcc_lo
	v_ashrrev_i32_e32 v39, 31, v29
	s_delay_alu instid0(VALU_DEP_3) | instskip(NEXT) | instid1(VALU_DEP_3)
	v_add_co_u32 v31, vcc_lo, v32, v31
	v_add_co_ci_u32_e32 v32, vcc_lo, 0, v33, vcc_lo
	s_delay_alu instid0(VALU_DEP_2) | instskip(NEXT) | instid1(VALU_DEP_2)
	v_add_co_u32 v3, vcc_lo, v3, v31
	v_add_co_ci_u32_e32 v30, vcc_lo, v30, v32, vcc_lo
	s_delay_alu instid0(VALU_DEP_2) | instskip(SKIP_1) | instid1(VALU_DEP_3)
	v_mul_hi_u32 v31, s1, v3
	v_mul_lo_u32 v33, s19, v3
	v_mul_lo_u32 v32, s1, v30
	s_delay_alu instid0(VALU_DEP_1) | instskip(SKIP_1) | instid1(VALU_DEP_2)
	v_add_nc_u32_e32 v31, v31, v32
	v_mul_lo_u32 v32, s1, v3
	v_add_nc_u32_e32 v31, v31, v33
	s_delay_alu instid0(VALU_DEP_2) | instskip(NEXT) | instid1(VALU_DEP_2)
	v_mul_hi_u32 v33, v3, v32
	v_mul_lo_u32 v37, v3, v31
	v_mul_hi_u32 v38, v3, v31
	v_mul_hi_u32 v46, v30, v32
	v_mul_lo_u32 v32, v30, v32
	v_mul_hi_u32 v47, v30, v31
	v_mul_lo_u32 v31, v30, v31
	v_add_co_u32 v33, vcc_lo, v33, v37
	v_add_co_ci_u32_e32 v37, vcc_lo, 0, v38, vcc_lo
	s_delay_alu instid0(VALU_DEP_2) | instskip(NEXT) | instid1(VALU_DEP_2)
	v_add_co_u32 v32, vcc_lo, v33, v32
	v_add_co_ci_u32_e32 v32, vcc_lo, v37, v46, vcc_lo
	v_add_co_ci_u32_e32 v33, vcc_lo, 0, v47, vcc_lo
	v_add_co_u32 v37, vcc_lo, v28, v39
	v_add_co_ci_u32_e32 v38, vcc_lo, v29, v39, vcc_lo
	s_delay_alu instid0(VALU_DEP_4) | instskip(NEXT) | instid1(VALU_DEP_4)
	v_add_co_u32 v31, vcc_lo, v32, v31
	v_add_co_ci_u32_e32 v32, vcc_lo, 0, v33, vcc_lo
	s_delay_alu instid0(VALU_DEP_4) | instskip(NEXT) | instid1(VALU_DEP_3)
	v_xor_b32_e32 v46, v37, v39
	v_add_co_u32 v3, vcc_lo, v3, v31
	s_delay_alu instid0(VALU_DEP_3) | instskip(SKIP_1) | instid1(VALU_DEP_3)
	v_add_co_ci_u32_e32 v47, vcc_lo, v30, v32, vcc_lo
	v_xor_b32_e32 v48, v38, v39
	v_mul_hi_u32 v49, v46, v3
	s_delay_alu instid0(VALU_DEP_3) | instskip(NEXT) | instid1(VALU_DEP_3)
	v_mad_u64_u32 v[30:31], null, v46, v47, 0
	v_mad_u64_u32 v[32:33], null, v48, v3, 0
	;; [unrolled: 1-line block ×3, first 2 shown]
	s_delay_alu instid0(VALU_DEP_3) | instskip(NEXT) | instid1(VALU_DEP_4)
	v_add_co_u32 v3, vcc_lo, v49, v30
	v_add_co_ci_u32_e32 v30, vcc_lo, 0, v31, vcc_lo
	s_delay_alu instid0(VALU_DEP_2) | instskip(NEXT) | instid1(VALU_DEP_2)
	v_add_co_u32 v3, vcc_lo, v3, v32
	v_add_co_ci_u32_e32 v3, vcc_lo, v30, v33, vcc_lo
	v_add_co_ci_u32_e32 v30, vcc_lo, 0, v38, vcc_lo
	s_delay_alu instid0(VALU_DEP_2) | instskip(NEXT) | instid1(VALU_DEP_2)
	v_add_co_u32 v3, vcc_lo, v3, v37
	v_add_co_ci_u32_e32 v32, vcc_lo, 0, v30, vcc_lo
	s_delay_alu instid0(VALU_DEP_2) | instskip(SKIP_1) | instid1(VALU_DEP_3)
	v_mul_lo_u32 v33, s23, v3
	v_mad_u64_u32 v[30:31], null, s22, v3, 0
	v_mul_lo_u32 v37, s22, v32
	s_delay_alu instid0(VALU_DEP_2) | instskip(NEXT) | instid1(VALU_DEP_2)
	v_sub_co_u32 v30, vcc_lo, v46, v30
	v_add3_u32 v31, v31, v37, v33
	s_delay_alu instid0(VALU_DEP_1) | instskip(NEXT) | instid1(VALU_DEP_1)
	v_sub_nc_u32_e32 v33, v48, v31
	v_subrev_co_ci_u32_e64 v33, s1, s23, v33, vcc_lo
	v_add_co_u32 v37, s1, v3, 2
	s_delay_alu instid0(VALU_DEP_1) | instskip(SKIP_3) | instid1(VALU_DEP_3)
	v_add_co_ci_u32_e64 v38, s1, 0, v32, s1
	v_sub_co_u32 v46, s1, v30, s22
	v_sub_co_ci_u32_e32 v31, vcc_lo, v48, v31, vcc_lo
	v_subrev_co_ci_u32_e64 v33, s1, 0, v33, s1
	v_cmp_le_u32_e32 vcc_lo, s22, v46
	s_delay_alu instid0(VALU_DEP_3) | instskip(SKIP_1) | instid1(VALU_DEP_4)
	v_cmp_eq_u32_e64 s1, s23, v31
	v_cndmask_b32_e64 v46, 0, -1, vcc_lo
	v_cmp_le_u32_e32 vcc_lo, s23, v33
	v_cndmask_b32_e64 v47, 0, -1, vcc_lo
	v_cmp_le_u32_e32 vcc_lo, s22, v30
	;; [unrolled: 2-line block ×3, first 2 shown]
	v_cndmask_b32_e64 v48, 0, -1, vcc_lo
	v_cmp_eq_u32_e32 vcc_lo, s23, v33
	s_delay_alu instid0(VALU_DEP_2) | instskip(SKIP_3) | instid1(VALU_DEP_3)
	v_cndmask_b32_e64 v30, v48, v30, s1
	v_cndmask_b32_e32 v33, v47, v46, vcc_lo
	v_add_co_u32 v46, vcc_lo, v3, 1
	v_add_co_ci_u32_e32 v47, vcc_lo, 0, v32, vcc_lo
	v_cmp_ne_u32_e32 vcc_lo, 0, v33
	s_delay_alu instid0(VALU_DEP_2) | instskip(NEXT) | instid1(VALU_DEP_4)
	v_cndmask_b32_e32 v31, v47, v38, vcc_lo
	v_cndmask_b32_e32 v33, v46, v37, vcc_lo
	v_cmp_ne_u32_e32 vcc_lo, 0, v30
	v_xor_b32_e32 v37, s18, v39
	s_delay_alu instid0(VALU_DEP_3) | instskip(NEXT) | instid1(VALU_DEP_1)
	v_dual_cndmask_b32 v3, v3, v33 :: v_dual_cndmask_b32 v30, v32, v31
	v_xor_b32_e32 v3, v3, v37
	s_delay_alu instid0(VALU_DEP_2) | instskip(NEXT) | instid1(VALU_DEP_2)
	v_xor_b32_e32 v31, v30, v37
	v_sub_co_u32 v30, vcc_lo, v3, v37
	s_delay_alu instid0(VALU_DEP_2)
	v_sub_co_ci_u32_e32 v31, vcc_lo, v31, v37, vcc_lo
.LBB175_36:                             ;   in Loop: Header=BB175_33 Depth=2
	s_and_not1_saveexec_b32 s1, s35
	s_cbranch_execz .LBB175_38
; %bb.37:                               ;   in Loop: Header=BB175_33 Depth=2
	v_cvt_f32_u32_e32 v3, s8
	s_sub_i32 s19, 0, s8
	s_delay_alu instid0(VALU_DEP_1) | instskip(SKIP_2) | instid1(VALU_DEP_1)
	v_rcp_iflag_f32_e32 v3, v3
	s_waitcnt_depctr 0xfff
	v_mul_f32_e32 v3, 0x4f7ffffe, v3
	v_cvt_u32_f32_e32 v3, v3
	s_delay_alu instid0(VALU_DEP_1) | instskip(NEXT) | instid1(VALU_DEP_1)
	v_mul_lo_u32 v30, s19, v3
	v_mul_hi_u32 v30, v3, v30
	s_delay_alu instid0(VALU_DEP_1) | instskip(NEXT) | instid1(VALU_DEP_1)
	v_add_nc_u32_e32 v3, v3, v30
	v_mul_hi_u32 v3, v28, v3
	s_delay_alu instid0(VALU_DEP_1) | instskip(SKIP_1) | instid1(VALU_DEP_2)
	v_mul_lo_u32 v30, v3, s8
	v_add_nc_u32_e32 v31, 1, v3
	v_sub_nc_u32_e32 v30, v28, v30
	s_delay_alu instid0(VALU_DEP_1) | instskip(SKIP_1) | instid1(VALU_DEP_2)
	v_subrev_nc_u32_e32 v32, s8, v30
	v_cmp_le_u32_e32 vcc_lo, s8, v30
	v_dual_cndmask_b32 v30, v30, v32 :: v_dual_cndmask_b32 v3, v3, v31
	s_delay_alu instid0(VALU_DEP_1) | instskip(NEXT) | instid1(VALU_DEP_2)
	v_cmp_le_u32_e32 vcc_lo, s8, v30
	v_add_nc_u32_e32 v31, 1, v3
	s_delay_alu instid0(VALU_DEP_1)
	v_dual_cndmask_b32 v30, v3, v31 :: v_dual_mov_b32 v31, v2
.LBB175_38:                             ;   in Loop: Header=BB175_33 Depth=2
	s_or_b32 exec_lo, exec_lo, s1
	v_or_b32_e32 v3, s9, v35
                                        ; implicit-def: $vgpr32_vgpr33
	s_mov_b32 s1, exec_lo
	s_delay_alu instid0(VALU_DEP_1)
	v_cmpx_ne_u64_e32 0, v[2:3]
	s_xor_b32 s35, exec_lo, s1
	s_cbranch_execnz .LBB175_41
; %bb.39:                               ;   in Loop: Header=BB175_33 Depth=2
	s_and_not1_saveexec_b32 s1, s35
	s_cbranch_execnz .LBB175_42
.LBB175_40:                             ;   in Loop: Header=BB175_33 Depth=2
	s_or_b32 exec_lo, exec_lo, s1
	s_delay_alu instid0(VALU_DEP_1)
	v_cmp_eq_u64_e32 vcc_lo, v[30:31], v[32:33]
	s_and_b32 exec_lo, exec_lo, vcc_lo
	s_cbranch_execz .LBB175_32
	s_branch .LBB175_43
.LBB175_41:                             ;   in Loop: Header=BB175_33 Depth=2
	s_add_u32 s22, s8, s18
	s_mov_b32 s19, s18
	s_addc_u32 s23, s9, s18
	s_delay_alu instid0(SALU_CYCLE_1) | instskip(NEXT) | instid1(SALU_CYCLE_1)
	s_xor_b64 s[22:23], s[22:23], s[18:19]
	v_cvt_f32_u32_e32 v3, s22
	v_cvt_f32_u32_e32 v32, s23
	s_sub_u32 s1, 0, s22
	s_subb_u32 s19, 0, s23
	s_delay_alu instid0(VALU_DEP_1) | instskip(NEXT) | instid1(VALU_DEP_1)
	v_fmac_f32_e32 v3, 0x4f800000, v32
	v_rcp_f32_e32 v3, v3
	s_waitcnt_depctr 0xfff
	v_mul_f32_e32 v3, 0x5f7ffffc, v3
	s_delay_alu instid0(VALU_DEP_1) | instskip(NEXT) | instid1(VALU_DEP_1)
	v_mul_f32_e32 v32, 0x2f800000, v3
	v_trunc_f32_e32 v32, v32
	s_delay_alu instid0(VALU_DEP_1) | instskip(SKIP_1) | instid1(VALU_DEP_2)
	v_fmac_f32_e32 v3, 0xcf800000, v32
	v_cvt_u32_f32_e32 v32, v32
	v_cvt_u32_f32_e32 v3, v3
	s_delay_alu instid0(VALU_DEP_2) | instskip(NEXT) | instid1(VALU_DEP_2)
	v_mul_lo_u32 v33, s1, v32
	v_mul_hi_u32 v37, s1, v3
	v_mul_lo_u32 v38, s19, v3
	s_delay_alu instid0(VALU_DEP_2) | instskip(SKIP_1) | instid1(VALU_DEP_2)
	v_add_nc_u32_e32 v33, v37, v33
	v_mul_lo_u32 v37, s1, v3
	v_add_nc_u32_e32 v33, v33, v38
	s_delay_alu instid0(VALU_DEP_2) | instskip(NEXT) | instid1(VALU_DEP_2)
	v_mul_hi_u32 v38, v3, v37
	v_mul_lo_u32 v39, v3, v33
	v_mul_hi_u32 v46, v3, v33
	v_mul_hi_u32 v47, v32, v37
	v_mul_lo_u32 v37, v32, v37
	v_mul_hi_u32 v48, v32, v33
	v_mul_lo_u32 v33, v32, v33
	v_add_co_u32 v38, vcc_lo, v38, v39
	v_add_co_ci_u32_e32 v39, vcc_lo, 0, v46, vcc_lo
	s_delay_alu instid0(VALU_DEP_2) | instskip(NEXT) | instid1(VALU_DEP_2)
	v_add_co_u32 v37, vcc_lo, v38, v37
	v_add_co_ci_u32_e32 v37, vcc_lo, v39, v47, vcc_lo
	v_add_co_ci_u32_e32 v38, vcc_lo, 0, v48, vcc_lo
	v_ashrrev_i32_e32 v48, 31, v35
	s_delay_alu instid0(VALU_DEP_3) | instskip(NEXT) | instid1(VALU_DEP_3)
	v_add_co_u32 v33, vcc_lo, v37, v33
	v_add_co_ci_u32_e32 v37, vcc_lo, 0, v38, vcc_lo
	s_delay_alu instid0(VALU_DEP_2) | instskip(NEXT) | instid1(VALU_DEP_2)
	v_add_co_u32 v3, vcc_lo, v3, v33
	v_add_co_ci_u32_e32 v32, vcc_lo, v32, v37, vcc_lo
	s_delay_alu instid0(VALU_DEP_2) | instskip(SKIP_1) | instid1(VALU_DEP_3)
	v_mul_hi_u32 v33, s1, v3
	v_mul_lo_u32 v38, s19, v3
	v_mul_lo_u32 v37, s1, v32
	s_delay_alu instid0(VALU_DEP_1) | instskip(SKIP_1) | instid1(VALU_DEP_2)
	v_add_nc_u32_e32 v33, v33, v37
	v_mul_lo_u32 v37, s1, v3
	v_add_nc_u32_e32 v33, v33, v38
	s_delay_alu instid0(VALU_DEP_2) | instskip(NEXT) | instid1(VALU_DEP_2)
	v_mul_hi_u32 v38, v3, v37
	v_mul_lo_u32 v39, v3, v33
	v_mul_hi_u32 v46, v3, v33
	v_mul_hi_u32 v47, v32, v37
	v_mul_lo_u32 v37, v32, v37
	v_mul_hi_u32 v49, v32, v33
	v_mul_lo_u32 v33, v32, v33
	v_add_co_u32 v38, vcc_lo, v38, v39
	v_add_co_ci_u32_e32 v39, vcc_lo, 0, v46, vcc_lo
	s_delay_alu instid0(VALU_DEP_2) | instskip(NEXT) | instid1(VALU_DEP_2)
	v_add_co_u32 v37, vcc_lo, v38, v37
	v_add_co_ci_u32_e32 v37, vcc_lo, v39, v47, vcc_lo
	v_add_co_ci_u32_e32 v38, vcc_lo, 0, v49, vcc_lo
	v_add_co_u32 v39, vcc_lo, v34, v48
	v_add_co_ci_u32_e32 v46, vcc_lo, v35, v48, vcc_lo
	s_delay_alu instid0(VALU_DEP_4) | instskip(NEXT) | instid1(VALU_DEP_4)
	v_add_co_u32 v33, vcc_lo, v37, v33
	v_add_co_ci_u32_e32 v37, vcc_lo, 0, v38, vcc_lo
	s_delay_alu instid0(VALU_DEP_4) | instskip(NEXT) | instid1(VALU_DEP_3)
	v_xor_b32_e32 v39, v39, v48
	v_add_co_u32 v3, vcc_lo, v3, v33
	s_delay_alu instid0(VALU_DEP_3) | instskip(SKIP_1) | instid1(VALU_DEP_3)
	v_add_co_ci_u32_e32 v49, vcc_lo, v32, v37, vcc_lo
	v_xor_b32_e32 v50, v46, v48
	v_mul_hi_u32 v51, v39, v3
	s_delay_alu instid0(VALU_DEP_3) | instskip(NEXT) | instid1(VALU_DEP_3)
	v_mad_u64_u32 v[32:33], null, v39, v49, 0
	v_mad_u64_u32 v[37:38], null, v50, v3, 0
	;; [unrolled: 1-line block ×3, first 2 shown]
	s_delay_alu instid0(VALU_DEP_3) | instskip(NEXT) | instid1(VALU_DEP_4)
	v_add_co_u32 v3, vcc_lo, v51, v32
	v_add_co_ci_u32_e32 v32, vcc_lo, 0, v33, vcc_lo
	s_delay_alu instid0(VALU_DEP_2) | instskip(NEXT) | instid1(VALU_DEP_2)
	v_add_co_u32 v3, vcc_lo, v3, v37
	v_add_co_ci_u32_e32 v3, vcc_lo, v32, v38, vcc_lo
	v_add_co_ci_u32_e32 v32, vcc_lo, 0, v47, vcc_lo
	s_delay_alu instid0(VALU_DEP_2) | instskip(NEXT) | instid1(VALU_DEP_2)
	v_add_co_u32 v3, vcc_lo, v3, v46
	v_add_co_ci_u32_e32 v37, vcc_lo, 0, v32, vcc_lo
	s_delay_alu instid0(VALU_DEP_2) | instskip(SKIP_1) | instid1(VALU_DEP_3)
	v_mul_lo_u32 v38, s23, v3
	v_mad_u64_u32 v[32:33], null, s22, v3, 0
	v_mul_lo_u32 v46, s22, v37
	s_delay_alu instid0(VALU_DEP_2) | instskip(NEXT) | instid1(VALU_DEP_2)
	v_sub_co_u32 v32, vcc_lo, v39, v32
	v_add3_u32 v33, v33, v46, v38
	s_delay_alu instid0(VALU_DEP_1) | instskip(NEXT) | instid1(VALU_DEP_1)
	v_sub_nc_u32_e32 v38, v50, v33
	v_subrev_co_ci_u32_e64 v38, s1, s23, v38, vcc_lo
	v_add_co_u32 v39, s1, v3, 2
	s_delay_alu instid0(VALU_DEP_1) | instskip(SKIP_3) | instid1(VALU_DEP_3)
	v_add_co_ci_u32_e64 v46, s1, 0, v37, s1
	v_sub_co_u32 v47, s1, v32, s22
	v_sub_co_ci_u32_e32 v33, vcc_lo, v50, v33, vcc_lo
	v_subrev_co_ci_u32_e64 v38, s1, 0, v38, s1
	v_cmp_le_u32_e32 vcc_lo, s22, v47
	s_delay_alu instid0(VALU_DEP_3) | instskip(SKIP_1) | instid1(VALU_DEP_4)
	v_cmp_eq_u32_e64 s1, s23, v33
	v_cndmask_b32_e64 v47, 0, -1, vcc_lo
	v_cmp_le_u32_e32 vcc_lo, s23, v38
	v_cndmask_b32_e64 v49, 0, -1, vcc_lo
	v_cmp_le_u32_e32 vcc_lo, s22, v32
	;; [unrolled: 2-line block ×3, first 2 shown]
	v_cndmask_b32_e64 v50, 0, -1, vcc_lo
	v_cmp_eq_u32_e32 vcc_lo, s23, v38
	s_delay_alu instid0(VALU_DEP_2) | instskip(SKIP_3) | instid1(VALU_DEP_3)
	v_cndmask_b32_e64 v32, v50, v32, s1
	v_cndmask_b32_e32 v38, v49, v47, vcc_lo
	v_add_co_u32 v47, vcc_lo, v3, 1
	v_add_co_ci_u32_e32 v49, vcc_lo, 0, v37, vcc_lo
	v_cmp_ne_u32_e32 vcc_lo, 0, v38
	s_delay_alu instid0(VALU_DEP_2) | instskip(SKIP_2) | instid1(VALU_DEP_3)
	v_dual_cndmask_b32 v38, v47, v39 :: v_dual_cndmask_b32 v33, v49, v46
	v_cmp_ne_u32_e32 vcc_lo, 0, v32
	v_xor_b32_e32 v39, s18, v48
	v_dual_cndmask_b32 v3, v3, v38 :: v_dual_cndmask_b32 v32, v37, v33
	s_delay_alu instid0(VALU_DEP_1) | instskip(NEXT) | instid1(VALU_DEP_2)
	v_xor_b32_e32 v3, v3, v39
	v_xor_b32_e32 v33, v32, v39
	s_delay_alu instid0(VALU_DEP_2) | instskip(NEXT) | instid1(VALU_DEP_2)
	v_sub_co_u32 v32, vcc_lo, v3, v39
	v_sub_co_ci_u32_e32 v33, vcc_lo, v33, v39, vcc_lo
	s_and_not1_saveexec_b32 s1, s35
	s_cbranch_execz .LBB175_40
.LBB175_42:                             ;   in Loop: Header=BB175_33 Depth=2
	v_cvt_f32_u32_e32 v3, s8
	s_sub_i32 s19, 0, s8
	s_delay_alu instid0(VALU_DEP_1) | instskip(SKIP_2) | instid1(VALU_DEP_1)
	v_rcp_iflag_f32_e32 v3, v3
	s_waitcnt_depctr 0xfff
	v_mul_f32_e32 v3, 0x4f7ffffe, v3
	v_cvt_u32_f32_e32 v3, v3
	s_delay_alu instid0(VALU_DEP_1) | instskip(NEXT) | instid1(VALU_DEP_1)
	v_mul_lo_u32 v32, s19, v3
	v_mul_hi_u32 v32, v3, v32
	s_delay_alu instid0(VALU_DEP_1) | instskip(NEXT) | instid1(VALU_DEP_1)
	v_add_nc_u32_e32 v3, v3, v32
	v_mul_hi_u32 v3, v34, v3
	s_delay_alu instid0(VALU_DEP_1) | instskip(SKIP_1) | instid1(VALU_DEP_2)
	v_mul_lo_u32 v32, v3, s8
	v_add_nc_u32_e32 v33, 1, v3
	v_sub_nc_u32_e32 v32, v34, v32
	s_delay_alu instid0(VALU_DEP_1) | instskip(SKIP_1) | instid1(VALU_DEP_2)
	v_subrev_nc_u32_e32 v37, s8, v32
	v_cmp_le_u32_e32 vcc_lo, s8, v32
	v_cndmask_b32_e32 v32, v32, v37, vcc_lo
	v_cndmask_b32_e32 v3, v3, v33, vcc_lo
	s_delay_alu instid0(VALU_DEP_2) | instskip(NEXT) | instid1(VALU_DEP_2)
	v_cmp_le_u32_e32 vcc_lo, s8, v32
	v_add_nc_u32_e32 v33, 1, v3
	s_delay_alu instid0(VALU_DEP_1) | instskip(SKIP_1) | instid1(VALU_DEP_1)
	v_dual_cndmask_b32 v32, v3, v33 :: v_dual_mov_b32 v33, v2
	s_or_b32 exec_lo, exec_lo, s1
	v_cmp_eq_u64_e32 vcc_lo, v[30:31], v[32:33]
	s_and_b32 exec_lo, exec_lo, vcc_lo
	s_cbranch_execz .LBB175_32
.LBB175_43:                             ;   in Loop: Header=BB175_33 Depth=2
	s_and_b32 vcc_lo, exec_lo, s30
	s_cbranch_vccz .LBB175_45
; %bb.44:                               ;   in Loop: Header=BB175_33 Depth=2
	global_load_b128 v[46:49], v[24:25], off
	v_mul_lo_u32 v3, v31, s8
	v_mul_lo_u32 v33, v30, s9
	v_mad_u64_u32 v[31:32], null, v30, s8, 0
	s_delay_alu instid0(VALU_DEP_1) | instskip(NEXT) | instid1(VALU_DEP_2)
	v_add3_u32 v3, v32, v33, v3
	v_sub_co_u32 v30, vcc_lo, v28, v31
	s_delay_alu instid0(VALU_DEP_2) | instskip(NEXT) | instid1(VALU_DEP_2)
	v_sub_co_ci_u32_e32 v3, vcc_lo, v29, v3, vcc_lo
	v_add_co_u32 v32, vcc_lo, v30, v4
	s_delay_alu instid0(VALU_DEP_2) | instskip(NEXT) | instid1(VALU_DEP_2)
	v_add_co_ci_u32_e32 v3, vcc_lo, v3, v5, vcc_lo
	v_mul_lo_u32 v33, s15, v32
	v_mad_u64_u32 v[30:31], null, s14, v32, v[26:27]
	s_delay_alu instid0(VALU_DEP_3) | instskip(NEXT) | instid1(VALU_DEP_1)
	v_mul_lo_u32 v3, s14, v3
	v_add3_u32 v31, v33, v31, v3
	s_waitcnt vmcnt(0)
	global_store_b128 v[30:31], v[46:49], off
	s_cbranch_execnz .LBB175_32
	s_branch .LBB175_46
.LBB175_45:                             ;   in Loop: Header=BB175_33 Depth=2
.LBB175_46:                             ;   in Loop: Header=BB175_33 Depth=2
	v_mov_b32_e32 v3, v36
                                        ; implicit-def: $vgpr30_vgpr31
	s_mov_b32 s1, exec_lo
	s_delay_alu instid0(VALU_DEP_1)
	v_cmpx_ne_u64_e32 0, v[2:3]
	s_xor_b32 s35, exec_lo, s1
	s_cbranch_execz .LBB175_48
; %bb.47:                               ;   in Loop: Header=BB175_33 Depth=2
	s_add_u32 s22, s8, s18
	s_mov_b32 s19, s18
	s_addc_u32 s23, s9, s18
	s_delay_alu instid0(SALU_CYCLE_1) | instskip(NEXT) | instid1(SALU_CYCLE_1)
	s_xor_b64 s[22:23], s[22:23], s[18:19]
	v_cvt_f32_u32_e32 v3, s22
	v_cvt_f32_u32_e32 v30, s23
	s_sub_u32 s1, 0, s22
	s_subb_u32 s19, 0, s23
	s_delay_alu instid0(VALU_DEP_1) | instskip(NEXT) | instid1(VALU_DEP_1)
	v_fmac_f32_e32 v3, 0x4f800000, v30
	v_rcp_f32_e32 v3, v3
	s_waitcnt_depctr 0xfff
	v_mul_f32_e32 v3, 0x5f7ffffc, v3
	s_delay_alu instid0(VALU_DEP_1) | instskip(NEXT) | instid1(VALU_DEP_1)
	v_mul_f32_e32 v30, 0x2f800000, v3
	v_trunc_f32_e32 v30, v30
	s_delay_alu instid0(VALU_DEP_1) | instskip(SKIP_1) | instid1(VALU_DEP_2)
	v_fmac_f32_e32 v3, 0xcf800000, v30
	v_cvt_u32_f32_e32 v30, v30
	v_cvt_u32_f32_e32 v3, v3
	s_delay_alu instid0(VALU_DEP_2) | instskip(NEXT) | instid1(VALU_DEP_2)
	v_mul_lo_u32 v31, s1, v30
	v_mul_hi_u32 v32, s1, v3
	v_mul_lo_u32 v33, s19, v3
	s_delay_alu instid0(VALU_DEP_2) | instskip(SKIP_1) | instid1(VALU_DEP_2)
	v_add_nc_u32_e32 v31, v32, v31
	v_mul_lo_u32 v32, s1, v3
	v_add_nc_u32_e32 v31, v31, v33
	s_delay_alu instid0(VALU_DEP_2) | instskip(NEXT) | instid1(VALU_DEP_2)
	v_mul_hi_u32 v33, v3, v32
	v_mul_lo_u32 v36, v3, v31
	v_mul_hi_u32 v37, v3, v31
	v_mul_hi_u32 v38, v30, v32
	v_mul_lo_u32 v32, v30, v32
	v_mul_hi_u32 v39, v30, v31
	v_mul_lo_u32 v31, v30, v31
	v_add_co_u32 v33, vcc_lo, v33, v36
	v_add_co_ci_u32_e32 v36, vcc_lo, 0, v37, vcc_lo
	s_delay_alu instid0(VALU_DEP_2) | instskip(NEXT) | instid1(VALU_DEP_2)
	v_add_co_u32 v32, vcc_lo, v33, v32
	v_add_co_ci_u32_e32 v32, vcc_lo, v36, v38, vcc_lo
	v_add_co_ci_u32_e32 v33, vcc_lo, 0, v39, vcc_lo
	v_ashrrev_i32_e32 v38, 31, v29
	s_delay_alu instid0(VALU_DEP_3) | instskip(NEXT) | instid1(VALU_DEP_3)
	v_add_co_u32 v31, vcc_lo, v32, v31
	v_add_co_ci_u32_e32 v32, vcc_lo, 0, v33, vcc_lo
	s_delay_alu instid0(VALU_DEP_2) | instskip(NEXT) | instid1(VALU_DEP_2)
	v_add_co_u32 v3, vcc_lo, v3, v31
	v_add_co_ci_u32_e32 v30, vcc_lo, v30, v32, vcc_lo
	s_delay_alu instid0(VALU_DEP_2) | instskip(SKIP_1) | instid1(VALU_DEP_3)
	v_mul_hi_u32 v31, s1, v3
	v_mul_lo_u32 v33, s19, v3
	v_mul_lo_u32 v32, s1, v30
	s_delay_alu instid0(VALU_DEP_1) | instskip(SKIP_1) | instid1(VALU_DEP_2)
	v_add_nc_u32_e32 v31, v31, v32
	v_mul_lo_u32 v32, s1, v3
	v_add_nc_u32_e32 v31, v31, v33
	s_delay_alu instid0(VALU_DEP_2) | instskip(NEXT) | instid1(VALU_DEP_2)
	v_mul_hi_u32 v33, v3, v32
	v_mul_lo_u32 v36, v3, v31
	v_mul_hi_u32 v37, v3, v31
	v_mul_hi_u32 v39, v30, v32
	v_mul_lo_u32 v32, v30, v32
	v_mul_hi_u32 v46, v30, v31
	v_mul_lo_u32 v31, v30, v31
	v_add_co_u32 v33, vcc_lo, v33, v36
	v_add_co_ci_u32_e32 v36, vcc_lo, 0, v37, vcc_lo
	s_delay_alu instid0(VALU_DEP_2) | instskip(NEXT) | instid1(VALU_DEP_2)
	v_add_co_u32 v32, vcc_lo, v33, v32
	v_add_co_ci_u32_e32 v32, vcc_lo, v36, v39, vcc_lo
	v_add_co_ci_u32_e32 v33, vcc_lo, 0, v46, vcc_lo
	v_add_co_u32 v28, vcc_lo, v28, v38
	v_add_co_ci_u32_e32 v29, vcc_lo, v29, v38, vcc_lo
	s_delay_alu instid0(VALU_DEP_4) | instskip(NEXT) | instid1(VALU_DEP_4)
	v_add_co_u32 v31, vcc_lo, v32, v31
	v_add_co_ci_u32_e32 v32, vcc_lo, 0, v33, vcc_lo
	s_delay_alu instid0(VALU_DEP_4) | instskip(NEXT) | instid1(VALU_DEP_3)
	v_xor_b32_e32 v36, v28, v38
	v_add_co_u32 v3, vcc_lo, v3, v31
	s_delay_alu instid0(VALU_DEP_3) | instskip(SKIP_1) | instid1(VALU_DEP_3)
	v_add_co_ci_u32_e32 v37, vcc_lo, v30, v32, vcc_lo
	v_xor_b32_e32 v39, v29, v38
	v_mul_hi_u32 v46, v36, v3
	s_delay_alu instid0(VALU_DEP_3) | instskip(NEXT) | instid1(VALU_DEP_3)
	v_mad_u64_u32 v[28:29], null, v36, v37, 0
	v_mad_u64_u32 v[30:31], null, v39, v3, 0
	;; [unrolled: 1-line block ×3, first 2 shown]
	s_delay_alu instid0(VALU_DEP_3) | instskip(NEXT) | instid1(VALU_DEP_4)
	v_add_co_u32 v3, vcc_lo, v46, v28
	v_add_co_ci_u32_e32 v28, vcc_lo, 0, v29, vcc_lo
	s_delay_alu instid0(VALU_DEP_2) | instskip(NEXT) | instid1(VALU_DEP_2)
	v_add_co_u32 v3, vcc_lo, v3, v30
	v_add_co_ci_u32_e32 v3, vcc_lo, v28, v31, vcc_lo
	v_add_co_ci_u32_e32 v28, vcc_lo, 0, v33, vcc_lo
	s_delay_alu instid0(VALU_DEP_2) | instskip(NEXT) | instid1(VALU_DEP_2)
	v_add_co_u32 v3, vcc_lo, v3, v32
	v_add_co_ci_u32_e32 v30, vcc_lo, 0, v28, vcc_lo
	s_delay_alu instid0(VALU_DEP_2) | instskip(SKIP_1) | instid1(VALU_DEP_3)
	v_mul_lo_u32 v31, s23, v3
	v_mad_u64_u32 v[28:29], null, s22, v3, 0
	v_mul_lo_u32 v3, s22, v30
	s_delay_alu instid0(VALU_DEP_2) | instskip(NEXT) | instid1(VALU_DEP_2)
	v_sub_co_u32 v28, vcc_lo, v36, v28
	v_add3_u32 v3, v29, v3, v31
	s_delay_alu instid0(VALU_DEP_1) | instskip(NEXT) | instid1(VALU_DEP_1)
	v_sub_nc_u32_e32 v29, v39, v3
	v_subrev_co_ci_u32_e64 v29, s1, s23, v29, vcc_lo
	v_sub_co_ci_u32_e32 v3, vcc_lo, v39, v3, vcc_lo
	v_sub_co_u32 v30, vcc_lo, v28, s22
	s_delay_alu instid0(VALU_DEP_1) | instskip(SKIP_3) | instid1(VALU_DEP_3)
	v_subrev_co_ci_u32_e64 v31, s1, 0, v29, vcc_lo
	v_cmp_le_u32_e64 s1, s22, v28
	v_subrev_co_ci_u32_e32 v29, vcc_lo, s23, v29, vcc_lo
	v_cmp_le_u32_e32 vcc_lo, s23, v3
	v_cndmask_b32_e64 v32, 0, -1, s1
	v_cmp_le_u32_e64 s1, s22, v30
	v_cndmask_b32_e64 v37, 0, -1, vcc_lo
	v_cmp_eq_u32_e32 vcc_lo, s23, v31
	s_delay_alu instid0(VALU_DEP_3) | instskip(SKIP_1) | instid1(VALU_DEP_1)
	v_cndmask_b32_e64 v33, 0, -1, s1
	v_cmp_le_u32_e64 s1, s23, v31
	v_cndmask_b32_e64 v36, 0, -1, s1
	v_cmp_eq_u32_e64 s1, s23, v3
	s_delay_alu instid0(VALU_DEP_2) | instskip(SKIP_2) | instid1(VALU_DEP_3)
	v_cndmask_b32_e32 v33, v36, v33, vcc_lo
	v_sub_co_u32 v36, vcc_lo, v30, s22
	v_subrev_co_ci_u32_e32 v29, vcc_lo, 0, v29, vcc_lo
	v_cmp_ne_u32_e32 vcc_lo, 0, v33
	v_cndmask_b32_e64 v32, v37, v32, s1
	s_delay_alu instid0(VALU_DEP_3) | instskip(NEXT) | instid1(VALU_DEP_2)
	v_dual_cndmask_b32 v29, v31, v29 :: v_dual_cndmask_b32 v30, v30, v36
	v_cmp_ne_u32_e32 vcc_lo, 0, v32
	s_delay_alu instid0(VALU_DEP_2) | instskip(NEXT) | instid1(VALU_DEP_1)
	v_dual_cndmask_b32 v28, v28, v30 :: v_dual_cndmask_b32 v3, v3, v29
	v_xor_b32_e32 v28, v28, v38
	s_delay_alu instid0(VALU_DEP_2) | instskip(NEXT) | instid1(VALU_DEP_2)
	v_xor_b32_e32 v3, v3, v38
	v_sub_co_u32 v30, vcc_lo, v28, v38
	s_delay_alu instid0(VALU_DEP_2)
	v_sub_co_ci_u32_e32 v31, vcc_lo, v3, v38, vcc_lo
                                        ; implicit-def: $vgpr28_vgpr29
.LBB175_48:                             ;   in Loop: Header=BB175_33 Depth=2
	s_and_not1_saveexec_b32 s1, s35
	s_cbranch_execz .LBB175_31
; %bb.49:                               ;   in Loop: Header=BB175_33 Depth=2
	v_cvt_f32_u32_e32 v3, s8
	s_sub_i32 s19, 0, s8
	v_mov_b32_e32 v31, v2
	s_delay_alu instid0(VALU_DEP_2) | instskip(SKIP_2) | instid1(VALU_DEP_1)
	v_rcp_iflag_f32_e32 v3, v3
	s_waitcnt_depctr 0xfff
	v_mul_f32_e32 v3, 0x4f7ffffe, v3
	v_cvt_u32_f32_e32 v3, v3
	s_delay_alu instid0(VALU_DEP_1) | instskip(NEXT) | instid1(VALU_DEP_1)
	v_mul_lo_u32 v29, s19, v3
	v_mul_hi_u32 v29, v3, v29
	s_delay_alu instid0(VALU_DEP_1) | instskip(NEXT) | instid1(VALU_DEP_1)
	v_add_nc_u32_e32 v3, v3, v29
	v_mul_hi_u32 v3, v28, v3
	s_delay_alu instid0(VALU_DEP_1) | instskip(NEXT) | instid1(VALU_DEP_1)
	v_mul_lo_u32 v3, v3, s8
	v_sub_nc_u32_e32 v3, v28, v3
	s_delay_alu instid0(VALU_DEP_1) | instskip(SKIP_1) | instid1(VALU_DEP_2)
	v_subrev_nc_u32_e32 v28, s8, v3
	v_cmp_le_u32_e32 vcc_lo, s8, v3
	v_cndmask_b32_e32 v3, v3, v28, vcc_lo
	s_delay_alu instid0(VALU_DEP_1) | instskip(SKIP_1) | instid1(VALU_DEP_2)
	v_subrev_nc_u32_e32 v28, s8, v3
	v_cmp_le_u32_e32 vcc_lo, s8, v3
	v_cndmask_b32_e32 v30, v3, v28, vcc_lo
	s_branch .LBB175_31
.LBB175_50:                             ;   in Loop: Header=BB175_10 Depth=1
	s_add_u32 s20, s8, s18
	s_mov_b32 s19, s18
	s_addc_u32 s21, s9, s18
	s_delay_alu instid0(SALU_CYCLE_1) | instskip(NEXT) | instid1(SALU_CYCLE_1)
	s_xor_b64 s[20:21], s[20:21], s[18:19]
	v_cvt_f32_u32_e32 v3, s20
	v_cvt_f32_u32_e32 v20, s21
	s_sub_u32 s1, 0, s20
	s_subb_u32 s19, 0, s21
	s_delay_alu instid0(VALU_DEP_1) | instskip(NEXT) | instid1(VALU_DEP_1)
	v_fmac_f32_e32 v3, 0x4f800000, v20
	v_rcp_f32_e32 v3, v3
	s_waitcnt_depctr 0xfff
	v_mul_f32_e32 v3, 0x5f7ffffc, v3
	s_delay_alu instid0(VALU_DEP_1) | instskip(NEXT) | instid1(VALU_DEP_1)
	v_mul_f32_e32 v20, 0x2f800000, v3
	v_trunc_f32_e32 v20, v20
	s_delay_alu instid0(VALU_DEP_1) | instskip(SKIP_1) | instid1(VALU_DEP_2)
	v_fmac_f32_e32 v3, 0xcf800000, v20
	v_cvt_u32_f32_e32 v20, v20
	v_cvt_u32_f32_e32 v3, v3
	s_delay_alu instid0(VALU_DEP_2) | instskip(NEXT) | instid1(VALU_DEP_2)
	v_mul_lo_u32 v21, s1, v20
	v_mul_hi_u32 v22, s1, v3
	v_mul_lo_u32 v23, s19, v3
	s_delay_alu instid0(VALU_DEP_2) | instskip(SKIP_1) | instid1(VALU_DEP_2)
	v_add_nc_u32_e32 v21, v22, v21
	v_mul_lo_u32 v22, s1, v3
	v_add_nc_u32_e32 v21, v21, v23
	s_delay_alu instid0(VALU_DEP_2) | instskip(NEXT) | instid1(VALU_DEP_2)
	v_mul_hi_u32 v23, v3, v22
	v_mul_lo_u32 v24, v3, v21
	v_mul_hi_u32 v25, v3, v21
	v_mul_hi_u32 v26, v20, v22
	v_mul_lo_u32 v22, v20, v22
	v_mul_hi_u32 v27, v20, v21
	v_mul_lo_u32 v21, v20, v21
	v_add_co_u32 v23, vcc_lo, v23, v24
	v_add_co_ci_u32_e32 v24, vcc_lo, 0, v25, vcc_lo
	s_delay_alu instid0(VALU_DEP_2) | instskip(NEXT) | instid1(VALU_DEP_2)
	v_add_co_u32 v22, vcc_lo, v23, v22
	v_add_co_ci_u32_e32 v22, vcc_lo, v24, v26, vcc_lo
	v_add_co_ci_u32_e32 v23, vcc_lo, 0, v27, vcc_lo
	v_ashrrev_i32_e32 v26, 31, v5
	s_delay_alu instid0(VALU_DEP_3) | instskip(NEXT) | instid1(VALU_DEP_3)
	v_add_co_u32 v21, vcc_lo, v22, v21
	v_add_co_ci_u32_e32 v22, vcc_lo, 0, v23, vcc_lo
	s_delay_alu instid0(VALU_DEP_2) | instskip(NEXT) | instid1(VALU_DEP_2)
	v_add_co_u32 v3, vcc_lo, v3, v21
	v_add_co_ci_u32_e32 v20, vcc_lo, v20, v22, vcc_lo
	s_delay_alu instid0(VALU_DEP_2) | instskip(SKIP_1) | instid1(VALU_DEP_3)
	v_mul_hi_u32 v21, s1, v3
	v_mul_lo_u32 v23, s19, v3
	v_mul_lo_u32 v22, s1, v20
	s_delay_alu instid0(VALU_DEP_1) | instskip(SKIP_1) | instid1(VALU_DEP_2)
	v_add_nc_u32_e32 v21, v21, v22
	v_mul_lo_u32 v22, s1, v3
	v_add_nc_u32_e32 v21, v21, v23
	s_delay_alu instid0(VALU_DEP_2) | instskip(NEXT) | instid1(VALU_DEP_2)
	v_mul_hi_u32 v23, v3, v22
	v_mul_lo_u32 v24, v3, v21
	v_mul_hi_u32 v25, v3, v21
	v_mul_hi_u32 v27, v20, v22
	v_mul_lo_u32 v22, v20, v22
	v_mul_hi_u32 v28, v20, v21
	v_mul_lo_u32 v21, v20, v21
	v_add_co_u32 v23, vcc_lo, v23, v24
	v_add_co_ci_u32_e32 v24, vcc_lo, 0, v25, vcc_lo
	s_delay_alu instid0(VALU_DEP_2) | instskip(NEXT) | instid1(VALU_DEP_2)
	v_add_co_u32 v22, vcc_lo, v23, v22
	v_add_co_ci_u32_e32 v22, vcc_lo, v24, v27, vcc_lo
	v_add_co_ci_u32_e32 v23, vcc_lo, 0, v28, vcc_lo
	v_add_co_u32 v24, vcc_lo, v4, v26
	v_add_co_ci_u32_e32 v25, vcc_lo, v5, v26, vcc_lo
	s_delay_alu instid0(VALU_DEP_4) | instskip(NEXT) | instid1(VALU_DEP_4)
	v_add_co_u32 v21, vcc_lo, v22, v21
	v_add_co_ci_u32_e32 v22, vcc_lo, 0, v23, vcc_lo
	s_delay_alu instid0(VALU_DEP_4) | instskip(NEXT) | instid1(VALU_DEP_3)
	v_xor_b32_e32 v27, v24, v26
	v_add_co_u32 v3, vcc_lo, v3, v21
	s_delay_alu instid0(VALU_DEP_3) | instskip(SKIP_1) | instid1(VALU_DEP_3)
	v_add_co_ci_u32_e32 v28, vcc_lo, v20, v22, vcc_lo
	v_xor_b32_e32 v29, v25, v26
	v_mul_hi_u32 v30, v27, v3
	s_delay_alu instid0(VALU_DEP_3) | instskip(NEXT) | instid1(VALU_DEP_3)
	v_mad_u64_u32 v[20:21], null, v27, v28, 0
	v_mad_u64_u32 v[22:23], null, v29, v3, 0
	;; [unrolled: 1-line block ×3, first 2 shown]
	s_delay_alu instid0(VALU_DEP_3) | instskip(NEXT) | instid1(VALU_DEP_4)
	v_add_co_u32 v3, vcc_lo, v30, v20
	v_add_co_ci_u32_e32 v20, vcc_lo, 0, v21, vcc_lo
	s_delay_alu instid0(VALU_DEP_2) | instskip(NEXT) | instid1(VALU_DEP_2)
	v_add_co_u32 v3, vcc_lo, v3, v22
	v_add_co_ci_u32_e32 v3, vcc_lo, v20, v23, vcc_lo
	v_add_co_ci_u32_e32 v20, vcc_lo, 0, v25, vcc_lo
	s_delay_alu instid0(VALU_DEP_2) | instskip(NEXT) | instid1(VALU_DEP_2)
	v_add_co_u32 v3, vcc_lo, v3, v24
	v_add_co_ci_u32_e32 v22, vcc_lo, 0, v20, vcc_lo
	s_delay_alu instid0(VALU_DEP_2) | instskip(SKIP_1) | instid1(VALU_DEP_3)
	v_mul_lo_u32 v23, s21, v3
	v_mad_u64_u32 v[20:21], null, s20, v3, 0
	v_mul_lo_u32 v24, s20, v22
	s_delay_alu instid0(VALU_DEP_2) | instskip(NEXT) | instid1(VALU_DEP_2)
	v_sub_co_u32 v20, vcc_lo, v27, v20
	v_add3_u32 v21, v21, v24, v23
	s_delay_alu instid0(VALU_DEP_1) | instskip(NEXT) | instid1(VALU_DEP_1)
	v_sub_nc_u32_e32 v23, v29, v21
	v_subrev_co_ci_u32_e64 v23, s1, s21, v23, vcc_lo
	v_add_co_u32 v24, s1, v3, 2
	s_delay_alu instid0(VALU_DEP_1) | instskip(SKIP_3) | instid1(VALU_DEP_3)
	v_add_co_ci_u32_e64 v25, s1, 0, v22, s1
	v_sub_co_u32 v27, s1, v20, s20
	v_sub_co_ci_u32_e32 v21, vcc_lo, v29, v21, vcc_lo
	v_subrev_co_ci_u32_e64 v23, s1, 0, v23, s1
	v_cmp_le_u32_e32 vcc_lo, s20, v27
	s_delay_alu instid0(VALU_DEP_3) | instskip(SKIP_1) | instid1(VALU_DEP_4)
	v_cmp_eq_u32_e64 s1, s21, v21
	v_cndmask_b32_e64 v27, 0, -1, vcc_lo
	v_cmp_le_u32_e32 vcc_lo, s21, v23
	v_cndmask_b32_e64 v28, 0, -1, vcc_lo
	v_cmp_le_u32_e32 vcc_lo, s20, v20
	;; [unrolled: 2-line block ×3, first 2 shown]
	v_cndmask_b32_e64 v29, 0, -1, vcc_lo
	v_cmp_eq_u32_e32 vcc_lo, s21, v23
	s_delay_alu instid0(VALU_DEP_2) | instskip(SKIP_3) | instid1(VALU_DEP_3)
	v_cndmask_b32_e64 v20, v29, v20, s1
	v_cndmask_b32_e32 v23, v28, v27, vcc_lo
	v_add_co_u32 v27, vcc_lo, v3, 1
	v_add_co_ci_u32_e32 v28, vcc_lo, 0, v22, vcc_lo
	v_cmp_ne_u32_e32 vcc_lo, 0, v23
	s_delay_alu instid0(VALU_DEP_2) | instskip(NEXT) | instid1(VALU_DEP_4)
	v_cndmask_b32_e32 v21, v28, v25, vcc_lo
	v_cndmask_b32_e32 v23, v27, v24, vcc_lo
	v_cmp_ne_u32_e32 vcc_lo, 0, v20
	v_xor_b32_e32 v24, s18, v26
	s_delay_alu instid0(VALU_DEP_3) | instskip(NEXT) | instid1(VALU_DEP_1)
	v_dual_cndmask_b32 v3, v3, v23 :: v_dual_cndmask_b32 v20, v22, v21
	v_xor_b32_e32 v3, v3, v24
	s_delay_alu instid0(VALU_DEP_2) | instskip(NEXT) | instid1(VALU_DEP_2)
	v_xor_b32_e32 v21, v20, v24
	v_sub_co_u32 v20, vcc_lo, v3, v24
	s_delay_alu instid0(VALU_DEP_2)
	v_sub_co_ci_u32_e32 v21, vcc_lo, v21, v24, vcc_lo
	s_and_not1_saveexec_b32 s1, s23
	s_cbranch_execz .LBB175_26
.LBB175_51:                             ;   in Loop: Header=BB175_10 Depth=1
	v_cvt_f32_u32_e32 v3, s8
	s_sub_i32 s19, 0, s8
	s_delay_alu instid0(VALU_DEP_1) | instskip(SKIP_2) | instid1(VALU_DEP_1)
	v_rcp_iflag_f32_e32 v3, v3
	s_waitcnt_depctr 0xfff
	v_mul_f32_e32 v3, 0x4f7ffffe, v3
	v_cvt_u32_f32_e32 v3, v3
	s_delay_alu instid0(VALU_DEP_1) | instskip(NEXT) | instid1(VALU_DEP_1)
	v_mul_lo_u32 v20, s19, v3
	v_mul_hi_u32 v20, v3, v20
	s_delay_alu instid0(VALU_DEP_1) | instskip(NEXT) | instid1(VALU_DEP_1)
	v_add_nc_u32_e32 v3, v3, v20
	v_mul_hi_u32 v3, v4, v3
	s_delay_alu instid0(VALU_DEP_1) | instskip(SKIP_1) | instid1(VALU_DEP_2)
	v_mul_lo_u32 v20, v3, s8
	v_add_nc_u32_e32 v21, 1, v3
	v_sub_nc_u32_e32 v20, v4, v20
	s_delay_alu instid0(VALU_DEP_1) | instskip(SKIP_1) | instid1(VALU_DEP_2)
	v_subrev_nc_u32_e32 v22, s8, v20
	v_cmp_le_u32_e32 vcc_lo, s8, v20
	v_dual_cndmask_b32 v20, v20, v22 :: v_dual_cndmask_b32 v3, v3, v21
	s_delay_alu instid0(VALU_DEP_1) | instskip(NEXT) | instid1(VALU_DEP_2)
	v_cmp_le_u32_e32 vcc_lo, s8, v20
	v_add_nc_u32_e32 v21, 1, v3
	s_delay_alu instid0(VALU_DEP_1) | instskip(SKIP_1) | instid1(SALU_CYCLE_1)
	v_dual_cndmask_b32 v20, v3, v21 :: v_dual_mov_b32 v21, v2
	s_or_b32 exec_lo, exec_lo, s1
	s_mov_b32 s1, exec_lo
	s_delay_alu instid0(VALU_DEP_1)
	v_cmpx_ge_i64_e64 v[20:21], v[18:19]
	s_cbranch_execnz .LBB175_27
	s_branch .LBB175_28
.LBB175_52:
	s_nop 0
	s_sendmsg sendmsg(MSG_DEALLOC_VGPRS)
	s_endpgm
	.section	.rodata,"a",@progbits
	.p2align	6, 0x0
	.amdhsa_kernel _ZN9rocsparseL21csr2bsr_65_inf_kernelILj32E21rocsparse_complex_numIdEllEEv20rocsparse_direction_T2_S4_S4_S4_S4_S4_21rocsparse_index_base_PKT0_PKT1_PKS4_S5_PS6_PS9_PS4_SF_SG_SE_
		.amdhsa_group_segment_fixed_size 0
		.amdhsa_private_segment_fixed_size 0
		.amdhsa_kernarg_size 144
		.amdhsa_user_sgpr_count 15
		.amdhsa_user_sgpr_dispatch_ptr 0
		.amdhsa_user_sgpr_queue_ptr 0
		.amdhsa_user_sgpr_kernarg_segment_ptr 1
		.amdhsa_user_sgpr_dispatch_id 0
		.amdhsa_user_sgpr_private_segment_size 0
		.amdhsa_wavefront_size32 1
		.amdhsa_uses_dynamic_stack 0
		.amdhsa_enable_private_segment 0
		.amdhsa_system_sgpr_workgroup_id_x 1
		.amdhsa_system_sgpr_workgroup_id_y 0
		.amdhsa_system_sgpr_workgroup_id_z 0
		.amdhsa_system_sgpr_workgroup_info 0
		.amdhsa_system_vgpr_workitem_id 0
		.amdhsa_next_free_vgpr 52
		.amdhsa_next_free_sgpr 37
		.amdhsa_reserve_vcc 1
		.amdhsa_float_round_mode_32 0
		.amdhsa_float_round_mode_16_64 0
		.amdhsa_float_denorm_mode_32 3
		.amdhsa_float_denorm_mode_16_64 3
		.amdhsa_dx10_clamp 1
		.amdhsa_ieee_mode 1
		.amdhsa_fp16_overflow 0
		.amdhsa_workgroup_processor_mode 1
		.amdhsa_memory_ordered 1
		.amdhsa_forward_progress 0
		.amdhsa_shared_vgpr_count 0
		.amdhsa_exception_fp_ieee_invalid_op 0
		.amdhsa_exception_fp_denorm_src 0
		.amdhsa_exception_fp_ieee_div_zero 0
		.amdhsa_exception_fp_ieee_overflow 0
		.amdhsa_exception_fp_ieee_underflow 0
		.amdhsa_exception_fp_ieee_inexact 0
		.amdhsa_exception_int_div_zero 0
	.end_amdhsa_kernel
	.section	.text._ZN9rocsparseL21csr2bsr_65_inf_kernelILj32E21rocsparse_complex_numIdEllEEv20rocsparse_direction_T2_S4_S4_S4_S4_S4_21rocsparse_index_base_PKT0_PKT1_PKS4_S5_PS6_PS9_PS4_SF_SG_SE_,"axG",@progbits,_ZN9rocsparseL21csr2bsr_65_inf_kernelILj32E21rocsparse_complex_numIdEllEEv20rocsparse_direction_T2_S4_S4_S4_S4_S4_21rocsparse_index_base_PKT0_PKT1_PKS4_S5_PS6_PS9_PS4_SF_SG_SE_,comdat
.Lfunc_end175:
	.size	_ZN9rocsparseL21csr2bsr_65_inf_kernelILj32E21rocsparse_complex_numIdEllEEv20rocsparse_direction_T2_S4_S4_S4_S4_S4_21rocsparse_index_base_PKT0_PKT1_PKS4_S5_PS6_PS9_PS4_SF_SG_SE_, .Lfunc_end175-_ZN9rocsparseL21csr2bsr_65_inf_kernelILj32E21rocsparse_complex_numIdEllEEv20rocsparse_direction_T2_S4_S4_S4_S4_S4_21rocsparse_index_base_PKT0_PKT1_PKS4_S5_PS6_PS9_PS4_SF_SG_SE_
                                        ; -- End function
	.section	.AMDGPU.csdata,"",@progbits
; Kernel info:
; codeLenInByte = 6352
; NumSgprs: 39
; NumVgprs: 52
; ScratchSize: 0
; MemoryBound: 0
; FloatMode: 240
; IeeeMode: 1
; LDSByteSize: 0 bytes/workgroup (compile time only)
; SGPRBlocks: 4
; VGPRBlocks: 6
; NumSGPRsForWavesPerEU: 39
; NumVGPRsForWavesPerEU: 52
; Occupancy: 16
; WaveLimiterHint : 1
; COMPUTE_PGM_RSRC2:SCRATCH_EN: 0
; COMPUTE_PGM_RSRC2:USER_SGPR: 15
; COMPUTE_PGM_RSRC2:TRAP_HANDLER: 0
; COMPUTE_PGM_RSRC2:TGID_X_EN: 1
; COMPUTE_PGM_RSRC2:TGID_Y_EN: 0
; COMPUTE_PGM_RSRC2:TGID_Z_EN: 0
; COMPUTE_PGM_RSRC2:TIDIG_COMP_CNT: 0
	.text
	.p2alignl 7, 3214868480
	.fill 96, 4, 3214868480
	.type	__hip_cuid_76717ee925c4edbc,@object ; @__hip_cuid_76717ee925c4edbc
	.section	.bss,"aw",@nobits
	.globl	__hip_cuid_76717ee925c4edbc
__hip_cuid_76717ee925c4edbc:
	.byte	0                               ; 0x0
	.size	__hip_cuid_76717ee925c4edbc, 1

	.ident	"AMD clang version 19.0.0git (https://github.com/RadeonOpenCompute/llvm-project roc-6.4.0 25133 c7fe45cf4b819c5991fe208aaa96edf142730f1d)"
	.section	".note.GNU-stack","",@progbits
	.addrsig
	.addrsig_sym __hip_cuid_76717ee925c4edbc
	.amdgpu_metadata
---
amdhsa.kernels:
  - .args:
      - .offset:         0
        .size:           4
        .value_kind:     by_value
      - .offset:         4
        .size:           4
        .value_kind:     by_value
      - .offset:         8
        .size:           4
        .value_kind:     by_value
      - .offset:         12
        .size:           4
        .value_kind:     by_value
      - .offset:         16
        .size:           4
        .value_kind:     by_value
      - .address_space:  global
        .offset:         24
        .size:           8
        .value_kind:     global_buffer
      - .address_space:  global
        .offset:         32
        .size:           8
        .value_kind:     global_buffer
      - .address_space:  global
        .offset:         40
        .size:           8
        .value_kind:     global_buffer
      - .offset:         48
        .size:           4
        .value_kind:     by_value
      - .address_space:  global
        .offset:         56
        .size:           8
        .value_kind:     global_buffer
      - .address_space:  global
        .offset:         64
        .size:           8
        .value_kind:     global_buffer
      - .address_space:  global
        .offset:         72
        .size:           8
        .value_kind:     global_buffer
      - .offset:         80
        .size:           4
        .value_kind:     hidden_block_count_x
      - .offset:         84
        .size:           4
        .value_kind:     hidden_block_count_y
      - .offset:         88
        .size:           4
        .value_kind:     hidden_block_count_z
      - .offset:         92
        .size:           2
        .value_kind:     hidden_group_size_x
      - .offset:         94
        .size:           2
        .value_kind:     hidden_group_size_y
      - .offset:         96
        .size:           2
        .value_kind:     hidden_group_size_z
      - .offset:         98
        .size:           2
        .value_kind:     hidden_remainder_x
      - .offset:         100
        .size:           2
        .value_kind:     hidden_remainder_y
      - .offset:         102
        .size:           2
        .value_kind:     hidden_remainder_z
      - .offset:         120
        .size:           8
        .value_kind:     hidden_global_offset_x
      - .offset:         128
        .size:           8
        .value_kind:     hidden_global_offset_y
      - .offset:         136
        .size:           8
        .value_kind:     hidden_global_offset_z
      - .offset:         144
        .size:           2
        .value_kind:     hidden_grid_dims
    .group_segment_fixed_size: 0
    .kernarg_segment_align: 8
    .kernarg_segment_size: 336
    .language:       OpenCL C
    .language_version:
      - 2
      - 0
    .max_flat_workgroup_size: 256
    .name:           _ZN9rocsparseL35csr2bsr_block_dim_equals_one_kernelILj256EiiiEEvT2_S1_S1_S1_21rocsparse_index_base_PKT0_PKT1_PKS1_S2_PS3_PS6_PS1_
    .private_segment_fixed_size: 0
    .sgpr_count:     18
    .sgpr_spill_count: 0
    .symbol:         _ZN9rocsparseL35csr2bsr_block_dim_equals_one_kernelILj256EiiiEEvT2_S1_S1_S1_21rocsparse_index_base_PKT0_PKT1_PKS1_S2_PS3_PS6_PS1_.kd
    .uniform_work_group_size: 1
    .uses_dynamic_stack: false
    .vgpr_count:     8
    .vgpr_spill_count: 0
    .wavefront_size: 32
    .workgroup_processor_mode: 1
  - .args:
      - .offset:         0
        .size:           4
        .value_kind:     by_value
      - .offset:         4
        .size:           4
        .value_kind:     by_value
      - .offset:         8
        .size:           4
        .value_kind:     by_value
      - .offset:         12
        .size:           4
        .value_kind:     by_value
      - .offset:         16
        .size:           4
        .value_kind:     by_value
      - .offset:         20
        .size:           4
        .value_kind:     by_value
      - .offset:         24
        .size:           4
        .value_kind:     by_value
      - .actual_access:  read_only
        .address_space:  global
        .offset:         32
        .size:           8
        .value_kind:     global_buffer
      - .actual_access:  read_only
        .address_space:  global
        .offset:         40
        .size:           8
        .value_kind:     global_buffer
      - .actual_access:  read_only
        .address_space:  global
        .offset:         48
        .size:           8
        .value_kind:     global_buffer
      - .offset:         56
        .size:           4
        .value_kind:     by_value
      - .actual_access:  write_only
        .address_space:  global
        .offset:         64
        .size:           8
        .value_kind:     global_buffer
      - .actual_access:  read_only
        .address_space:  global
        .offset:         72
        .size:           8
        .value_kind:     global_buffer
      - .actual_access:  write_only
        .address_space:  global
        .offset:         80
        .size:           8
        .value_kind:     global_buffer
    .group_segment_fixed_size: 1040
    .kernarg_segment_align: 8
    .kernarg_segment_size: 88
    .language:       OpenCL C
    .language_version:
      - 2
      - 0
    .max_flat_workgroup_size: 256
    .name:           _ZN9rocsparseL42csr2bsr_wavefront_per_row_multipass_kernelILj256ELj16ELj4EiiiEEv20rocsparse_direction_T4_S2_S2_S2_S2_21rocsparse_index_base_PKT2_PKT3_PKS2_S3_PS4_PS7_PS2_
    .private_segment_fixed_size: 0
    .sgpr_count:     22
    .sgpr_spill_count: 0
    .symbol:         _ZN9rocsparseL42csr2bsr_wavefront_per_row_multipass_kernelILj256ELj16ELj4EiiiEEv20rocsparse_direction_T4_S2_S2_S2_S2_21rocsparse_index_base_PKT2_PKT3_PKS2_S3_PS4_PS7_PS2_.kd
    .uniform_work_group_size: 1
    .uses_dynamic_stack: false
    .vgpr_count:     29
    .vgpr_spill_count: 0
    .wavefront_size: 32
    .workgroup_processor_mode: 1
  - .args:
      - .offset:         0
        .size:           4
        .value_kind:     by_value
      - .offset:         4
        .size:           4
        .value_kind:     by_value
      - .offset:         8
        .size:           4
        .value_kind:     by_value
      - .offset:         12
        .size:           4
        .value_kind:     by_value
      - .offset:         16
        .size:           4
        .value_kind:     by_value
      - .offset:         20
        .size:           4
        .value_kind:     by_value
      - .offset:         24
        .size:           4
        .value_kind:     by_value
      - .actual_access:  read_only
        .address_space:  global
        .offset:         32
        .size:           8
        .value_kind:     global_buffer
      - .actual_access:  read_only
        .address_space:  global
        .offset:         40
        .size:           8
        .value_kind:     global_buffer
      - .actual_access:  read_only
        .address_space:  global
        .offset:         48
        .size:           8
        .value_kind:     global_buffer
      - .offset:         56
        .size:           4
        .value_kind:     by_value
      - .actual_access:  write_only
        .address_space:  global
        .offset:         64
        .size:           8
        .value_kind:     global_buffer
      - .actual_access:  read_only
        .address_space:  global
        .offset:         72
        .size:           8
        .value_kind:     global_buffer
      - .actual_access:  write_only
        .address_space:  global
        .offset:         80
        .size:           8
        .value_kind:     global_buffer
    .group_segment_fixed_size: 1028
    .kernarg_segment_align: 8
    .kernarg_segment_size: 88
    .language:       OpenCL C
    .language_version:
      - 2
      - 0
    .max_flat_workgroup_size: 256
    .name:           _ZN9rocsparseL42csr2bsr_wavefront_per_row_multipass_kernelILj256ELj64ELj8EiiiEEv20rocsparse_direction_T4_S2_S2_S2_S2_21rocsparse_index_base_PKT2_PKT3_PKS2_S3_PS4_PS7_PS2_
    .private_segment_fixed_size: 0
    .sgpr_count:     22
    .sgpr_spill_count: 0
    .symbol:         _ZN9rocsparseL42csr2bsr_wavefront_per_row_multipass_kernelILj256ELj64ELj8EiiiEEv20rocsparse_direction_T4_S2_S2_S2_S2_21rocsparse_index_base_PKT2_PKT3_PKS2_S3_PS4_PS7_PS2_.kd
    .uniform_work_group_size: 1
    .uses_dynamic_stack: false
    .vgpr_count:     31
    .vgpr_spill_count: 0
    .wavefront_size: 32
    .workgroup_processor_mode: 1
  - .args:
      - .offset:         0
        .size:           4
        .value_kind:     by_value
      - .offset:         4
        .size:           4
        .value_kind:     by_value
      - .offset:         8
        .size:           4
        .value_kind:     by_value
      - .offset:         12
        .size:           4
        .value_kind:     by_value
      - .offset:         16
        .size:           4
        .value_kind:     by_value
      - .offset:         20
        .size:           4
        .value_kind:     by_value
      - .offset:         24
        .size:           4
        .value_kind:     by_value
      - .actual_access:  read_only
        .address_space:  global
        .offset:         32
        .size:           8
        .value_kind:     global_buffer
      - .actual_access:  read_only
        .address_space:  global
        .offset:         40
        .size:           8
        .value_kind:     global_buffer
      - .actual_access:  read_only
        .address_space:  global
        .offset:         48
        .size:           8
        .value_kind:     global_buffer
      - .offset:         56
        .size:           4
        .value_kind:     by_value
      - .actual_access:  write_only
        .address_space:  global
        .offset:         64
        .size:           8
        .value_kind:     global_buffer
      - .actual_access:  read_only
        .address_space:  global
        .offset:         72
        .size:           8
        .value_kind:     global_buffer
      - .actual_access:  write_only
        .address_space:  global
        .offset:         80
        .size:           8
        .value_kind:     global_buffer
    .group_segment_fixed_size: 2056
    .kernarg_segment_align: 8
    .kernarg_segment_size: 88
    .language:       OpenCL C
    .language_version:
      - 2
      - 0
    .max_flat_workgroup_size: 256
    .name:           _ZN9rocsparseL42csr2bsr_wavefront_per_row_multipass_kernelILj256ELj32ELj8EiiiEEv20rocsparse_direction_T4_S2_S2_S2_S2_21rocsparse_index_base_PKT2_PKT3_PKS2_S3_PS4_PS7_PS2_
    .private_segment_fixed_size: 0
    .sgpr_count:     24
    .sgpr_spill_count: 0
    .symbol:         _ZN9rocsparseL42csr2bsr_wavefront_per_row_multipass_kernelILj256ELj32ELj8EiiiEEv20rocsparse_direction_T4_S2_S2_S2_S2_21rocsparse_index_base_PKT2_PKT3_PKS2_S3_PS4_PS7_PS2_.kd
    .uniform_work_group_size: 1
    .uses_dynamic_stack: false
    .vgpr_count:     37
    .vgpr_spill_count: 0
    .wavefront_size: 32
    .workgroup_processor_mode: 1
  - .args:
      - .offset:         0
        .size:           4
        .value_kind:     by_value
      - .offset:         4
        .size:           4
        .value_kind:     by_value
      - .offset:         8
        .size:           4
        .value_kind:     by_value
      - .offset:         12
        .size:           4
        .value_kind:     by_value
      - .offset:         16
        .size:           4
        .value_kind:     by_value
      - .offset:         20
        .size:           4
        .value_kind:     by_value
      - .offset:         24
        .size:           4
        .value_kind:     by_value
      - .actual_access:  read_only
        .address_space:  global
        .offset:         32
        .size:           8
        .value_kind:     global_buffer
      - .actual_access:  read_only
        .address_space:  global
        .offset:         40
        .size:           8
        .value_kind:     global_buffer
      - .actual_access:  read_only
        .address_space:  global
        .offset:         48
        .size:           8
        .value_kind:     global_buffer
      - .offset:         56
        .size:           4
        .value_kind:     by_value
      - .actual_access:  write_only
        .address_space:  global
        .offset:         64
        .size:           8
        .value_kind:     global_buffer
      - .actual_access:  read_only
        .address_space:  global
        .offset:         72
        .size:           8
        .value_kind:     global_buffer
      - .actual_access:  write_only
        .address_space:  global
        .offset:         80
        .size:           8
        .value_kind:     global_buffer
    .group_segment_fixed_size: 4100
    .kernarg_segment_align: 8
    .kernarg_segment_size: 88
    .language:       OpenCL C
    .language_version:
      - 2
      - 0
    .max_flat_workgroup_size: 256
    .name:           _ZN9rocsparseL42csr2bsr_wavefront_per_row_multipass_kernelILj256ELj64ELj16EiiiEEv20rocsparse_direction_T4_S2_S2_S2_S2_21rocsparse_index_base_PKT2_PKT3_PKS2_S3_PS4_PS7_PS2_
    .private_segment_fixed_size: 0
    .sgpr_count:     26
    .sgpr_spill_count: 0
    .symbol:         _ZN9rocsparseL42csr2bsr_wavefront_per_row_multipass_kernelILj256ELj64ELj16EiiiEEv20rocsparse_direction_T4_S2_S2_S2_S2_21rocsparse_index_base_PKT2_PKT3_PKS2_S3_PS4_PS7_PS2_.kd
    .uniform_work_group_size: 1
    .uses_dynamic_stack: false
    .vgpr_count:     42
    .vgpr_spill_count: 0
    .wavefront_size: 32
    .workgroup_processor_mode: 1
  - .args:
      - .offset:         0
        .size:           4
        .value_kind:     by_value
      - .offset:         4
        .size:           4
        .value_kind:     by_value
      - .offset:         8
        .size:           4
        .value_kind:     by_value
      - .offset:         12
        .size:           4
        .value_kind:     by_value
      - .offset:         16
        .size:           4
        .value_kind:     by_value
      - .offset:         20
        .size:           4
        .value_kind:     by_value
      - .offset:         24
        .size:           4
        .value_kind:     by_value
      - .actual_access:  read_only
        .address_space:  global
        .offset:         32
        .size:           8
        .value_kind:     global_buffer
      - .actual_access:  read_only
        .address_space:  global
        .offset:         40
        .size:           8
        .value_kind:     global_buffer
      - .actual_access:  read_only
        .address_space:  global
        .offset:         48
        .size:           8
        .value_kind:     global_buffer
      - .offset:         56
        .size:           4
        .value_kind:     by_value
      - .actual_access:  write_only
        .address_space:  global
        .offset:         64
        .size:           8
        .value_kind:     global_buffer
      - .actual_access:  read_only
        .address_space:  global
        .offset:         72
        .size:           8
        .value_kind:     global_buffer
      - .actual_access:  write_only
        .address_space:  global
        .offset:         80
        .size:           8
        .value_kind:     global_buffer
    .group_segment_fixed_size: 8200
    .kernarg_segment_align: 8
    .kernarg_segment_size: 88
    .language:       OpenCL C
    .language_version:
      - 2
      - 0
    .max_flat_workgroup_size: 256
    .name:           _ZN9rocsparseL42csr2bsr_wavefront_per_row_multipass_kernelILj256ELj32ELj16EiiiEEv20rocsparse_direction_T4_S2_S2_S2_S2_21rocsparse_index_base_PKT2_PKT3_PKS2_S3_PS4_PS7_PS2_
    .private_segment_fixed_size: 0
    .sgpr_count:     30
    .sgpr_spill_count: 0
    .symbol:         _ZN9rocsparseL42csr2bsr_wavefront_per_row_multipass_kernelILj256ELj32ELj16EiiiEEv20rocsparse_direction_T4_S2_S2_S2_S2_21rocsparse_index_base_PKT2_PKT3_PKS2_S3_PS4_PS7_PS2_.kd
    .uniform_work_group_size: 1
    .uses_dynamic_stack: false
    .vgpr_count:     48
    .vgpr_spill_count: 0
    .wavefront_size: 32
    .workgroup_processor_mode: 1
  - .args:
      - .offset:         0
        .size:           4
        .value_kind:     by_value
      - .offset:         4
        .size:           4
        .value_kind:     by_value
      - .offset:         8
        .size:           4
        .value_kind:     by_value
      - .offset:         12
        .size:           4
        .value_kind:     by_value
      - .offset:         16
        .size:           4
        .value_kind:     by_value
      - .offset:         20
        .size:           4
        .value_kind:     by_value
      - .offset:         24
        .size:           4
        .value_kind:     by_value
      - .actual_access:  read_only
        .address_space:  global
        .offset:         32
        .size:           8
        .value_kind:     global_buffer
      - .actual_access:  read_only
        .address_space:  global
        .offset:         40
        .size:           8
        .value_kind:     global_buffer
      - .actual_access:  read_only
        .address_space:  global
        .offset:         48
        .size:           8
        .value_kind:     global_buffer
      - .offset:         56
        .size:           4
        .value_kind:     by_value
      - .actual_access:  write_only
        .address_space:  global
        .offset:         64
        .size:           8
        .value_kind:     global_buffer
      - .actual_access:  read_only
        .address_space:  global
        .offset:         72
        .size:           8
        .value_kind:     global_buffer
      - .actual_access:  write_only
        .address_space:  global
        .offset:         80
        .size:           8
        .value_kind:     global_buffer
    .group_segment_fixed_size: 4100
    .kernarg_segment_align: 8
    .kernarg_segment_size: 88
    .language:       OpenCL C
    .language_version:
      - 2
      - 0
    .max_flat_workgroup_size: 256
    .name:           _ZN9rocsparseL38csr2bsr_block_per_row_multipass_kernelILj256ELj32EiiiEEv20rocsparse_direction_T3_S2_S2_S2_S2_21rocsparse_index_base_PKT1_PKT2_PKS2_S3_PS4_PS7_PS2_
    .private_segment_fixed_size: 0
    .sgpr_count:     40
    .sgpr_spill_count: 0
    .symbol:         _ZN9rocsparseL38csr2bsr_block_per_row_multipass_kernelILj256ELj32EiiiEEv20rocsparse_direction_T3_S2_S2_S2_S2_21rocsparse_index_base_PKT1_PKT2_PKS2_S3_PS4_PS7_PS2_.kd
    .uniform_work_group_size: 1
    .uses_dynamic_stack: false
    .vgpr_count:     36
    .vgpr_spill_count: 0
    .wavefront_size: 32
    .workgroup_processor_mode: 1
  - .args:
      - .offset:         0
        .size:           4
        .value_kind:     by_value
      - .offset:         4
        .size:           4
        .value_kind:     by_value
      - .offset:         8
        .size:           4
        .value_kind:     by_value
      - .offset:         12
        .size:           4
        .value_kind:     by_value
      - .offset:         16
        .size:           4
        .value_kind:     by_value
      - .offset:         20
        .size:           4
        .value_kind:     by_value
      - .offset:         24
        .size:           4
        .value_kind:     by_value
      - .actual_access:  read_only
        .address_space:  global
        .offset:         32
        .size:           8
        .value_kind:     global_buffer
      - .actual_access:  read_only
        .address_space:  global
        .offset:         40
        .size:           8
        .value_kind:     global_buffer
      - .actual_access:  read_only
        .address_space:  global
        .offset:         48
        .size:           8
        .value_kind:     global_buffer
      - .offset:         56
        .size:           4
        .value_kind:     by_value
      - .actual_access:  write_only
        .address_space:  global
        .offset:         64
        .size:           8
        .value_kind:     global_buffer
      - .actual_access:  read_only
        .address_space:  global
        .offset:         72
        .size:           8
        .value_kind:     global_buffer
      - .actual_access:  write_only
        .address_space:  global
        .offset:         80
        .size:           8
        .value_kind:     global_buffer
    .group_segment_fixed_size: 16388
    .kernarg_segment_align: 8
    .kernarg_segment_size: 88
    .language:       OpenCL C
    .language_version:
      - 2
      - 0
    .max_flat_workgroup_size: 256
    .name:           _ZN9rocsparseL38csr2bsr_block_per_row_multipass_kernelILj256ELj64EiiiEEv20rocsparse_direction_T3_S2_S2_S2_S2_21rocsparse_index_base_PKT1_PKT2_PKS2_S3_PS4_PS7_PS2_
    .private_segment_fixed_size: 0
    .sgpr_count:     50
    .sgpr_spill_count: 0
    .symbol:         _ZN9rocsparseL38csr2bsr_block_per_row_multipass_kernelILj256ELj64EiiiEEv20rocsparse_direction_T3_S2_S2_S2_S2_21rocsparse_index_base_PKT1_PKT2_PKS2_S3_PS4_PS7_PS2_.kd
    .uniform_work_group_size: 1
    .uses_dynamic_stack: false
    .vgpr_count:     59
    .vgpr_spill_count: 0
    .wavefront_size: 32
    .workgroup_processor_mode: 1
  - .args:
      - .offset:         0
        .size:           4
        .value_kind:     by_value
      - .offset:         4
        .size:           4
        .value_kind:     by_value
      - .offset:         8
        .size:           4
        .value_kind:     by_value
      - .offset:         12
        .size:           4
        .value_kind:     by_value
      - .offset:         16
        .size:           4
        .value_kind:     by_value
      - .offset:         20
        .size:           4
        .value_kind:     by_value
      - .offset:         24
        .size:           4
        .value_kind:     by_value
      - .offset:         28
        .size:           4
        .value_kind:     by_value
      - .actual_access:  read_only
        .address_space:  global
        .offset:         32
        .size:           8
        .value_kind:     global_buffer
      - .actual_access:  read_only
        .address_space:  global
        .offset:         40
        .size:           8
        .value_kind:     global_buffer
      - .actual_access:  read_only
        .address_space:  global
        .offset:         48
        .size:           8
        .value_kind:     global_buffer
      - .offset:         56
        .size:           4
        .value_kind:     by_value
      - .actual_access:  write_only
        .address_space:  global
        .offset:         64
        .size:           8
        .value_kind:     global_buffer
      - .actual_access:  read_only
        .address_space:  global
        .offset:         72
        .size:           8
        .value_kind:     global_buffer
      - .actual_access:  write_only
        .address_space:  global
        .offset:         80
        .size:           8
        .value_kind:     global_buffer
      - .address_space:  global
        .offset:         88
        .size:           8
        .value_kind:     global_buffer
      - .address_space:  global
        .offset:         96
        .size:           8
        .value_kind:     global_buffer
      - .address_space:  global
        .offset:         104
        .size:           8
        .value_kind:     global_buffer
    .group_segment_fixed_size: 0
    .kernarg_segment_align: 8
    .kernarg_segment_size: 112
    .language:       OpenCL C
    .language_version:
      - 2
      - 0
    .max_flat_workgroup_size: 32
    .name:           _ZN9rocsparseL21csr2bsr_65_inf_kernelILj32EiiiEEv20rocsparse_direction_T2_S2_S2_S2_S2_S2_21rocsparse_index_base_PKT0_PKT1_PKS2_S3_PS4_PS7_PS2_SD_SE_SC_
    .private_segment_fixed_size: 0
    .sgpr_count:     36
    .sgpr_spill_count: 0
    .symbol:         _ZN9rocsparseL21csr2bsr_65_inf_kernelILj32EiiiEEv20rocsparse_direction_T2_S2_S2_S2_S2_S2_21rocsparse_index_base_PKT0_PKT1_PKS2_S3_PS4_PS7_PS2_SD_SE_SC_.kd
    .uniform_work_group_size: 1
    .uses_dynamic_stack: false
    .vgpr_count:     39
    .vgpr_spill_count: 0
    .wavefront_size: 32
    .workgroup_processor_mode: 1
  - .args:
      - .offset:         0
        .size:           4
        .value_kind:     by_value
      - .offset:         4
        .size:           4
        .value_kind:     by_value
      - .offset:         8
        .size:           4
        .value_kind:     by_value
      - .offset:         12
        .size:           4
        .value_kind:     by_value
      - .offset:         16
        .size:           4
        .value_kind:     by_value
      - .address_space:  global
        .offset:         24
        .size:           8
        .value_kind:     global_buffer
      - .address_space:  global
        .offset:         32
        .size:           8
        .value_kind:     global_buffer
      - .address_space:  global
        .offset:         40
        .size:           8
        .value_kind:     global_buffer
      - .offset:         48
        .size:           4
        .value_kind:     by_value
      - .address_space:  global
        .offset:         56
        .size:           8
        .value_kind:     global_buffer
      - .address_space:  global
        .offset:         64
        .size:           8
        .value_kind:     global_buffer
      - .address_space:  global
        .offset:         72
        .size:           8
        .value_kind:     global_buffer
      - .offset:         80
        .size:           4
        .value_kind:     hidden_block_count_x
      - .offset:         84
        .size:           4
        .value_kind:     hidden_block_count_y
      - .offset:         88
        .size:           4
        .value_kind:     hidden_block_count_z
      - .offset:         92
        .size:           2
        .value_kind:     hidden_group_size_x
      - .offset:         94
        .size:           2
        .value_kind:     hidden_group_size_y
      - .offset:         96
        .size:           2
        .value_kind:     hidden_group_size_z
      - .offset:         98
        .size:           2
        .value_kind:     hidden_remainder_x
      - .offset:         100
        .size:           2
        .value_kind:     hidden_remainder_y
      - .offset:         102
        .size:           2
        .value_kind:     hidden_remainder_z
      - .offset:         120
        .size:           8
        .value_kind:     hidden_global_offset_x
      - .offset:         128
        .size:           8
        .value_kind:     hidden_global_offset_y
      - .offset:         136
        .size:           8
        .value_kind:     hidden_global_offset_z
      - .offset:         144
        .size:           2
        .value_kind:     hidden_grid_dims
    .group_segment_fixed_size: 0
    .kernarg_segment_align: 8
    .kernarg_segment_size: 336
    .language:       OpenCL C
    .language_version:
      - 2
      - 0
    .max_flat_workgroup_size: 256
    .name:           _ZN9rocsparseL35csr2bsr_block_dim_equals_one_kernelILj256EiliEEvT2_S1_S1_S1_21rocsparse_index_base_PKT0_PKT1_PKS1_S2_PS3_PS6_PS1_
    .private_segment_fixed_size: 0
    .sgpr_count:     18
    .sgpr_spill_count: 0
    .symbol:         _ZN9rocsparseL35csr2bsr_block_dim_equals_one_kernelILj256EiliEEvT2_S1_S1_S1_21rocsparse_index_base_PKT0_PKT1_PKS1_S2_PS3_PS6_PS1_.kd
    .uniform_work_group_size: 1
    .uses_dynamic_stack: false
    .vgpr_count:     9
    .vgpr_spill_count: 0
    .wavefront_size: 32
    .workgroup_processor_mode: 1
  - .args:
      - .offset:         0
        .size:           4
        .value_kind:     by_value
      - .offset:         4
        .size:           4
        .value_kind:     by_value
      - .offset:         8
        .size:           4
        .value_kind:     by_value
      - .offset:         12
        .size:           4
        .value_kind:     by_value
      - .offset:         16
        .size:           4
        .value_kind:     by_value
      - .offset:         20
        .size:           4
        .value_kind:     by_value
      - .offset:         24
        .size:           4
        .value_kind:     by_value
      - .actual_access:  read_only
        .address_space:  global
        .offset:         32
        .size:           8
        .value_kind:     global_buffer
      - .actual_access:  read_only
        .address_space:  global
        .offset:         40
        .size:           8
        .value_kind:     global_buffer
      - .actual_access:  read_only
        .address_space:  global
        .offset:         48
        .size:           8
        .value_kind:     global_buffer
      - .offset:         56
        .size:           4
        .value_kind:     by_value
      - .actual_access:  write_only
        .address_space:  global
        .offset:         64
        .size:           8
        .value_kind:     global_buffer
      - .actual_access:  read_only
        .address_space:  global
        .offset:         72
        .size:           8
        .value_kind:     global_buffer
      - .actual_access:  write_only
        .address_space:  global
        .offset:         80
        .size:           8
        .value_kind:     global_buffer
    .group_segment_fixed_size: 1040
    .kernarg_segment_align: 8
    .kernarg_segment_size: 88
    .language:       OpenCL C
    .language_version:
      - 2
      - 0
    .max_flat_workgroup_size: 256
    .name:           _ZN9rocsparseL42csr2bsr_wavefront_per_row_multipass_kernelILj256ELj16ELj4EiliEEv20rocsparse_direction_T4_S2_S2_S2_S2_21rocsparse_index_base_PKT2_PKT3_PKS2_S3_PS4_PS7_PS2_
    .private_segment_fixed_size: 0
    .sgpr_count:     22
    .sgpr_spill_count: 0
    .symbol:         _ZN9rocsparseL42csr2bsr_wavefront_per_row_multipass_kernelILj256ELj16ELj4EiliEEv20rocsparse_direction_T4_S2_S2_S2_S2_21rocsparse_index_base_PKT2_PKT3_PKS2_S3_PS4_PS7_PS2_.kd
    .uniform_work_group_size: 1
    .uses_dynamic_stack: false
    .vgpr_count:     35
    .vgpr_spill_count: 0
    .wavefront_size: 32
    .workgroup_processor_mode: 1
  - .args:
      - .offset:         0
        .size:           4
        .value_kind:     by_value
      - .offset:         4
        .size:           4
        .value_kind:     by_value
      - .offset:         8
        .size:           4
        .value_kind:     by_value
      - .offset:         12
        .size:           4
        .value_kind:     by_value
      - .offset:         16
        .size:           4
        .value_kind:     by_value
      - .offset:         20
        .size:           4
        .value_kind:     by_value
      - .offset:         24
        .size:           4
        .value_kind:     by_value
      - .actual_access:  read_only
        .address_space:  global
        .offset:         32
        .size:           8
        .value_kind:     global_buffer
      - .actual_access:  read_only
        .address_space:  global
        .offset:         40
        .size:           8
        .value_kind:     global_buffer
      - .actual_access:  read_only
        .address_space:  global
        .offset:         48
        .size:           8
        .value_kind:     global_buffer
      - .offset:         56
        .size:           4
        .value_kind:     by_value
      - .actual_access:  write_only
        .address_space:  global
        .offset:         64
        .size:           8
        .value_kind:     global_buffer
      - .actual_access:  read_only
        .address_space:  global
        .offset:         72
        .size:           8
        .value_kind:     global_buffer
      - .actual_access:  write_only
        .address_space:  global
        .offset:         80
        .size:           8
        .value_kind:     global_buffer
    .group_segment_fixed_size: 1028
    .kernarg_segment_align: 8
    .kernarg_segment_size: 88
    .language:       OpenCL C
    .language_version:
      - 2
      - 0
    .max_flat_workgroup_size: 256
    .name:           _ZN9rocsparseL42csr2bsr_wavefront_per_row_multipass_kernelILj256ELj64ELj8EiliEEv20rocsparse_direction_T4_S2_S2_S2_S2_21rocsparse_index_base_PKT2_PKT3_PKS2_S3_PS4_PS7_PS2_
    .private_segment_fixed_size: 0
    .sgpr_count:     22
    .sgpr_spill_count: 0
    .symbol:         _ZN9rocsparseL42csr2bsr_wavefront_per_row_multipass_kernelILj256ELj64ELj8EiliEEv20rocsparse_direction_T4_S2_S2_S2_S2_21rocsparse_index_base_PKT2_PKT3_PKS2_S3_PS4_PS7_PS2_.kd
    .uniform_work_group_size: 1
    .uses_dynamic_stack: false
    .vgpr_count:     37
    .vgpr_spill_count: 0
    .wavefront_size: 32
    .workgroup_processor_mode: 1
  - .args:
      - .offset:         0
        .size:           4
        .value_kind:     by_value
      - .offset:         4
        .size:           4
        .value_kind:     by_value
      - .offset:         8
        .size:           4
        .value_kind:     by_value
      - .offset:         12
        .size:           4
        .value_kind:     by_value
      - .offset:         16
        .size:           4
        .value_kind:     by_value
      - .offset:         20
        .size:           4
        .value_kind:     by_value
      - .offset:         24
        .size:           4
        .value_kind:     by_value
      - .actual_access:  read_only
        .address_space:  global
        .offset:         32
        .size:           8
        .value_kind:     global_buffer
      - .actual_access:  read_only
        .address_space:  global
        .offset:         40
        .size:           8
        .value_kind:     global_buffer
      - .actual_access:  read_only
        .address_space:  global
        .offset:         48
        .size:           8
        .value_kind:     global_buffer
      - .offset:         56
        .size:           4
        .value_kind:     by_value
      - .actual_access:  write_only
        .address_space:  global
        .offset:         64
        .size:           8
        .value_kind:     global_buffer
      - .actual_access:  read_only
        .address_space:  global
        .offset:         72
        .size:           8
        .value_kind:     global_buffer
      - .actual_access:  write_only
        .address_space:  global
        .offset:         80
        .size:           8
        .value_kind:     global_buffer
    .group_segment_fixed_size: 2056
    .kernarg_segment_align: 8
    .kernarg_segment_size: 88
    .language:       OpenCL C
    .language_version:
      - 2
      - 0
    .max_flat_workgroup_size: 256
    .name:           _ZN9rocsparseL42csr2bsr_wavefront_per_row_multipass_kernelILj256ELj32ELj8EiliEEv20rocsparse_direction_T4_S2_S2_S2_S2_21rocsparse_index_base_PKT2_PKT3_PKS2_S3_PS4_PS7_PS2_
    .private_segment_fixed_size: 0
    .sgpr_count:     24
    .sgpr_spill_count: 0
    .symbol:         _ZN9rocsparseL42csr2bsr_wavefront_per_row_multipass_kernelILj256ELj32ELj8EiliEEv20rocsparse_direction_T4_S2_S2_S2_S2_21rocsparse_index_base_PKT2_PKT3_PKS2_S3_PS4_PS7_PS2_.kd
    .uniform_work_group_size: 1
    .uses_dynamic_stack: false
    .vgpr_count:     42
    .vgpr_spill_count: 0
    .wavefront_size: 32
    .workgroup_processor_mode: 1
  - .args:
      - .offset:         0
        .size:           4
        .value_kind:     by_value
      - .offset:         4
        .size:           4
        .value_kind:     by_value
      - .offset:         8
        .size:           4
        .value_kind:     by_value
      - .offset:         12
        .size:           4
        .value_kind:     by_value
      - .offset:         16
        .size:           4
        .value_kind:     by_value
      - .offset:         20
        .size:           4
        .value_kind:     by_value
      - .offset:         24
        .size:           4
        .value_kind:     by_value
      - .actual_access:  read_only
        .address_space:  global
        .offset:         32
        .size:           8
        .value_kind:     global_buffer
      - .actual_access:  read_only
        .address_space:  global
        .offset:         40
        .size:           8
        .value_kind:     global_buffer
      - .actual_access:  read_only
        .address_space:  global
        .offset:         48
        .size:           8
        .value_kind:     global_buffer
      - .offset:         56
        .size:           4
        .value_kind:     by_value
      - .actual_access:  write_only
        .address_space:  global
        .offset:         64
        .size:           8
        .value_kind:     global_buffer
      - .actual_access:  read_only
        .address_space:  global
        .offset:         72
        .size:           8
        .value_kind:     global_buffer
      - .actual_access:  write_only
        .address_space:  global
        .offset:         80
        .size:           8
        .value_kind:     global_buffer
    .group_segment_fixed_size: 4100
    .kernarg_segment_align: 8
    .kernarg_segment_size: 88
    .language:       OpenCL C
    .language_version:
      - 2
      - 0
    .max_flat_workgroup_size: 256
    .name:           _ZN9rocsparseL42csr2bsr_wavefront_per_row_multipass_kernelILj256ELj64ELj16EiliEEv20rocsparse_direction_T4_S2_S2_S2_S2_21rocsparse_index_base_PKT2_PKT3_PKS2_S3_PS4_PS7_PS2_
    .private_segment_fixed_size: 0
    .sgpr_count:     26
    .sgpr_spill_count: 0
    .symbol:         _ZN9rocsparseL42csr2bsr_wavefront_per_row_multipass_kernelILj256ELj64ELj16EiliEEv20rocsparse_direction_T4_S2_S2_S2_S2_21rocsparse_index_base_PKT2_PKT3_PKS2_S3_PS4_PS7_PS2_.kd
    .uniform_work_group_size: 1
    .uses_dynamic_stack: false
    .vgpr_count:     47
    .vgpr_spill_count: 0
    .wavefront_size: 32
    .workgroup_processor_mode: 1
  - .args:
      - .offset:         0
        .size:           4
        .value_kind:     by_value
      - .offset:         4
        .size:           4
        .value_kind:     by_value
      - .offset:         8
        .size:           4
        .value_kind:     by_value
      - .offset:         12
        .size:           4
        .value_kind:     by_value
      - .offset:         16
        .size:           4
        .value_kind:     by_value
      - .offset:         20
        .size:           4
        .value_kind:     by_value
      - .offset:         24
        .size:           4
        .value_kind:     by_value
      - .actual_access:  read_only
        .address_space:  global
        .offset:         32
        .size:           8
        .value_kind:     global_buffer
      - .actual_access:  read_only
        .address_space:  global
        .offset:         40
        .size:           8
        .value_kind:     global_buffer
      - .actual_access:  read_only
        .address_space:  global
        .offset:         48
        .size:           8
        .value_kind:     global_buffer
      - .offset:         56
        .size:           4
        .value_kind:     by_value
      - .actual_access:  write_only
        .address_space:  global
        .offset:         64
        .size:           8
        .value_kind:     global_buffer
      - .actual_access:  read_only
        .address_space:  global
        .offset:         72
        .size:           8
        .value_kind:     global_buffer
      - .actual_access:  write_only
        .address_space:  global
        .offset:         80
        .size:           8
        .value_kind:     global_buffer
    .group_segment_fixed_size: 8200
    .kernarg_segment_align: 8
    .kernarg_segment_size: 88
    .language:       OpenCL C
    .language_version:
      - 2
      - 0
    .max_flat_workgroup_size: 256
    .name:           _ZN9rocsparseL42csr2bsr_wavefront_per_row_multipass_kernelILj256ELj32ELj16EiliEEv20rocsparse_direction_T4_S2_S2_S2_S2_21rocsparse_index_base_PKT2_PKT3_PKS2_S3_PS4_PS7_PS2_
    .private_segment_fixed_size: 0
    .sgpr_count:     30
    .sgpr_spill_count: 0
    .symbol:         _ZN9rocsparseL42csr2bsr_wavefront_per_row_multipass_kernelILj256ELj32ELj16EiliEEv20rocsparse_direction_T4_S2_S2_S2_S2_21rocsparse_index_base_PKT2_PKT3_PKS2_S3_PS4_PS7_PS2_.kd
    .uniform_work_group_size: 1
    .uses_dynamic_stack: false
    .vgpr_count:     54
    .vgpr_spill_count: 0
    .wavefront_size: 32
    .workgroup_processor_mode: 1
  - .args:
      - .offset:         0
        .size:           4
        .value_kind:     by_value
      - .offset:         4
        .size:           4
        .value_kind:     by_value
      - .offset:         8
        .size:           4
        .value_kind:     by_value
      - .offset:         12
        .size:           4
        .value_kind:     by_value
      - .offset:         16
        .size:           4
        .value_kind:     by_value
      - .offset:         20
        .size:           4
        .value_kind:     by_value
      - .offset:         24
        .size:           4
        .value_kind:     by_value
      - .actual_access:  read_only
        .address_space:  global
        .offset:         32
        .size:           8
        .value_kind:     global_buffer
      - .actual_access:  read_only
        .address_space:  global
        .offset:         40
        .size:           8
        .value_kind:     global_buffer
      - .actual_access:  read_only
        .address_space:  global
        .offset:         48
        .size:           8
        .value_kind:     global_buffer
      - .offset:         56
        .size:           4
        .value_kind:     by_value
      - .actual_access:  write_only
        .address_space:  global
        .offset:         64
        .size:           8
        .value_kind:     global_buffer
      - .actual_access:  read_only
        .address_space:  global
        .offset:         72
        .size:           8
        .value_kind:     global_buffer
      - .actual_access:  write_only
        .address_space:  global
        .offset:         80
        .size:           8
        .value_kind:     global_buffer
    .group_segment_fixed_size: 4100
    .kernarg_segment_align: 8
    .kernarg_segment_size: 88
    .language:       OpenCL C
    .language_version:
      - 2
      - 0
    .max_flat_workgroup_size: 256
    .name:           _ZN9rocsparseL38csr2bsr_block_per_row_multipass_kernelILj256ELj32EiliEEv20rocsparse_direction_T3_S2_S2_S2_S2_21rocsparse_index_base_PKT1_PKT2_PKS2_S3_PS4_PS7_PS2_
    .private_segment_fixed_size: 0
    .sgpr_count:     38
    .sgpr_spill_count: 0
    .symbol:         _ZN9rocsparseL38csr2bsr_block_per_row_multipass_kernelILj256ELj32EiliEEv20rocsparse_direction_T3_S2_S2_S2_S2_21rocsparse_index_base_PKT1_PKT2_PKS2_S3_PS4_PS7_PS2_.kd
    .uniform_work_group_size: 1
    .uses_dynamic_stack: false
    .vgpr_count:     41
    .vgpr_spill_count: 0
    .wavefront_size: 32
    .workgroup_processor_mode: 1
  - .args:
      - .offset:         0
        .size:           4
        .value_kind:     by_value
      - .offset:         4
        .size:           4
        .value_kind:     by_value
      - .offset:         8
        .size:           4
        .value_kind:     by_value
      - .offset:         12
        .size:           4
        .value_kind:     by_value
      - .offset:         16
        .size:           4
        .value_kind:     by_value
      - .offset:         20
        .size:           4
        .value_kind:     by_value
      - .offset:         24
        .size:           4
        .value_kind:     by_value
      - .actual_access:  read_only
        .address_space:  global
        .offset:         32
        .size:           8
        .value_kind:     global_buffer
      - .actual_access:  read_only
        .address_space:  global
        .offset:         40
        .size:           8
        .value_kind:     global_buffer
      - .actual_access:  read_only
        .address_space:  global
        .offset:         48
        .size:           8
        .value_kind:     global_buffer
      - .offset:         56
        .size:           4
        .value_kind:     by_value
      - .actual_access:  write_only
        .address_space:  global
        .offset:         64
        .size:           8
        .value_kind:     global_buffer
      - .actual_access:  read_only
        .address_space:  global
        .offset:         72
        .size:           8
        .value_kind:     global_buffer
      - .actual_access:  write_only
        .address_space:  global
        .offset:         80
        .size:           8
        .value_kind:     global_buffer
    .group_segment_fixed_size: 16388
    .kernarg_segment_align: 8
    .kernarg_segment_size: 88
    .language:       OpenCL C
    .language_version:
      - 2
      - 0
    .max_flat_workgroup_size: 256
    .name:           _ZN9rocsparseL38csr2bsr_block_per_row_multipass_kernelILj256ELj64EiliEEv20rocsparse_direction_T3_S2_S2_S2_S2_21rocsparse_index_base_PKT1_PKT2_PKS2_S3_PS4_PS7_PS2_
    .private_segment_fixed_size: 0
    .sgpr_count:     50
    .sgpr_spill_count: 0
    .symbol:         _ZN9rocsparseL38csr2bsr_block_per_row_multipass_kernelILj256ELj64EiliEEv20rocsparse_direction_T3_S2_S2_S2_S2_21rocsparse_index_base_PKT1_PKT2_PKS2_S3_PS4_PS7_PS2_.kd
    .uniform_work_group_size: 1
    .uses_dynamic_stack: false
    .vgpr_count:     64
    .vgpr_spill_count: 0
    .wavefront_size: 32
    .workgroup_processor_mode: 1
  - .args:
      - .offset:         0
        .size:           4
        .value_kind:     by_value
      - .offset:         4
        .size:           4
        .value_kind:     by_value
      - .offset:         8
        .size:           4
        .value_kind:     by_value
      - .offset:         12
        .size:           4
        .value_kind:     by_value
      - .offset:         16
        .size:           4
        .value_kind:     by_value
      - .offset:         20
        .size:           4
        .value_kind:     by_value
      - .offset:         24
        .size:           4
        .value_kind:     by_value
      - .offset:         28
        .size:           4
        .value_kind:     by_value
      - .actual_access:  read_only
        .address_space:  global
        .offset:         32
        .size:           8
        .value_kind:     global_buffer
      - .actual_access:  read_only
        .address_space:  global
        .offset:         40
        .size:           8
        .value_kind:     global_buffer
      - .actual_access:  read_only
        .address_space:  global
        .offset:         48
        .size:           8
        .value_kind:     global_buffer
      - .offset:         56
        .size:           4
        .value_kind:     by_value
      - .actual_access:  write_only
        .address_space:  global
        .offset:         64
        .size:           8
        .value_kind:     global_buffer
      - .actual_access:  read_only
        .address_space:  global
        .offset:         72
        .size:           8
        .value_kind:     global_buffer
      - .actual_access:  write_only
        .address_space:  global
        .offset:         80
        .size:           8
        .value_kind:     global_buffer
      - .address_space:  global
        .offset:         88
        .size:           8
        .value_kind:     global_buffer
      - .address_space:  global
        .offset:         96
        .size:           8
        .value_kind:     global_buffer
      - .address_space:  global
        .offset:         104
        .size:           8
        .value_kind:     global_buffer
    .group_segment_fixed_size: 0
    .kernarg_segment_align: 8
    .kernarg_segment_size: 112
    .language:       OpenCL C
    .language_version:
      - 2
      - 0
    .max_flat_workgroup_size: 32
    .name:           _ZN9rocsparseL21csr2bsr_65_inf_kernelILj32EiliEEv20rocsparse_direction_T2_S2_S2_S2_S2_S2_21rocsparse_index_base_PKT0_PKT1_PKS2_S3_PS4_PS7_PS2_SD_SE_SC_
    .private_segment_fixed_size: 0
    .sgpr_count:     36
    .sgpr_spill_count: 0
    .symbol:         _ZN9rocsparseL21csr2bsr_65_inf_kernelILj32EiliEEv20rocsparse_direction_T2_S2_S2_S2_S2_S2_21rocsparse_index_base_PKT0_PKT1_PKS2_S3_PS4_PS7_PS2_SD_SE_SC_.kd
    .uniform_work_group_size: 1
    .uses_dynamic_stack: false
    .vgpr_count:     39
    .vgpr_spill_count: 0
    .wavefront_size: 32
    .workgroup_processor_mode: 1
  - .args:
      - .offset:         0
        .size:           8
        .value_kind:     by_value
      - .offset:         8
        .size:           8
        .value_kind:     by_value
      - .offset:         16
        .size:           8
        .value_kind:     by_value
      - .offset:         24
        .size:           8
        .value_kind:     by_value
      - .offset:         32
        .size:           4
        .value_kind:     by_value
      - .address_space:  global
        .offset:         40
        .size:           8
        .value_kind:     global_buffer
      - .address_space:  global
        .offset:         48
        .size:           8
        .value_kind:     global_buffer
      - .address_space:  global
        .offset:         56
        .size:           8
        .value_kind:     global_buffer
      - .offset:         64
        .size:           4
        .value_kind:     by_value
      - .address_space:  global
        .offset:         72
        .size:           8
        .value_kind:     global_buffer
      - .address_space:  global
        .offset:         80
        .size:           8
        .value_kind:     global_buffer
      - .address_space:  global
        .offset:         88
        .size:           8
        .value_kind:     global_buffer
      - .offset:         96
        .size:           4
        .value_kind:     hidden_block_count_x
      - .offset:         100
        .size:           4
        .value_kind:     hidden_block_count_y
      - .offset:         104
        .size:           4
        .value_kind:     hidden_block_count_z
      - .offset:         108
        .size:           2
        .value_kind:     hidden_group_size_x
      - .offset:         110
        .size:           2
        .value_kind:     hidden_group_size_y
      - .offset:         112
        .size:           2
        .value_kind:     hidden_group_size_z
      - .offset:         114
        .size:           2
        .value_kind:     hidden_remainder_x
      - .offset:         116
        .size:           2
        .value_kind:     hidden_remainder_y
      - .offset:         118
        .size:           2
        .value_kind:     hidden_remainder_z
      - .offset:         136
        .size:           8
        .value_kind:     hidden_global_offset_x
      - .offset:         144
        .size:           8
        .value_kind:     hidden_global_offset_y
      - .offset:         152
        .size:           8
        .value_kind:     hidden_global_offset_z
      - .offset:         160
        .size:           2
        .value_kind:     hidden_grid_dims
    .group_segment_fixed_size: 0
    .kernarg_segment_align: 8
    .kernarg_segment_size: 352
    .language:       OpenCL C
    .language_version:
      - 2
      - 0
    .max_flat_workgroup_size: 256
    .name:           _ZN9rocsparseL35csr2bsr_block_dim_equals_one_kernelILj256EiilEEvT2_S1_S1_S1_21rocsparse_index_base_PKT0_PKT1_PKS1_S2_PS3_PS6_PS1_
    .private_segment_fixed_size: 0
    .sgpr_count:     18
    .sgpr_spill_count: 0
    .symbol:         _ZN9rocsparseL35csr2bsr_block_dim_equals_one_kernelILj256EiilEEvT2_S1_S1_S1_21rocsparse_index_base_PKT0_PKT1_PKS1_S2_PS3_PS6_PS1_.kd
    .uniform_work_group_size: 1
    .uses_dynamic_stack: false
    .vgpr_count:     10
    .vgpr_spill_count: 0
    .wavefront_size: 32
    .workgroup_processor_mode: 1
  - .args:
      - .offset:         0
        .size:           4
        .value_kind:     by_value
      - .offset:         8
        .size:           8
        .value_kind:     by_value
      - .offset:         16
        .size:           8
        .value_kind:     by_value
      - .offset:         24
        .size:           8
        .value_kind:     by_value
      - .offset:         32
        .size:           8
        .value_kind:     by_value
      - .offset:         40
        .size:           8
        .value_kind:     by_value
      - .offset:         48
        .size:           4
        .value_kind:     by_value
      - .actual_access:  read_only
        .address_space:  global
        .offset:         56
        .size:           8
        .value_kind:     global_buffer
      - .actual_access:  read_only
        .address_space:  global
        .offset:         64
        .size:           8
        .value_kind:     global_buffer
      - .actual_access:  read_only
        .address_space:  global
        .offset:         72
        .size:           8
        .value_kind:     global_buffer
      - .offset:         80
        .size:           4
        .value_kind:     by_value
      - .actual_access:  write_only
        .address_space:  global
        .offset:         88
        .size:           8
        .value_kind:     global_buffer
      - .actual_access:  read_only
        .address_space:  global
        .offset:         96
        .size:           8
        .value_kind:     global_buffer
      - .actual_access:  write_only
        .address_space:  global
        .offset:         104
        .size:           8
        .value_kind:     global_buffer
    .group_segment_fixed_size: 1040
    .kernarg_segment_align: 8
    .kernarg_segment_size: 112
    .language:       OpenCL C
    .language_version:
      - 2
      - 0
    .max_flat_workgroup_size: 256
    .name:           _ZN9rocsparseL42csr2bsr_wavefront_per_row_multipass_kernelILj256ELj16ELj4EiilEEv20rocsparse_direction_T4_S2_S2_S2_S2_21rocsparse_index_base_PKT2_PKT3_PKS2_S3_PS4_PS7_PS2_
    .private_segment_fixed_size: 0
    .sgpr_count:     27
    .sgpr_spill_count: 0
    .symbol:         _ZN9rocsparseL42csr2bsr_wavefront_per_row_multipass_kernelILj256ELj16ELj4EiilEEv20rocsparse_direction_T4_S2_S2_S2_S2_21rocsparse_index_base_PKT2_PKT3_PKS2_S3_PS4_PS7_PS2_.kd
    .uniform_work_group_size: 1
    .uses_dynamic_stack: false
    .vgpr_count:     38
    .vgpr_spill_count: 0
    .wavefront_size: 32
    .workgroup_processor_mode: 1
  - .args:
      - .offset:         0
        .size:           4
        .value_kind:     by_value
      - .offset:         8
        .size:           8
        .value_kind:     by_value
      - .offset:         16
        .size:           8
        .value_kind:     by_value
      - .offset:         24
        .size:           8
        .value_kind:     by_value
      - .offset:         32
        .size:           8
        .value_kind:     by_value
      - .offset:         40
        .size:           8
        .value_kind:     by_value
      - .offset:         48
        .size:           4
        .value_kind:     by_value
      - .actual_access:  read_only
        .address_space:  global
        .offset:         56
        .size:           8
        .value_kind:     global_buffer
      - .actual_access:  read_only
        .address_space:  global
        .offset:         64
        .size:           8
        .value_kind:     global_buffer
      - .actual_access:  read_only
        .address_space:  global
        .offset:         72
        .size:           8
        .value_kind:     global_buffer
      - .offset:         80
        .size:           4
        .value_kind:     by_value
      - .actual_access:  write_only
        .address_space:  global
        .offset:         88
        .size:           8
        .value_kind:     global_buffer
      - .actual_access:  read_only
        .address_space:  global
        .offset:         96
        .size:           8
        .value_kind:     global_buffer
      - .actual_access:  write_only
        .address_space:  global
        .offset:         104
        .size:           8
        .value_kind:     global_buffer
    .group_segment_fixed_size: 1028
    .kernarg_segment_align: 8
    .kernarg_segment_size: 112
    .language:       OpenCL C
    .language_version:
      - 2
      - 0
    .max_flat_workgroup_size: 256
    .name:           _ZN9rocsparseL42csr2bsr_wavefront_per_row_multipass_kernelILj256ELj64ELj8EiilEEv20rocsparse_direction_T4_S2_S2_S2_S2_21rocsparse_index_base_PKT2_PKT3_PKS2_S3_PS4_PS7_PS2_
    .private_segment_fixed_size: 0
    .sgpr_count:     27
    .sgpr_spill_count: 0
    .symbol:         _ZN9rocsparseL42csr2bsr_wavefront_per_row_multipass_kernelILj256ELj64ELj8EiilEEv20rocsparse_direction_T4_S2_S2_S2_S2_21rocsparse_index_base_PKT2_PKT3_PKS2_S3_PS4_PS7_PS2_.kd
    .uniform_work_group_size: 1
    .uses_dynamic_stack: false
    .vgpr_count:     40
    .vgpr_spill_count: 0
    .wavefront_size: 32
    .workgroup_processor_mode: 1
  - .args:
      - .offset:         0
        .size:           4
        .value_kind:     by_value
      - .offset:         8
        .size:           8
        .value_kind:     by_value
      - .offset:         16
        .size:           8
        .value_kind:     by_value
      - .offset:         24
        .size:           8
        .value_kind:     by_value
      - .offset:         32
        .size:           8
        .value_kind:     by_value
      - .offset:         40
        .size:           8
        .value_kind:     by_value
      - .offset:         48
        .size:           4
        .value_kind:     by_value
      - .actual_access:  read_only
        .address_space:  global
        .offset:         56
        .size:           8
        .value_kind:     global_buffer
      - .actual_access:  read_only
        .address_space:  global
        .offset:         64
        .size:           8
        .value_kind:     global_buffer
      - .actual_access:  read_only
        .address_space:  global
        .offset:         72
        .size:           8
        .value_kind:     global_buffer
      - .offset:         80
        .size:           4
        .value_kind:     by_value
      - .actual_access:  write_only
        .address_space:  global
        .offset:         88
        .size:           8
        .value_kind:     global_buffer
      - .actual_access:  read_only
        .address_space:  global
        .offset:         96
        .size:           8
        .value_kind:     global_buffer
      - .actual_access:  write_only
        .address_space:  global
        .offset:         104
        .size:           8
        .value_kind:     global_buffer
    .group_segment_fixed_size: 2056
    .kernarg_segment_align: 8
    .kernarg_segment_size: 112
    .language:       OpenCL C
    .language_version:
      - 2
      - 0
    .max_flat_workgroup_size: 256
    .name:           _ZN9rocsparseL42csr2bsr_wavefront_per_row_multipass_kernelILj256ELj32ELj8EiilEEv20rocsparse_direction_T4_S2_S2_S2_S2_21rocsparse_index_base_PKT2_PKT3_PKS2_S3_PS4_PS7_PS2_
    .private_segment_fixed_size: 0
    .sgpr_count:     29
    .sgpr_spill_count: 0
    .symbol:         _ZN9rocsparseL42csr2bsr_wavefront_per_row_multipass_kernelILj256ELj32ELj8EiilEEv20rocsparse_direction_T4_S2_S2_S2_S2_21rocsparse_index_base_PKT2_PKT3_PKS2_S3_PS4_PS7_PS2_.kd
    .uniform_work_group_size: 1
    .uses_dynamic_stack: false
    .vgpr_count:     45
    .vgpr_spill_count: 0
    .wavefront_size: 32
    .workgroup_processor_mode: 1
  - .args:
      - .offset:         0
        .size:           4
        .value_kind:     by_value
      - .offset:         8
        .size:           8
        .value_kind:     by_value
      - .offset:         16
        .size:           8
        .value_kind:     by_value
      - .offset:         24
        .size:           8
        .value_kind:     by_value
      - .offset:         32
        .size:           8
        .value_kind:     by_value
      - .offset:         40
        .size:           8
        .value_kind:     by_value
      - .offset:         48
        .size:           4
        .value_kind:     by_value
      - .actual_access:  read_only
        .address_space:  global
        .offset:         56
        .size:           8
        .value_kind:     global_buffer
      - .actual_access:  read_only
        .address_space:  global
        .offset:         64
        .size:           8
        .value_kind:     global_buffer
      - .actual_access:  read_only
        .address_space:  global
        .offset:         72
        .size:           8
        .value_kind:     global_buffer
      - .offset:         80
        .size:           4
        .value_kind:     by_value
      - .actual_access:  write_only
        .address_space:  global
        .offset:         88
        .size:           8
        .value_kind:     global_buffer
      - .actual_access:  read_only
        .address_space:  global
        .offset:         96
        .size:           8
        .value_kind:     global_buffer
      - .actual_access:  write_only
        .address_space:  global
        .offset:         104
        .size:           8
        .value_kind:     global_buffer
    .group_segment_fixed_size: 4100
    .kernarg_segment_align: 8
    .kernarg_segment_size: 112
    .language:       OpenCL C
    .language_version:
      - 2
      - 0
    .max_flat_workgroup_size: 256
    .name:           _ZN9rocsparseL42csr2bsr_wavefront_per_row_multipass_kernelILj256ELj64ELj16EiilEEv20rocsparse_direction_T4_S2_S2_S2_S2_21rocsparse_index_base_PKT2_PKT3_PKS2_S3_PS4_PS7_PS2_
    .private_segment_fixed_size: 0
    .sgpr_count:     31
    .sgpr_spill_count: 0
    .symbol:         _ZN9rocsparseL42csr2bsr_wavefront_per_row_multipass_kernelILj256ELj64ELj16EiilEEv20rocsparse_direction_T4_S2_S2_S2_S2_21rocsparse_index_base_PKT2_PKT3_PKS2_S3_PS4_PS7_PS2_.kd
    .uniform_work_group_size: 1
    .uses_dynamic_stack: false
    .vgpr_count:     50
    .vgpr_spill_count: 0
    .wavefront_size: 32
    .workgroup_processor_mode: 1
  - .args:
      - .offset:         0
        .size:           4
        .value_kind:     by_value
      - .offset:         8
        .size:           8
        .value_kind:     by_value
      - .offset:         16
        .size:           8
        .value_kind:     by_value
      - .offset:         24
        .size:           8
        .value_kind:     by_value
      - .offset:         32
        .size:           8
        .value_kind:     by_value
      - .offset:         40
        .size:           8
        .value_kind:     by_value
      - .offset:         48
        .size:           4
        .value_kind:     by_value
      - .actual_access:  read_only
        .address_space:  global
        .offset:         56
        .size:           8
        .value_kind:     global_buffer
      - .actual_access:  read_only
        .address_space:  global
        .offset:         64
        .size:           8
        .value_kind:     global_buffer
      - .actual_access:  read_only
        .address_space:  global
        .offset:         72
        .size:           8
        .value_kind:     global_buffer
      - .offset:         80
        .size:           4
        .value_kind:     by_value
      - .actual_access:  write_only
        .address_space:  global
        .offset:         88
        .size:           8
        .value_kind:     global_buffer
      - .actual_access:  read_only
        .address_space:  global
        .offset:         96
        .size:           8
        .value_kind:     global_buffer
      - .actual_access:  write_only
        .address_space:  global
        .offset:         104
        .size:           8
        .value_kind:     global_buffer
    .group_segment_fixed_size: 8200
    .kernarg_segment_align: 8
    .kernarg_segment_size: 112
    .language:       OpenCL C
    .language_version:
      - 2
      - 0
    .max_flat_workgroup_size: 256
    .name:           _ZN9rocsparseL42csr2bsr_wavefront_per_row_multipass_kernelILj256ELj32ELj16EiilEEv20rocsparse_direction_T4_S2_S2_S2_S2_21rocsparse_index_base_PKT2_PKT3_PKS2_S3_PS4_PS7_PS2_
    .private_segment_fixed_size: 0
    .sgpr_count:     36
    .sgpr_spill_count: 0
    .symbol:         _ZN9rocsparseL42csr2bsr_wavefront_per_row_multipass_kernelILj256ELj32ELj16EiilEEv20rocsparse_direction_T4_S2_S2_S2_S2_21rocsparse_index_base_PKT2_PKT3_PKS2_S3_PS4_PS7_PS2_.kd
    .uniform_work_group_size: 1
    .uses_dynamic_stack: false
    .vgpr_count:     57
    .vgpr_spill_count: 0
    .wavefront_size: 32
    .workgroup_processor_mode: 1
  - .args:
      - .offset:         0
        .size:           4
        .value_kind:     by_value
      - .offset:         8
        .size:           8
        .value_kind:     by_value
      - .offset:         16
        .size:           8
        .value_kind:     by_value
      - .offset:         24
        .size:           8
        .value_kind:     by_value
      - .offset:         32
        .size:           8
        .value_kind:     by_value
      - .offset:         40
        .size:           8
        .value_kind:     by_value
      - .offset:         48
        .size:           4
        .value_kind:     by_value
      - .actual_access:  read_only
        .address_space:  global
        .offset:         56
        .size:           8
        .value_kind:     global_buffer
      - .actual_access:  read_only
        .address_space:  global
        .offset:         64
        .size:           8
        .value_kind:     global_buffer
      - .actual_access:  read_only
        .address_space:  global
        .offset:         72
        .size:           8
        .value_kind:     global_buffer
      - .offset:         80
        .size:           4
        .value_kind:     by_value
      - .actual_access:  write_only
        .address_space:  global
        .offset:         88
        .size:           8
        .value_kind:     global_buffer
      - .actual_access:  read_only
        .address_space:  global
        .offset:         96
        .size:           8
        .value_kind:     global_buffer
      - .actual_access:  write_only
        .address_space:  global
        .offset:         104
        .size:           8
        .value_kind:     global_buffer
    .group_segment_fixed_size: 4100
    .kernarg_segment_align: 8
    .kernarg_segment_size: 112
    .language:       OpenCL C
    .language_version:
      - 2
      - 0
    .max_flat_workgroup_size: 256
    .name:           _ZN9rocsparseL38csr2bsr_block_per_row_multipass_kernelILj256ELj32EiilEEv20rocsparse_direction_T3_S2_S2_S2_S2_21rocsparse_index_base_PKT1_PKT2_PKS2_S3_PS4_PS7_PS2_
    .private_segment_fixed_size: 0
    .sgpr_count:     42
    .sgpr_spill_count: 0
    .symbol:         _ZN9rocsparseL38csr2bsr_block_per_row_multipass_kernelILj256ELj32EiilEEv20rocsparse_direction_T3_S2_S2_S2_S2_21rocsparse_index_base_PKT1_PKT2_PKS2_S3_PS4_PS7_PS2_.kd
    .uniform_work_group_size: 1
    .uses_dynamic_stack: false
    .vgpr_count:     42
    .vgpr_spill_count: 0
    .wavefront_size: 32
    .workgroup_processor_mode: 1
  - .args:
      - .offset:         0
        .size:           4
        .value_kind:     by_value
      - .offset:         8
        .size:           8
        .value_kind:     by_value
      - .offset:         16
        .size:           8
        .value_kind:     by_value
      - .offset:         24
        .size:           8
        .value_kind:     by_value
      - .offset:         32
        .size:           8
        .value_kind:     by_value
      - .offset:         40
        .size:           8
        .value_kind:     by_value
      - .offset:         48
        .size:           4
        .value_kind:     by_value
      - .actual_access:  read_only
        .address_space:  global
        .offset:         56
        .size:           8
        .value_kind:     global_buffer
      - .actual_access:  read_only
        .address_space:  global
        .offset:         64
        .size:           8
        .value_kind:     global_buffer
      - .actual_access:  read_only
        .address_space:  global
        .offset:         72
        .size:           8
        .value_kind:     global_buffer
      - .offset:         80
        .size:           4
        .value_kind:     by_value
      - .actual_access:  write_only
        .address_space:  global
        .offset:         88
        .size:           8
        .value_kind:     global_buffer
      - .actual_access:  read_only
        .address_space:  global
        .offset:         96
        .size:           8
        .value_kind:     global_buffer
      - .actual_access:  write_only
        .address_space:  global
        .offset:         104
        .size:           8
        .value_kind:     global_buffer
    .group_segment_fixed_size: 16388
    .kernarg_segment_align: 8
    .kernarg_segment_size: 112
    .language:       OpenCL C
    .language_version:
      - 2
      - 0
    .max_flat_workgroup_size: 256
    .name:           _ZN9rocsparseL38csr2bsr_block_per_row_multipass_kernelILj256ELj64EiilEEv20rocsparse_direction_T3_S2_S2_S2_S2_21rocsparse_index_base_PKT1_PKT2_PKS2_S3_PS4_PS7_PS2_
    .private_segment_fixed_size: 0
    .sgpr_count:     54
    .sgpr_spill_count: 0
    .symbol:         _ZN9rocsparseL38csr2bsr_block_per_row_multipass_kernelILj256ELj64EiilEEv20rocsparse_direction_T3_S2_S2_S2_S2_21rocsparse_index_base_PKT1_PKT2_PKS2_S3_PS4_PS7_PS2_.kd
    .uniform_work_group_size: 1
    .uses_dynamic_stack: false
    .vgpr_count:     65
    .vgpr_spill_count: 0
    .wavefront_size: 32
    .workgroup_processor_mode: 1
  - .args:
      - .offset:         0
        .size:           4
        .value_kind:     by_value
      - .offset:         8
        .size:           8
        .value_kind:     by_value
      - .offset:         16
        .size:           8
        .value_kind:     by_value
      - .offset:         24
        .size:           8
        .value_kind:     by_value
      - .offset:         32
        .size:           8
        .value_kind:     by_value
      - .offset:         40
        .size:           8
        .value_kind:     by_value
      - .offset:         48
        .size:           8
        .value_kind:     by_value
      - .offset:         56
        .size:           4
        .value_kind:     by_value
      - .actual_access:  read_only
        .address_space:  global
        .offset:         64
        .size:           8
        .value_kind:     global_buffer
      - .actual_access:  read_only
        .address_space:  global
        .offset:         72
        .size:           8
        .value_kind:     global_buffer
      - .actual_access:  read_only
        .address_space:  global
        .offset:         80
        .size:           8
        .value_kind:     global_buffer
      - .offset:         88
        .size:           4
        .value_kind:     by_value
      - .actual_access:  write_only
        .address_space:  global
        .offset:         96
        .size:           8
        .value_kind:     global_buffer
      - .actual_access:  read_only
        .address_space:  global
        .offset:         104
        .size:           8
        .value_kind:     global_buffer
      - .actual_access:  write_only
        .address_space:  global
        .offset:         112
        .size:           8
        .value_kind:     global_buffer
      - .address_space:  global
        .offset:         120
        .size:           8
        .value_kind:     global_buffer
      - .address_space:  global
        .offset:         128
        .size:           8
        .value_kind:     global_buffer
      - .address_space:  global
        .offset:         136
        .size:           8
        .value_kind:     global_buffer
    .group_segment_fixed_size: 0
    .kernarg_segment_align: 8
    .kernarg_segment_size: 144
    .language:       OpenCL C
    .language_version:
      - 2
      - 0
    .max_flat_workgroup_size: 32
    .name:           _ZN9rocsparseL21csr2bsr_65_inf_kernelILj32EiilEEv20rocsparse_direction_T2_S2_S2_S2_S2_S2_21rocsparse_index_base_PKT0_PKT1_PKS2_S3_PS4_PS7_PS2_SD_SE_SC_
    .private_segment_fixed_size: 0
    .sgpr_count:     39
    .sgpr_spill_count: 0
    .symbol:         _ZN9rocsparseL21csr2bsr_65_inf_kernelILj32EiilEEv20rocsparse_direction_T2_S2_S2_S2_S2_S2_21rocsparse_index_base_PKT0_PKT1_PKS2_S3_PS4_PS7_PS2_SD_SE_SC_.kd
    .uniform_work_group_size: 1
    .uses_dynamic_stack: false
    .vgpr_count:     52
    .vgpr_spill_count: 0
    .wavefront_size: 32
    .workgroup_processor_mode: 1
  - .args:
      - .offset:         0
        .size:           8
        .value_kind:     by_value
      - .offset:         8
        .size:           8
        .value_kind:     by_value
      - .offset:         16
        .size:           8
        .value_kind:     by_value
      - .offset:         24
        .size:           8
        .value_kind:     by_value
      - .offset:         32
        .size:           4
        .value_kind:     by_value
      - .address_space:  global
        .offset:         40
        .size:           8
        .value_kind:     global_buffer
      - .address_space:  global
        .offset:         48
        .size:           8
        .value_kind:     global_buffer
      - .address_space:  global
        .offset:         56
        .size:           8
        .value_kind:     global_buffer
      - .offset:         64
        .size:           4
        .value_kind:     by_value
      - .address_space:  global
        .offset:         72
        .size:           8
        .value_kind:     global_buffer
      - .address_space:  global
        .offset:         80
        .size:           8
        .value_kind:     global_buffer
      - .address_space:  global
        .offset:         88
        .size:           8
        .value_kind:     global_buffer
      - .offset:         96
        .size:           4
        .value_kind:     hidden_block_count_x
      - .offset:         100
        .size:           4
        .value_kind:     hidden_block_count_y
      - .offset:         104
        .size:           4
        .value_kind:     hidden_block_count_z
      - .offset:         108
        .size:           2
        .value_kind:     hidden_group_size_x
      - .offset:         110
        .size:           2
        .value_kind:     hidden_group_size_y
      - .offset:         112
        .size:           2
        .value_kind:     hidden_group_size_z
      - .offset:         114
        .size:           2
        .value_kind:     hidden_remainder_x
      - .offset:         116
        .size:           2
        .value_kind:     hidden_remainder_y
      - .offset:         118
        .size:           2
        .value_kind:     hidden_remainder_z
      - .offset:         136
        .size:           8
        .value_kind:     hidden_global_offset_x
      - .offset:         144
        .size:           8
        .value_kind:     hidden_global_offset_y
      - .offset:         152
        .size:           8
        .value_kind:     hidden_global_offset_z
      - .offset:         160
        .size:           2
        .value_kind:     hidden_grid_dims
    .group_segment_fixed_size: 0
    .kernarg_segment_align: 8
    .kernarg_segment_size: 352
    .language:       OpenCL C
    .language_version:
      - 2
      - 0
    .max_flat_workgroup_size: 256
    .name:           _ZN9rocsparseL35csr2bsr_block_dim_equals_one_kernelILj256EillEEvT2_S1_S1_S1_21rocsparse_index_base_PKT0_PKT1_PKS1_S2_PS3_PS6_PS1_
    .private_segment_fixed_size: 0
    .sgpr_count:     22
    .sgpr_spill_count: 0
    .symbol:         _ZN9rocsparseL35csr2bsr_block_dim_equals_one_kernelILj256EillEEvT2_S1_S1_S1_21rocsparse_index_base_PKT0_PKT1_PKS1_S2_PS3_PS6_PS1_.kd
    .uniform_work_group_size: 1
    .uses_dynamic_stack: false
    .vgpr_count:     13
    .vgpr_spill_count: 0
    .wavefront_size: 32
    .workgroup_processor_mode: 1
  - .args:
      - .offset:         0
        .size:           4
        .value_kind:     by_value
      - .offset:         8
        .size:           8
        .value_kind:     by_value
      - .offset:         16
        .size:           8
        .value_kind:     by_value
      - .offset:         24
        .size:           8
        .value_kind:     by_value
      - .offset:         32
        .size:           8
        .value_kind:     by_value
      - .offset:         40
        .size:           8
        .value_kind:     by_value
      - .offset:         48
        .size:           4
        .value_kind:     by_value
      - .actual_access:  read_only
        .address_space:  global
        .offset:         56
        .size:           8
        .value_kind:     global_buffer
      - .actual_access:  read_only
        .address_space:  global
        .offset:         64
        .size:           8
        .value_kind:     global_buffer
      - .actual_access:  read_only
        .address_space:  global
        .offset:         72
        .size:           8
        .value_kind:     global_buffer
      - .offset:         80
        .size:           4
        .value_kind:     by_value
      - .actual_access:  write_only
        .address_space:  global
        .offset:         88
        .size:           8
        .value_kind:     global_buffer
      - .actual_access:  read_only
        .address_space:  global
        .offset:         96
        .size:           8
        .value_kind:     global_buffer
      - .actual_access:  write_only
        .address_space:  global
        .offset:         104
        .size:           8
        .value_kind:     global_buffer
    .group_segment_fixed_size: 1040
    .kernarg_segment_align: 8
    .kernarg_segment_size: 112
    .language:       OpenCL C
    .language_version:
      - 2
      - 0
    .max_flat_workgroup_size: 256
    .name:           _ZN9rocsparseL42csr2bsr_wavefront_per_row_multipass_kernelILj256ELj16ELj4EillEEv20rocsparse_direction_T4_S2_S2_S2_S2_21rocsparse_index_base_PKT2_PKT3_PKS2_S3_PS4_PS7_PS2_
    .private_segment_fixed_size: 0
    .sgpr_count:     27
    .sgpr_spill_count: 0
    .symbol:         _ZN9rocsparseL42csr2bsr_wavefront_per_row_multipass_kernelILj256ELj16ELj4EillEEv20rocsparse_direction_T4_S2_S2_S2_S2_21rocsparse_index_base_PKT2_PKT3_PKS2_S3_PS4_PS7_PS2_.kd
    .uniform_work_group_size: 1
    .uses_dynamic_stack: false
    .vgpr_count:     44
    .vgpr_spill_count: 0
    .wavefront_size: 32
    .workgroup_processor_mode: 1
  - .args:
      - .offset:         0
        .size:           4
        .value_kind:     by_value
      - .offset:         8
        .size:           8
        .value_kind:     by_value
      - .offset:         16
        .size:           8
        .value_kind:     by_value
      - .offset:         24
        .size:           8
        .value_kind:     by_value
      - .offset:         32
        .size:           8
        .value_kind:     by_value
      - .offset:         40
        .size:           8
        .value_kind:     by_value
      - .offset:         48
        .size:           4
        .value_kind:     by_value
      - .actual_access:  read_only
        .address_space:  global
        .offset:         56
        .size:           8
        .value_kind:     global_buffer
      - .actual_access:  read_only
        .address_space:  global
        .offset:         64
        .size:           8
        .value_kind:     global_buffer
      - .actual_access:  read_only
        .address_space:  global
        .offset:         72
        .size:           8
        .value_kind:     global_buffer
      - .offset:         80
        .size:           4
        .value_kind:     by_value
      - .actual_access:  write_only
        .address_space:  global
        .offset:         88
        .size:           8
        .value_kind:     global_buffer
      - .actual_access:  read_only
        .address_space:  global
        .offset:         96
        .size:           8
        .value_kind:     global_buffer
      - .actual_access:  write_only
        .address_space:  global
        .offset:         104
        .size:           8
        .value_kind:     global_buffer
    .group_segment_fixed_size: 1028
    .kernarg_segment_align: 8
    .kernarg_segment_size: 112
    .language:       OpenCL C
    .language_version:
      - 2
      - 0
    .max_flat_workgroup_size: 256
    .name:           _ZN9rocsparseL42csr2bsr_wavefront_per_row_multipass_kernelILj256ELj64ELj8EillEEv20rocsparse_direction_T4_S2_S2_S2_S2_21rocsparse_index_base_PKT2_PKT3_PKS2_S3_PS4_PS7_PS2_
    .private_segment_fixed_size: 0
    .sgpr_count:     27
    .sgpr_spill_count: 0
    .symbol:         _ZN9rocsparseL42csr2bsr_wavefront_per_row_multipass_kernelILj256ELj64ELj8EillEEv20rocsparse_direction_T4_S2_S2_S2_S2_21rocsparse_index_base_PKT2_PKT3_PKS2_S3_PS4_PS7_PS2_.kd
    .uniform_work_group_size: 1
    .uses_dynamic_stack: false
    .vgpr_count:     46
    .vgpr_spill_count: 0
    .wavefront_size: 32
    .workgroup_processor_mode: 1
  - .args:
      - .offset:         0
        .size:           4
        .value_kind:     by_value
      - .offset:         8
        .size:           8
        .value_kind:     by_value
      - .offset:         16
        .size:           8
        .value_kind:     by_value
      - .offset:         24
        .size:           8
        .value_kind:     by_value
      - .offset:         32
        .size:           8
        .value_kind:     by_value
      - .offset:         40
        .size:           8
        .value_kind:     by_value
      - .offset:         48
        .size:           4
        .value_kind:     by_value
      - .actual_access:  read_only
        .address_space:  global
        .offset:         56
        .size:           8
        .value_kind:     global_buffer
      - .actual_access:  read_only
        .address_space:  global
        .offset:         64
        .size:           8
        .value_kind:     global_buffer
      - .actual_access:  read_only
        .address_space:  global
        .offset:         72
        .size:           8
        .value_kind:     global_buffer
      - .offset:         80
        .size:           4
        .value_kind:     by_value
      - .actual_access:  write_only
        .address_space:  global
        .offset:         88
        .size:           8
        .value_kind:     global_buffer
      - .actual_access:  read_only
        .address_space:  global
        .offset:         96
        .size:           8
        .value_kind:     global_buffer
      - .actual_access:  write_only
        .address_space:  global
        .offset:         104
        .size:           8
        .value_kind:     global_buffer
    .group_segment_fixed_size: 2056
    .kernarg_segment_align: 8
    .kernarg_segment_size: 112
    .language:       OpenCL C
    .language_version:
      - 2
      - 0
    .max_flat_workgroup_size: 256
    .name:           _ZN9rocsparseL42csr2bsr_wavefront_per_row_multipass_kernelILj256ELj32ELj8EillEEv20rocsparse_direction_T4_S2_S2_S2_S2_21rocsparse_index_base_PKT2_PKT3_PKS2_S3_PS4_PS7_PS2_
    .private_segment_fixed_size: 0
    .sgpr_count:     29
    .sgpr_spill_count: 0
    .symbol:         _ZN9rocsparseL42csr2bsr_wavefront_per_row_multipass_kernelILj256ELj32ELj8EillEEv20rocsparse_direction_T4_S2_S2_S2_S2_21rocsparse_index_base_PKT2_PKT3_PKS2_S3_PS4_PS7_PS2_.kd
    .uniform_work_group_size: 1
    .uses_dynamic_stack: false
    .vgpr_count:     51
    .vgpr_spill_count: 0
    .wavefront_size: 32
    .workgroup_processor_mode: 1
  - .args:
      - .offset:         0
        .size:           4
        .value_kind:     by_value
      - .offset:         8
        .size:           8
        .value_kind:     by_value
      - .offset:         16
        .size:           8
        .value_kind:     by_value
      - .offset:         24
        .size:           8
        .value_kind:     by_value
      - .offset:         32
        .size:           8
        .value_kind:     by_value
      - .offset:         40
        .size:           8
        .value_kind:     by_value
      - .offset:         48
        .size:           4
        .value_kind:     by_value
      - .actual_access:  read_only
        .address_space:  global
        .offset:         56
        .size:           8
        .value_kind:     global_buffer
      - .actual_access:  read_only
        .address_space:  global
        .offset:         64
        .size:           8
        .value_kind:     global_buffer
      - .actual_access:  read_only
        .address_space:  global
        .offset:         72
        .size:           8
        .value_kind:     global_buffer
      - .offset:         80
        .size:           4
        .value_kind:     by_value
      - .actual_access:  write_only
        .address_space:  global
        .offset:         88
        .size:           8
        .value_kind:     global_buffer
      - .actual_access:  read_only
        .address_space:  global
        .offset:         96
        .size:           8
        .value_kind:     global_buffer
      - .actual_access:  write_only
        .address_space:  global
        .offset:         104
        .size:           8
        .value_kind:     global_buffer
    .group_segment_fixed_size: 4100
    .kernarg_segment_align: 8
    .kernarg_segment_size: 112
    .language:       OpenCL C
    .language_version:
      - 2
      - 0
    .max_flat_workgroup_size: 256
    .name:           _ZN9rocsparseL42csr2bsr_wavefront_per_row_multipass_kernelILj256ELj64ELj16EillEEv20rocsparse_direction_T4_S2_S2_S2_S2_21rocsparse_index_base_PKT2_PKT3_PKS2_S3_PS4_PS7_PS2_
    .private_segment_fixed_size: 0
    .sgpr_count:     31
    .sgpr_spill_count: 0
    .symbol:         _ZN9rocsparseL42csr2bsr_wavefront_per_row_multipass_kernelILj256ELj64ELj16EillEEv20rocsparse_direction_T4_S2_S2_S2_S2_21rocsparse_index_base_PKT2_PKT3_PKS2_S3_PS4_PS7_PS2_.kd
    .uniform_work_group_size: 1
    .uses_dynamic_stack: false
    .vgpr_count:     56
    .vgpr_spill_count: 0
    .wavefront_size: 32
    .workgroup_processor_mode: 1
  - .args:
      - .offset:         0
        .size:           4
        .value_kind:     by_value
      - .offset:         8
        .size:           8
        .value_kind:     by_value
      - .offset:         16
        .size:           8
        .value_kind:     by_value
      - .offset:         24
        .size:           8
        .value_kind:     by_value
      - .offset:         32
        .size:           8
        .value_kind:     by_value
      - .offset:         40
        .size:           8
        .value_kind:     by_value
      - .offset:         48
        .size:           4
        .value_kind:     by_value
      - .actual_access:  read_only
        .address_space:  global
        .offset:         56
        .size:           8
        .value_kind:     global_buffer
      - .actual_access:  read_only
        .address_space:  global
        .offset:         64
        .size:           8
        .value_kind:     global_buffer
      - .actual_access:  read_only
        .address_space:  global
        .offset:         72
        .size:           8
        .value_kind:     global_buffer
      - .offset:         80
        .size:           4
        .value_kind:     by_value
      - .actual_access:  write_only
        .address_space:  global
        .offset:         88
        .size:           8
        .value_kind:     global_buffer
      - .actual_access:  read_only
        .address_space:  global
        .offset:         96
        .size:           8
        .value_kind:     global_buffer
      - .actual_access:  write_only
        .address_space:  global
        .offset:         104
        .size:           8
        .value_kind:     global_buffer
    .group_segment_fixed_size: 8200
    .kernarg_segment_align: 8
    .kernarg_segment_size: 112
    .language:       OpenCL C
    .language_version:
      - 2
      - 0
    .max_flat_workgroup_size: 256
    .name:           _ZN9rocsparseL42csr2bsr_wavefront_per_row_multipass_kernelILj256ELj32ELj16EillEEv20rocsparse_direction_T4_S2_S2_S2_S2_21rocsparse_index_base_PKT2_PKT3_PKS2_S3_PS4_PS7_PS2_
    .private_segment_fixed_size: 0
    .sgpr_count:     36
    .sgpr_spill_count: 0
    .symbol:         _ZN9rocsparseL42csr2bsr_wavefront_per_row_multipass_kernelILj256ELj32ELj16EillEEv20rocsparse_direction_T4_S2_S2_S2_S2_21rocsparse_index_base_PKT2_PKT3_PKS2_S3_PS4_PS7_PS2_.kd
    .uniform_work_group_size: 1
    .uses_dynamic_stack: false
    .vgpr_count:     63
    .vgpr_spill_count: 0
    .wavefront_size: 32
    .workgroup_processor_mode: 1
  - .args:
      - .offset:         0
        .size:           4
        .value_kind:     by_value
      - .offset:         8
        .size:           8
        .value_kind:     by_value
      - .offset:         16
        .size:           8
        .value_kind:     by_value
      - .offset:         24
        .size:           8
        .value_kind:     by_value
      - .offset:         32
        .size:           8
        .value_kind:     by_value
      - .offset:         40
        .size:           8
        .value_kind:     by_value
      - .offset:         48
        .size:           4
        .value_kind:     by_value
      - .actual_access:  read_only
        .address_space:  global
        .offset:         56
        .size:           8
        .value_kind:     global_buffer
      - .actual_access:  read_only
        .address_space:  global
        .offset:         64
        .size:           8
        .value_kind:     global_buffer
      - .actual_access:  read_only
        .address_space:  global
        .offset:         72
        .size:           8
        .value_kind:     global_buffer
      - .offset:         80
        .size:           4
        .value_kind:     by_value
      - .actual_access:  write_only
        .address_space:  global
        .offset:         88
        .size:           8
        .value_kind:     global_buffer
      - .actual_access:  read_only
        .address_space:  global
        .offset:         96
        .size:           8
        .value_kind:     global_buffer
      - .actual_access:  write_only
        .address_space:  global
        .offset:         104
        .size:           8
        .value_kind:     global_buffer
    .group_segment_fixed_size: 4100
    .kernarg_segment_align: 8
    .kernarg_segment_size: 112
    .language:       OpenCL C
    .language_version:
      - 2
      - 0
    .max_flat_workgroup_size: 256
    .name:           _ZN9rocsparseL38csr2bsr_block_per_row_multipass_kernelILj256ELj32EillEEv20rocsparse_direction_T3_S2_S2_S2_S2_21rocsparse_index_base_PKT1_PKT2_PKS2_S3_PS4_PS7_PS2_
    .private_segment_fixed_size: 0
    .sgpr_count:     43
    .sgpr_spill_count: 0
    .symbol:         _ZN9rocsparseL38csr2bsr_block_per_row_multipass_kernelILj256ELj32EillEEv20rocsparse_direction_T3_S2_S2_S2_S2_21rocsparse_index_base_PKT1_PKT2_PKS2_S3_PS4_PS7_PS2_.kd
    .uniform_work_group_size: 1
    .uses_dynamic_stack: false
    .vgpr_count:     47
    .vgpr_spill_count: 0
    .wavefront_size: 32
    .workgroup_processor_mode: 1
  - .args:
      - .offset:         0
        .size:           4
        .value_kind:     by_value
      - .offset:         8
        .size:           8
        .value_kind:     by_value
      - .offset:         16
        .size:           8
        .value_kind:     by_value
      - .offset:         24
        .size:           8
        .value_kind:     by_value
      - .offset:         32
        .size:           8
        .value_kind:     by_value
      - .offset:         40
        .size:           8
        .value_kind:     by_value
      - .offset:         48
        .size:           4
        .value_kind:     by_value
      - .actual_access:  read_only
        .address_space:  global
        .offset:         56
        .size:           8
        .value_kind:     global_buffer
      - .actual_access:  read_only
        .address_space:  global
        .offset:         64
        .size:           8
        .value_kind:     global_buffer
      - .actual_access:  read_only
        .address_space:  global
        .offset:         72
        .size:           8
        .value_kind:     global_buffer
      - .offset:         80
        .size:           4
        .value_kind:     by_value
      - .actual_access:  write_only
        .address_space:  global
        .offset:         88
        .size:           8
        .value_kind:     global_buffer
      - .actual_access:  read_only
        .address_space:  global
        .offset:         96
        .size:           8
        .value_kind:     global_buffer
      - .actual_access:  write_only
        .address_space:  global
        .offset:         104
        .size:           8
        .value_kind:     global_buffer
    .group_segment_fixed_size: 16388
    .kernarg_segment_align: 8
    .kernarg_segment_size: 112
    .language:       OpenCL C
    .language_version:
      - 2
      - 0
    .max_flat_workgroup_size: 256
    .name:           _ZN9rocsparseL38csr2bsr_block_per_row_multipass_kernelILj256ELj64EillEEv20rocsparse_direction_T3_S2_S2_S2_S2_21rocsparse_index_base_PKT1_PKT2_PKS2_S3_PS4_PS7_PS2_
    .private_segment_fixed_size: 0
    .sgpr_count:     55
    .sgpr_spill_count: 0
    .symbol:         _ZN9rocsparseL38csr2bsr_block_per_row_multipass_kernelILj256ELj64EillEEv20rocsparse_direction_T3_S2_S2_S2_S2_21rocsparse_index_base_PKT1_PKT2_PKS2_S3_PS4_PS7_PS2_.kd
    .uniform_work_group_size: 1
    .uses_dynamic_stack: false
    .vgpr_count:     70
    .vgpr_spill_count: 0
    .wavefront_size: 32
    .workgroup_processor_mode: 1
  - .args:
      - .offset:         0
        .size:           4
        .value_kind:     by_value
      - .offset:         8
        .size:           8
        .value_kind:     by_value
      - .offset:         16
        .size:           8
        .value_kind:     by_value
      - .offset:         24
        .size:           8
        .value_kind:     by_value
      - .offset:         32
        .size:           8
        .value_kind:     by_value
      - .offset:         40
        .size:           8
        .value_kind:     by_value
      - .offset:         48
        .size:           8
        .value_kind:     by_value
      - .offset:         56
        .size:           4
        .value_kind:     by_value
      - .actual_access:  read_only
        .address_space:  global
        .offset:         64
        .size:           8
        .value_kind:     global_buffer
      - .actual_access:  read_only
        .address_space:  global
        .offset:         72
        .size:           8
        .value_kind:     global_buffer
      - .actual_access:  read_only
        .address_space:  global
        .offset:         80
        .size:           8
        .value_kind:     global_buffer
      - .offset:         88
        .size:           4
        .value_kind:     by_value
      - .actual_access:  write_only
        .address_space:  global
        .offset:         96
        .size:           8
        .value_kind:     global_buffer
      - .actual_access:  read_only
        .address_space:  global
        .offset:         104
        .size:           8
        .value_kind:     global_buffer
      - .actual_access:  write_only
        .address_space:  global
        .offset:         112
        .size:           8
        .value_kind:     global_buffer
      - .address_space:  global
        .offset:         120
        .size:           8
        .value_kind:     global_buffer
      - .address_space:  global
        .offset:         128
        .size:           8
        .value_kind:     global_buffer
      - .address_space:  global
        .offset:         136
        .size:           8
        .value_kind:     global_buffer
    .group_segment_fixed_size: 0
    .kernarg_segment_align: 8
    .kernarg_segment_size: 144
    .language:       OpenCL C
    .language_version:
      - 2
      - 0
    .max_flat_workgroup_size: 32
    .name:           _ZN9rocsparseL21csr2bsr_65_inf_kernelILj32EillEEv20rocsparse_direction_T2_S2_S2_S2_S2_S2_21rocsparse_index_base_PKT0_PKT1_PKS2_S3_PS4_PS7_PS2_SD_SE_SC_
    .private_segment_fixed_size: 0
    .sgpr_count:     39
    .sgpr_spill_count: 0
    .symbol:         _ZN9rocsparseL21csr2bsr_65_inf_kernelILj32EillEEv20rocsparse_direction_T2_S2_S2_S2_S2_S2_21rocsparse_index_base_PKT0_PKT1_PKS2_S3_PS4_PS7_PS2_SD_SE_SC_.kd
    .uniform_work_group_size: 1
    .uses_dynamic_stack: false
    .vgpr_count:     52
    .vgpr_spill_count: 0
    .wavefront_size: 32
    .workgroup_processor_mode: 1
  - .args:
      - .offset:         0
        .size:           4
        .value_kind:     by_value
      - .offset:         4
        .size:           4
        .value_kind:     by_value
      - .offset:         8
        .size:           4
        .value_kind:     by_value
      - .offset:         12
        .size:           4
        .value_kind:     by_value
      - .offset:         16
        .size:           4
        .value_kind:     by_value
      - .address_space:  global
        .offset:         24
        .size:           8
        .value_kind:     global_buffer
      - .address_space:  global
        .offset:         32
        .size:           8
        .value_kind:     global_buffer
      - .address_space:  global
        .offset:         40
        .size:           8
        .value_kind:     global_buffer
      - .offset:         48
        .size:           4
        .value_kind:     by_value
      - .address_space:  global
        .offset:         56
        .size:           8
        .value_kind:     global_buffer
      - .address_space:  global
        .offset:         64
        .size:           8
        .value_kind:     global_buffer
      - .address_space:  global
        .offset:         72
        .size:           8
        .value_kind:     global_buffer
      - .offset:         80
        .size:           4
        .value_kind:     hidden_block_count_x
      - .offset:         84
        .size:           4
        .value_kind:     hidden_block_count_y
      - .offset:         88
        .size:           4
        .value_kind:     hidden_block_count_z
      - .offset:         92
        .size:           2
        .value_kind:     hidden_group_size_x
      - .offset:         94
        .size:           2
        .value_kind:     hidden_group_size_y
      - .offset:         96
        .size:           2
        .value_kind:     hidden_group_size_z
      - .offset:         98
        .size:           2
        .value_kind:     hidden_remainder_x
      - .offset:         100
        .size:           2
        .value_kind:     hidden_remainder_y
      - .offset:         102
        .size:           2
        .value_kind:     hidden_remainder_z
      - .offset:         120
        .size:           8
        .value_kind:     hidden_global_offset_x
      - .offset:         128
        .size:           8
        .value_kind:     hidden_global_offset_y
      - .offset:         136
        .size:           8
        .value_kind:     hidden_global_offset_z
      - .offset:         144
        .size:           2
        .value_kind:     hidden_grid_dims
    .group_segment_fixed_size: 0
    .kernarg_segment_align: 8
    .kernarg_segment_size: 336
    .language:       OpenCL C
    .language_version:
      - 2
      - 0
    .max_flat_workgroup_size: 256
    .name:           _ZN9rocsparseL35csr2bsr_block_dim_equals_one_kernelILj256EfiiEEvT2_S1_S1_S1_21rocsparse_index_base_PKT0_PKT1_PKS1_S2_PS3_PS6_PS1_
    .private_segment_fixed_size: 0
    .sgpr_count:     18
    .sgpr_spill_count: 0
    .symbol:         _ZN9rocsparseL35csr2bsr_block_dim_equals_one_kernelILj256EfiiEEvT2_S1_S1_S1_21rocsparse_index_base_PKT0_PKT1_PKS1_S2_PS3_PS6_PS1_.kd
    .uniform_work_group_size: 1
    .uses_dynamic_stack: false
    .vgpr_count:     7
    .vgpr_spill_count: 0
    .wavefront_size: 32
    .workgroup_processor_mode: 1
  - .args:
      - .offset:         0
        .size:           4
        .value_kind:     by_value
      - .offset:         4
        .size:           4
        .value_kind:     by_value
      - .offset:         8
        .size:           4
        .value_kind:     by_value
      - .offset:         12
        .size:           4
        .value_kind:     by_value
      - .offset:         16
        .size:           4
        .value_kind:     by_value
      - .offset:         20
        .size:           4
        .value_kind:     by_value
      - .offset:         24
        .size:           4
        .value_kind:     by_value
      - .actual_access:  read_only
        .address_space:  global
        .offset:         32
        .size:           8
        .value_kind:     global_buffer
      - .actual_access:  read_only
        .address_space:  global
        .offset:         40
        .size:           8
        .value_kind:     global_buffer
      - .actual_access:  read_only
        .address_space:  global
        .offset:         48
        .size:           8
        .value_kind:     global_buffer
      - .offset:         56
        .size:           4
        .value_kind:     by_value
      - .actual_access:  write_only
        .address_space:  global
        .offset:         64
        .size:           8
        .value_kind:     global_buffer
      - .actual_access:  read_only
        .address_space:  global
        .offset:         72
        .size:           8
        .value_kind:     global_buffer
      - .actual_access:  write_only
        .address_space:  global
        .offset:         80
        .size:           8
        .value_kind:     global_buffer
    .group_segment_fixed_size: 1040
    .kernarg_segment_align: 8
    .kernarg_segment_size: 88
    .language:       OpenCL C
    .language_version:
      - 2
      - 0
    .max_flat_workgroup_size: 256
    .name:           _ZN9rocsparseL42csr2bsr_wavefront_per_row_multipass_kernelILj256ELj16ELj4EfiiEEv20rocsparse_direction_T4_S2_S2_S2_S2_21rocsparse_index_base_PKT2_PKT3_PKS2_S3_PS4_PS7_PS2_
    .private_segment_fixed_size: 0
    .sgpr_count:     22
    .sgpr_spill_count: 0
    .symbol:         _ZN9rocsparseL42csr2bsr_wavefront_per_row_multipass_kernelILj256ELj16ELj4EfiiEEv20rocsparse_direction_T4_S2_S2_S2_S2_21rocsparse_index_base_PKT2_PKT3_PKS2_S3_PS4_PS7_PS2_.kd
    .uniform_work_group_size: 1
    .uses_dynamic_stack: false
    .vgpr_count:     29
    .vgpr_spill_count: 0
    .wavefront_size: 32
    .workgroup_processor_mode: 1
  - .args:
      - .offset:         0
        .size:           4
        .value_kind:     by_value
      - .offset:         4
        .size:           4
        .value_kind:     by_value
      - .offset:         8
        .size:           4
        .value_kind:     by_value
      - .offset:         12
        .size:           4
        .value_kind:     by_value
      - .offset:         16
        .size:           4
        .value_kind:     by_value
      - .offset:         20
        .size:           4
        .value_kind:     by_value
      - .offset:         24
        .size:           4
        .value_kind:     by_value
      - .actual_access:  read_only
        .address_space:  global
        .offset:         32
        .size:           8
        .value_kind:     global_buffer
      - .actual_access:  read_only
        .address_space:  global
        .offset:         40
        .size:           8
        .value_kind:     global_buffer
      - .actual_access:  read_only
        .address_space:  global
        .offset:         48
        .size:           8
        .value_kind:     global_buffer
      - .offset:         56
        .size:           4
        .value_kind:     by_value
      - .actual_access:  write_only
        .address_space:  global
        .offset:         64
        .size:           8
        .value_kind:     global_buffer
      - .actual_access:  read_only
        .address_space:  global
        .offset:         72
        .size:           8
        .value_kind:     global_buffer
      - .actual_access:  write_only
        .address_space:  global
        .offset:         80
        .size:           8
        .value_kind:     global_buffer
    .group_segment_fixed_size: 1028
    .kernarg_segment_align: 8
    .kernarg_segment_size: 88
    .language:       OpenCL C
    .language_version:
      - 2
      - 0
    .max_flat_workgroup_size: 256
    .name:           _ZN9rocsparseL42csr2bsr_wavefront_per_row_multipass_kernelILj256ELj64ELj8EfiiEEv20rocsparse_direction_T4_S2_S2_S2_S2_21rocsparse_index_base_PKT2_PKT3_PKS2_S3_PS4_PS7_PS2_
    .private_segment_fixed_size: 0
    .sgpr_count:     22
    .sgpr_spill_count: 0
    .symbol:         _ZN9rocsparseL42csr2bsr_wavefront_per_row_multipass_kernelILj256ELj64ELj8EfiiEEv20rocsparse_direction_T4_S2_S2_S2_S2_21rocsparse_index_base_PKT2_PKT3_PKS2_S3_PS4_PS7_PS2_.kd
    .uniform_work_group_size: 1
    .uses_dynamic_stack: false
    .vgpr_count:     31
    .vgpr_spill_count: 0
    .wavefront_size: 32
    .workgroup_processor_mode: 1
  - .args:
      - .offset:         0
        .size:           4
        .value_kind:     by_value
      - .offset:         4
        .size:           4
        .value_kind:     by_value
      - .offset:         8
        .size:           4
        .value_kind:     by_value
      - .offset:         12
        .size:           4
        .value_kind:     by_value
      - .offset:         16
        .size:           4
        .value_kind:     by_value
      - .offset:         20
        .size:           4
        .value_kind:     by_value
      - .offset:         24
        .size:           4
        .value_kind:     by_value
      - .actual_access:  read_only
        .address_space:  global
        .offset:         32
        .size:           8
        .value_kind:     global_buffer
      - .actual_access:  read_only
        .address_space:  global
        .offset:         40
        .size:           8
        .value_kind:     global_buffer
      - .actual_access:  read_only
        .address_space:  global
        .offset:         48
        .size:           8
        .value_kind:     global_buffer
      - .offset:         56
        .size:           4
        .value_kind:     by_value
      - .actual_access:  write_only
        .address_space:  global
        .offset:         64
        .size:           8
        .value_kind:     global_buffer
      - .actual_access:  read_only
        .address_space:  global
        .offset:         72
        .size:           8
        .value_kind:     global_buffer
      - .actual_access:  write_only
        .address_space:  global
        .offset:         80
        .size:           8
        .value_kind:     global_buffer
    .group_segment_fixed_size: 2056
    .kernarg_segment_align: 8
    .kernarg_segment_size: 88
    .language:       OpenCL C
    .language_version:
      - 2
      - 0
    .max_flat_workgroup_size: 256
    .name:           _ZN9rocsparseL42csr2bsr_wavefront_per_row_multipass_kernelILj256ELj32ELj8EfiiEEv20rocsparse_direction_T4_S2_S2_S2_S2_21rocsparse_index_base_PKT2_PKT3_PKS2_S3_PS4_PS7_PS2_
    .private_segment_fixed_size: 0
    .sgpr_count:     24
    .sgpr_spill_count: 0
    .symbol:         _ZN9rocsparseL42csr2bsr_wavefront_per_row_multipass_kernelILj256ELj32ELj8EfiiEEv20rocsparse_direction_T4_S2_S2_S2_S2_21rocsparse_index_base_PKT2_PKT3_PKS2_S3_PS4_PS7_PS2_.kd
    .uniform_work_group_size: 1
    .uses_dynamic_stack: false
    .vgpr_count:     37
    .vgpr_spill_count: 0
    .wavefront_size: 32
    .workgroup_processor_mode: 1
  - .args:
      - .offset:         0
        .size:           4
        .value_kind:     by_value
      - .offset:         4
        .size:           4
        .value_kind:     by_value
      - .offset:         8
        .size:           4
        .value_kind:     by_value
      - .offset:         12
        .size:           4
        .value_kind:     by_value
      - .offset:         16
        .size:           4
        .value_kind:     by_value
      - .offset:         20
        .size:           4
        .value_kind:     by_value
      - .offset:         24
        .size:           4
        .value_kind:     by_value
      - .actual_access:  read_only
        .address_space:  global
        .offset:         32
        .size:           8
        .value_kind:     global_buffer
      - .actual_access:  read_only
        .address_space:  global
        .offset:         40
        .size:           8
        .value_kind:     global_buffer
      - .actual_access:  read_only
        .address_space:  global
        .offset:         48
        .size:           8
        .value_kind:     global_buffer
      - .offset:         56
        .size:           4
        .value_kind:     by_value
      - .actual_access:  write_only
        .address_space:  global
        .offset:         64
        .size:           8
        .value_kind:     global_buffer
      - .actual_access:  read_only
        .address_space:  global
        .offset:         72
        .size:           8
        .value_kind:     global_buffer
      - .actual_access:  write_only
        .address_space:  global
        .offset:         80
        .size:           8
        .value_kind:     global_buffer
    .group_segment_fixed_size: 4100
    .kernarg_segment_align: 8
    .kernarg_segment_size: 88
    .language:       OpenCL C
    .language_version:
      - 2
      - 0
    .max_flat_workgroup_size: 256
    .name:           _ZN9rocsparseL42csr2bsr_wavefront_per_row_multipass_kernelILj256ELj64ELj16EfiiEEv20rocsparse_direction_T4_S2_S2_S2_S2_21rocsparse_index_base_PKT2_PKT3_PKS2_S3_PS4_PS7_PS2_
    .private_segment_fixed_size: 0
    .sgpr_count:     26
    .sgpr_spill_count: 0
    .symbol:         _ZN9rocsparseL42csr2bsr_wavefront_per_row_multipass_kernelILj256ELj64ELj16EfiiEEv20rocsparse_direction_T4_S2_S2_S2_S2_21rocsparse_index_base_PKT2_PKT3_PKS2_S3_PS4_PS7_PS2_.kd
    .uniform_work_group_size: 1
    .uses_dynamic_stack: false
    .vgpr_count:     42
    .vgpr_spill_count: 0
    .wavefront_size: 32
    .workgroup_processor_mode: 1
  - .args:
      - .offset:         0
        .size:           4
        .value_kind:     by_value
      - .offset:         4
        .size:           4
        .value_kind:     by_value
      - .offset:         8
        .size:           4
        .value_kind:     by_value
      - .offset:         12
        .size:           4
        .value_kind:     by_value
      - .offset:         16
        .size:           4
        .value_kind:     by_value
      - .offset:         20
        .size:           4
        .value_kind:     by_value
      - .offset:         24
        .size:           4
        .value_kind:     by_value
      - .actual_access:  read_only
        .address_space:  global
        .offset:         32
        .size:           8
        .value_kind:     global_buffer
      - .actual_access:  read_only
        .address_space:  global
        .offset:         40
        .size:           8
        .value_kind:     global_buffer
      - .actual_access:  read_only
        .address_space:  global
        .offset:         48
        .size:           8
        .value_kind:     global_buffer
      - .offset:         56
        .size:           4
        .value_kind:     by_value
      - .actual_access:  write_only
        .address_space:  global
        .offset:         64
        .size:           8
        .value_kind:     global_buffer
      - .actual_access:  read_only
        .address_space:  global
        .offset:         72
        .size:           8
        .value_kind:     global_buffer
      - .actual_access:  write_only
        .address_space:  global
        .offset:         80
        .size:           8
        .value_kind:     global_buffer
    .group_segment_fixed_size: 8200
    .kernarg_segment_align: 8
    .kernarg_segment_size: 88
    .language:       OpenCL C
    .language_version:
      - 2
      - 0
    .max_flat_workgroup_size: 256
    .name:           _ZN9rocsparseL42csr2bsr_wavefront_per_row_multipass_kernelILj256ELj32ELj16EfiiEEv20rocsparse_direction_T4_S2_S2_S2_S2_21rocsparse_index_base_PKT2_PKT3_PKS2_S3_PS4_PS7_PS2_
    .private_segment_fixed_size: 0
    .sgpr_count:     30
    .sgpr_spill_count: 0
    .symbol:         _ZN9rocsparseL42csr2bsr_wavefront_per_row_multipass_kernelILj256ELj32ELj16EfiiEEv20rocsparse_direction_T4_S2_S2_S2_S2_21rocsparse_index_base_PKT2_PKT3_PKS2_S3_PS4_PS7_PS2_.kd
    .uniform_work_group_size: 1
    .uses_dynamic_stack: false
    .vgpr_count:     48
    .vgpr_spill_count: 0
    .wavefront_size: 32
    .workgroup_processor_mode: 1
  - .args:
      - .offset:         0
        .size:           4
        .value_kind:     by_value
      - .offset:         4
        .size:           4
        .value_kind:     by_value
      - .offset:         8
        .size:           4
        .value_kind:     by_value
      - .offset:         12
        .size:           4
        .value_kind:     by_value
      - .offset:         16
        .size:           4
        .value_kind:     by_value
      - .offset:         20
        .size:           4
        .value_kind:     by_value
      - .offset:         24
        .size:           4
        .value_kind:     by_value
      - .actual_access:  read_only
        .address_space:  global
        .offset:         32
        .size:           8
        .value_kind:     global_buffer
      - .actual_access:  read_only
        .address_space:  global
        .offset:         40
        .size:           8
        .value_kind:     global_buffer
      - .actual_access:  read_only
        .address_space:  global
        .offset:         48
        .size:           8
        .value_kind:     global_buffer
      - .offset:         56
        .size:           4
        .value_kind:     by_value
      - .actual_access:  write_only
        .address_space:  global
        .offset:         64
        .size:           8
        .value_kind:     global_buffer
      - .actual_access:  read_only
        .address_space:  global
        .offset:         72
        .size:           8
        .value_kind:     global_buffer
      - .actual_access:  write_only
        .address_space:  global
        .offset:         80
        .size:           8
        .value_kind:     global_buffer
    .group_segment_fixed_size: 4100
    .kernarg_segment_align: 8
    .kernarg_segment_size: 88
    .language:       OpenCL C
    .language_version:
      - 2
      - 0
    .max_flat_workgroup_size: 256
    .name:           _ZN9rocsparseL38csr2bsr_block_per_row_multipass_kernelILj256ELj32EfiiEEv20rocsparse_direction_T3_S2_S2_S2_S2_21rocsparse_index_base_PKT1_PKT2_PKS2_S3_PS4_PS7_PS2_
    .private_segment_fixed_size: 0
    .sgpr_count:     40
    .sgpr_spill_count: 0
    .symbol:         _ZN9rocsparseL38csr2bsr_block_per_row_multipass_kernelILj256ELj32EfiiEEv20rocsparse_direction_T3_S2_S2_S2_S2_21rocsparse_index_base_PKT1_PKT2_PKS2_S3_PS4_PS7_PS2_.kd
    .uniform_work_group_size: 1
    .uses_dynamic_stack: false
    .vgpr_count:     36
    .vgpr_spill_count: 0
    .wavefront_size: 32
    .workgroup_processor_mode: 1
  - .args:
      - .offset:         0
        .size:           4
        .value_kind:     by_value
      - .offset:         4
        .size:           4
        .value_kind:     by_value
      - .offset:         8
        .size:           4
        .value_kind:     by_value
      - .offset:         12
        .size:           4
        .value_kind:     by_value
      - .offset:         16
        .size:           4
        .value_kind:     by_value
      - .offset:         20
        .size:           4
        .value_kind:     by_value
      - .offset:         24
        .size:           4
        .value_kind:     by_value
      - .actual_access:  read_only
        .address_space:  global
        .offset:         32
        .size:           8
        .value_kind:     global_buffer
      - .actual_access:  read_only
        .address_space:  global
        .offset:         40
        .size:           8
        .value_kind:     global_buffer
      - .actual_access:  read_only
        .address_space:  global
        .offset:         48
        .size:           8
        .value_kind:     global_buffer
      - .offset:         56
        .size:           4
        .value_kind:     by_value
      - .actual_access:  write_only
        .address_space:  global
        .offset:         64
        .size:           8
        .value_kind:     global_buffer
      - .actual_access:  read_only
        .address_space:  global
        .offset:         72
        .size:           8
        .value_kind:     global_buffer
      - .actual_access:  write_only
        .address_space:  global
        .offset:         80
        .size:           8
        .value_kind:     global_buffer
    .group_segment_fixed_size: 16388
    .kernarg_segment_align: 8
    .kernarg_segment_size: 88
    .language:       OpenCL C
    .language_version:
      - 2
      - 0
    .max_flat_workgroup_size: 256
    .name:           _ZN9rocsparseL38csr2bsr_block_per_row_multipass_kernelILj256ELj64EfiiEEv20rocsparse_direction_T3_S2_S2_S2_S2_21rocsparse_index_base_PKT1_PKT2_PKS2_S3_PS4_PS7_PS2_
    .private_segment_fixed_size: 0
    .sgpr_count:     50
    .sgpr_spill_count: 0
    .symbol:         _ZN9rocsparseL38csr2bsr_block_per_row_multipass_kernelILj256ELj64EfiiEEv20rocsparse_direction_T3_S2_S2_S2_S2_21rocsparse_index_base_PKT1_PKT2_PKS2_S3_PS4_PS7_PS2_.kd
    .uniform_work_group_size: 1
    .uses_dynamic_stack: false
    .vgpr_count:     59
    .vgpr_spill_count: 0
    .wavefront_size: 32
    .workgroup_processor_mode: 1
  - .args:
      - .offset:         0
        .size:           4
        .value_kind:     by_value
      - .offset:         4
        .size:           4
        .value_kind:     by_value
      - .offset:         8
        .size:           4
        .value_kind:     by_value
      - .offset:         12
        .size:           4
        .value_kind:     by_value
      - .offset:         16
        .size:           4
        .value_kind:     by_value
      - .offset:         20
        .size:           4
        .value_kind:     by_value
      - .offset:         24
        .size:           4
        .value_kind:     by_value
      - .offset:         28
        .size:           4
        .value_kind:     by_value
      - .actual_access:  read_only
        .address_space:  global
        .offset:         32
        .size:           8
        .value_kind:     global_buffer
      - .actual_access:  read_only
        .address_space:  global
        .offset:         40
        .size:           8
        .value_kind:     global_buffer
      - .actual_access:  read_only
        .address_space:  global
        .offset:         48
        .size:           8
        .value_kind:     global_buffer
      - .offset:         56
        .size:           4
        .value_kind:     by_value
      - .actual_access:  write_only
        .address_space:  global
        .offset:         64
        .size:           8
        .value_kind:     global_buffer
      - .actual_access:  read_only
        .address_space:  global
        .offset:         72
        .size:           8
        .value_kind:     global_buffer
      - .actual_access:  write_only
        .address_space:  global
        .offset:         80
        .size:           8
        .value_kind:     global_buffer
      - .address_space:  global
        .offset:         88
        .size:           8
        .value_kind:     global_buffer
      - .address_space:  global
        .offset:         96
        .size:           8
        .value_kind:     global_buffer
      - .address_space:  global
        .offset:         104
        .size:           8
        .value_kind:     global_buffer
    .group_segment_fixed_size: 0
    .kernarg_segment_align: 8
    .kernarg_segment_size: 112
    .language:       OpenCL C
    .language_version:
      - 2
      - 0
    .max_flat_workgroup_size: 32
    .name:           _ZN9rocsparseL21csr2bsr_65_inf_kernelILj32EfiiEEv20rocsparse_direction_T2_S2_S2_S2_S2_S2_21rocsparse_index_base_PKT0_PKT1_PKS2_S3_PS4_PS7_PS2_SD_SE_SC_
    .private_segment_fixed_size: 0
    .sgpr_count:     36
    .sgpr_spill_count: 0
    .symbol:         _ZN9rocsparseL21csr2bsr_65_inf_kernelILj32EfiiEEv20rocsparse_direction_T2_S2_S2_S2_S2_S2_21rocsparse_index_base_PKT0_PKT1_PKS2_S3_PS4_PS7_PS2_SD_SE_SC_.kd
    .uniform_work_group_size: 1
    .uses_dynamic_stack: false
    .vgpr_count:     39
    .vgpr_spill_count: 0
    .wavefront_size: 32
    .workgroup_processor_mode: 1
  - .args:
      - .offset:         0
        .size:           4
        .value_kind:     by_value
      - .offset:         4
        .size:           4
        .value_kind:     by_value
      - .offset:         8
        .size:           4
        .value_kind:     by_value
      - .offset:         12
        .size:           4
        .value_kind:     by_value
      - .offset:         16
        .size:           4
        .value_kind:     by_value
      - .address_space:  global
        .offset:         24
        .size:           8
        .value_kind:     global_buffer
      - .address_space:  global
        .offset:         32
        .size:           8
        .value_kind:     global_buffer
      - .address_space:  global
        .offset:         40
        .size:           8
        .value_kind:     global_buffer
      - .offset:         48
        .size:           4
        .value_kind:     by_value
      - .address_space:  global
        .offset:         56
        .size:           8
        .value_kind:     global_buffer
      - .address_space:  global
        .offset:         64
        .size:           8
        .value_kind:     global_buffer
      - .address_space:  global
        .offset:         72
        .size:           8
        .value_kind:     global_buffer
      - .offset:         80
        .size:           4
        .value_kind:     hidden_block_count_x
      - .offset:         84
        .size:           4
        .value_kind:     hidden_block_count_y
      - .offset:         88
        .size:           4
        .value_kind:     hidden_block_count_z
      - .offset:         92
        .size:           2
        .value_kind:     hidden_group_size_x
      - .offset:         94
        .size:           2
        .value_kind:     hidden_group_size_y
      - .offset:         96
        .size:           2
        .value_kind:     hidden_group_size_z
      - .offset:         98
        .size:           2
        .value_kind:     hidden_remainder_x
      - .offset:         100
        .size:           2
        .value_kind:     hidden_remainder_y
      - .offset:         102
        .size:           2
        .value_kind:     hidden_remainder_z
      - .offset:         120
        .size:           8
        .value_kind:     hidden_global_offset_x
      - .offset:         128
        .size:           8
        .value_kind:     hidden_global_offset_y
      - .offset:         136
        .size:           8
        .value_kind:     hidden_global_offset_z
      - .offset:         144
        .size:           2
        .value_kind:     hidden_grid_dims
    .group_segment_fixed_size: 0
    .kernarg_segment_align: 8
    .kernarg_segment_size: 336
    .language:       OpenCL C
    .language_version:
      - 2
      - 0
    .max_flat_workgroup_size: 256
    .name:           _ZN9rocsparseL35csr2bsr_block_dim_equals_one_kernelILj256EfliEEvT2_S1_S1_S1_21rocsparse_index_base_PKT0_PKT1_PKS1_S2_PS3_PS6_PS1_
    .private_segment_fixed_size: 0
    .sgpr_count:     18
    .sgpr_spill_count: 0
    .symbol:         _ZN9rocsparseL35csr2bsr_block_dim_equals_one_kernelILj256EfliEEvT2_S1_S1_S1_21rocsparse_index_base_PKT0_PKT1_PKS1_S2_PS3_PS6_PS1_.kd
    .uniform_work_group_size: 1
    .uses_dynamic_stack: false
    .vgpr_count:     10
    .vgpr_spill_count: 0
    .wavefront_size: 32
    .workgroup_processor_mode: 1
  - .args:
      - .offset:         0
        .size:           4
        .value_kind:     by_value
      - .offset:         4
        .size:           4
        .value_kind:     by_value
      - .offset:         8
        .size:           4
        .value_kind:     by_value
      - .offset:         12
        .size:           4
        .value_kind:     by_value
      - .offset:         16
        .size:           4
        .value_kind:     by_value
      - .offset:         20
        .size:           4
        .value_kind:     by_value
      - .offset:         24
        .size:           4
        .value_kind:     by_value
      - .actual_access:  read_only
        .address_space:  global
        .offset:         32
        .size:           8
        .value_kind:     global_buffer
      - .actual_access:  read_only
        .address_space:  global
        .offset:         40
        .size:           8
        .value_kind:     global_buffer
      - .actual_access:  read_only
        .address_space:  global
        .offset:         48
        .size:           8
        .value_kind:     global_buffer
      - .offset:         56
        .size:           4
        .value_kind:     by_value
      - .actual_access:  write_only
        .address_space:  global
        .offset:         64
        .size:           8
        .value_kind:     global_buffer
      - .actual_access:  read_only
        .address_space:  global
        .offset:         72
        .size:           8
        .value_kind:     global_buffer
      - .actual_access:  write_only
        .address_space:  global
        .offset:         80
        .size:           8
        .value_kind:     global_buffer
    .group_segment_fixed_size: 1040
    .kernarg_segment_align: 8
    .kernarg_segment_size: 88
    .language:       OpenCL C
    .language_version:
      - 2
      - 0
    .max_flat_workgroup_size: 256
    .name:           _ZN9rocsparseL42csr2bsr_wavefront_per_row_multipass_kernelILj256ELj16ELj4EfliEEv20rocsparse_direction_T4_S2_S2_S2_S2_21rocsparse_index_base_PKT2_PKT3_PKS2_S3_PS4_PS7_PS2_
    .private_segment_fixed_size: 0
    .sgpr_count:     22
    .sgpr_spill_count: 0
    .symbol:         _ZN9rocsparseL42csr2bsr_wavefront_per_row_multipass_kernelILj256ELj16ELj4EfliEEv20rocsparse_direction_T4_S2_S2_S2_S2_21rocsparse_index_base_PKT2_PKT3_PKS2_S3_PS4_PS7_PS2_.kd
    .uniform_work_group_size: 1
    .uses_dynamic_stack: false
    .vgpr_count:     35
    .vgpr_spill_count: 0
    .wavefront_size: 32
    .workgroup_processor_mode: 1
  - .args:
      - .offset:         0
        .size:           4
        .value_kind:     by_value
      - .offset:         4
        .size:           4
        .value_kind:     by_value
      - .offset:         8
        .size:           4
        .value_kind:     by_value
      - .offset:         12
        .size:           4
        .value_kind:     by_value
      - .offset:         16
        .size:           4
        .value_kind:     by_value
      - .offset:         20
        .size:           4
        .value_kind:     by_value
      - .offset:         24
        .size:           4
        .value_kind:     by_value
      - .actual_access:  read_only
        .address_space:  global
        .offset:         32
        .size:           8
        .value_kind:     global_buffer
      - .actual_access:  read_only
        .address_space:  global
        .offset:         40
        .size:           8
        .value_kind:     global_buffer
      - .actual_access:  read_only
        .address_space:  global
        .offset:         48
        .size:           8
        .value_kind:     global_buffer
      - .offset:         56
        .size:           4
        .value_kind:     by_value
      - .actual_access:  write_only
        .address_space:  global
        .offset:         64
        .size:           8
        .value_kind:     global_buffer
      - .actual_access:  read_only
        .address_space:  global
        .offset:         72
        .size:           8
        .value_kind:     global_buffer
      - .actual_access:  write_only
        .address_space:  global
        .offset:         80
        .size:           8
        .value_kind:     global_buffer
    .group_segment_fixed_size: 1028
    .kernarg_segment_align: 8
    .kernarg_segment_size: 88
    .language:       OpenCL C
    .language_version:
      - 2
      - 0
    .max_flat_workgroup_size: 256
    .name:           _ZN9rocsparseL42csr2bsr_wavefront_per_row_multipass_kernelILj256ELj64ELj8EfliEEv20rocsparse_direction_T4_S2_S2_S2_S2_21rocsparse_index_base_PKT2_PKT3_PKS2_S3_PS4_PS7_PS2_
    .private_segment_fixed_size: 0
    .sgpr_count:     22
    .sgpr_spill_count: 0
    .symbol:         _ZN9rocsparseL42csr2bsr_wavefront_per_row_multipass_kernelILj256ELj64ELj8EfliEEv20rocsparse_direction_T4_S2_S2_S2_S2_21rocsparse_index_base_PKT2_PKT3_PKS2_S3_PS4_PS7_PS2_.kd
    .uniform_work_group_size: 1
    .uses_dynamic_stack: false
    .vgpr_count:     37
    .vgpr_spill_count: 0
    .wavefront_size: 32
    .workgroup_processor_mode: 1
  - .args:
      - .offset:         0
        .size:           4
        .value_kind:     by_value
      - .offset:         4
        .size:           4
        .value_kind:     by_value
      - .offset:         8
        .size:           4
        .value_kind:     by_value
      - .offset:         12
        .size:           4
        .value_kind:     by_value
      - .offset:         16
        .size:           4
        .value_kind:     by_value
      - .offset:         20
        .size:           4
        .value_kind:     by_value
      - .offset:         24
        .size:           4
        .value_kind:     by_value
      - .actual_access:  read_only
        .address_space:  global
        .offset:         32
        .size:           8
        .value_kind:     global_buffer
      - .actual_access:  read_only
        .address_space:  global
        .offset:         40
        .size:           8
        .value_kind:     global_buffer
      - .actual_access:  read_only
        .address_space:  global
        .offset:         48
        .size:           8
        .value_kind:     global_buffer
      - .offset:         56
        .size:           4
        .value_kind:     by_value
      - .actual_access:  write_only
        .address_space:  global
        .offset:         64
        .size:           8
        .value_kind:     global_buffer
      - .actual_access:  read_only
        .address_space:  global
        .offset:         72
        .size:           8
        .value_kind:     global_buffer
      - .actual_access:  write_only
        .address_space:  global
        .offset:         80
        .size:           8
        .value_kind:     global_buffer
    .group_segment_fixed_size: 2056
    .kernarg_segment_align: 8
    .kernarg_segment_size: 88
    .language:       OpenCL C
    .language_version:
      - 2
      - 0
    .max_flat_workgroup_size: 256
    .name:           _ZN9rocsparseL42csr2bsr_wavefront_per_row_multipass_kernelILj256ELj32ELj8EfliEEv20rocsparse_direction_T4_S2_S2_S2_S2_21rocsparse_index_base_PKT2_PKT3_PKS2_S3_PS4_PS7_PS2_
    .private_segment_fixed_size: 0
    .sgpr_count:     24
    .sgpr_spill_count: 0
    .symbol:         _ZN9rocsparseL42csr2bsr_wavefront_per_row_multipass_kernelILj256ELj32ELj8EfliEEv20rocsparse_direction_T4_S2_S2_S2_S2_21rocsparse_index_base_PKT2_PKT3_PKS2_S3_PS4_PS7_PS2_.kd
    .uniform_work_group_size: 1
    .uses_dynamic_stack: false
    .vgpr_count:     42
    .vgpr_spill_count: 0
    .wavefront_size: 32
    .workgroup_processor_mode: 1
  - .args:
      - .offset:         0
        .size:           4
        .value_kind:     by_value
      - .offset:         4
        .size:           4
        .value_kind:     by_value
      - .offset:         8
        .size:           4
        .value_kind:     by_value
      - .offset:         12
        .size:           4
        .value_kind:     by_value
      - .offset:         16
        .size:           4
        .value_kind:     by_value
      - .offset:         20
        .size:           4
        .value_kind:     by_value
      - .offset:         24
        .size:           4
        .value_kind:     by_value
      - .actual_access:  read_only
        .address_space:  global
        .offset:         32
        .size:           8
        .value_kind:     global_buffer
      - .actual_access:  read_only
        .address_space:  global
        .offset:         40
        .size:           8
        .value_kind:     global_buffer
      - .actual_access:  read_only
        .address_space:  global
        .offset:         48
        .size:           8
        .value_kind:     global_buffer
      - .offset:         56
        .size:           4
        .value_kind:     by_value
      - .actual_access:  write_only
        .address_space:  global
        .offset:         64
        .size:           8
        .value_kind:     global_buffer
      - .actual_access:  read_only
        .address_space:  global
        .offset:         72
        .size:           8
        .value_kind:     global_buffer
      - .actual_access:  write_only
        .address_space:  global
        .offset:         80
        .size:           8
        .value_kind:     global_buffer
    .group_segment_fixed_size: 4100
    .kernarg_segment_align: 8
    .kernarg_segment_size: 88
    .language:       OpenCL C
    .language_version:
      - 2
      - 0
    .max_flat_workgroup_size: 256
    .name:           _ZN9rocsparseL42csr2bsr_wavefront_per_row_multipass_kernelILj256ELj64ELj16EfliEEv20rocsparse_direction_T4_S2_S2_S2_S2_21rocsparse_index_base_PKT2_PKT3_PKS2_S3_PS4_PS7_PS2_
    .private_segment_fixed_size: 0
    .sgpr_count:     26
    .sgpr_spill_count: 0
    .symbol:         _ZN9rocsparseL42csr2bsr_wavefront_per_row_multipass_kernelILj256ELj64ELj16EfliEEv20rocsparse_direction_T4_S2_S2_S2_S2_21rocsparse_index_base_PKT2_PKT3_PKS2_S3_PS4_PS7_PS2_.kd
    .uniform_work_group_size: 1
    .uses_dynamic_stack: false
    .vgpr_count:     47
    .vgpr_spill_count: 0
    .wavefront_size: 32
    .workgroup_processor_mode: 1
  - .args:
      - .offset:         0
        .size:           4
        .value_kind:     by_value
      - .offset:         4
        .size:           4
        .value_kind:     by_value
      - .offset:         8
        .size:           4
        .value_kind:     by_value
      - .offset:         12
        .size:           4
        .value_kind:     by_value
      - .offset:         16
        .size:           4
        .value_kind:     by_value
      - .offset:         20
        .size:           4
        .value_kind:     by_value
      - .offset:         24
        .size:           4
        .value_kind:     by_value
      - .actual_access:  read_only
        .address_space:  global
        .offset:         32
        .size:           8
        .value_kind:     global_buffer
      - .actual_access:  read_only
        .address_space:  global
        .offset:         40
        .size:           8
        .value_kind:     global_buffer
      - .actual_access:  read_only
        .address_space:  global
        .offset:         48
        .size:           8
        .value_kind:     global_buffer
      - .offset:         56
        .size:           4
        .value_kind:     by_value
      - .actual_access:  write_only
        .address_space:  global
        .offset:         64
        .size:           8
        .value_kind:     global_buffer
      - .actual_access:  read_only
        .address_space:  global
        .offset:         72
        .size:           8
        .value_kind:     global_buffer
      - .actual_access:  write_only
        .address_space:  global
        .offset:         80
        .size:           8
        .value_kind:     global_buffer
    .group_segment_fixed_size: 8200
    .kernarg_segment_align: 8
    .kernarg_segment_size: 88
    .language:       OpenCL C
    .language_version:
      - 2
      - 0
    .max_flat_workgroup_size: 256
    .name:           _ZN9rocsparseL42csr2bsr_wavefront_per_row_multipass_kernelILj256ELj32ELj16EfliEEv20rocsparse_direction_T4_S2_S2_S2_S2_21rocsparse_index_base_PKT2_PKT3_PKS2_S3_PS4_PS7_PS2_
    .private_segment_fixed_size: 0
    .sgpr_count:     30
    .sgpr_spill_count: 0
    .symbol:         _ZN9rocsparseL42csr2bsr_wavefront_per_row_multipass_kernelILj256ELj32ELj16EfliEEv20rocsparse_direction_T4_S2_S2_S2_S2_21rocsparse_index_base_PKT2_PKT3_PKS2_S3_PS4_PS7_PS2_.kd
    .uniform_work_group_size: 1
    .uses_dynamic_stack: false
    .vgpr_count:     54
    .vgpr_spill_count: 0
    .wavefront_size: 32
    .workgroup_processor_mode: 1
  - .args:
      - .offset:         0
        .size:           4
        .value_kind:     by_value
      - .offset:         4
        .size:           4
        .value_kind:     by_value
      - .offset:         8
        .size:           4
        .value_kind:     by_value
      - .offset:         12
        .size:           4
        .value_kind:     by_value
      - .offset:         16
        .size:           4
        .value_kind:     by_value
      - .offset:         20
        .size:           4
        .value_kind:     by_value
      - .offset:         24
        .size:           4
        .value_kind:     by_value
      - .actual_access:  read_only
        .address_space:  global
        .offset:         32
        .size:           8
        .value_kind:     global_buffer
      - .actual_access:  read_only
        .address_space:  global
        .offset:         40
        .size:           8
        .value_kind:     global_buffer
      - .actual_access:  read_only
        .address_space:  global
        .offset:         48
        .size:           8
        .value_kind:     global_buffer
      - .offset:         56
        .size:           4
        .value_kind:     by_value
      - .actual_access:  write_only
        .address_space:  global
        .offset:         64
        .size:           8
        .value_kind:     global_buffer
      - .actual_access:  read_only
        .address_space:  global
        .offset:         72
        .size:           8
        .value_kind:     global_buffer
      - .actual_access:  write_only
        .address_space:  global
        .offset:         80
        .size:           8
        .value_kind:     global_buffer
    .group_segment_fixed_size: 4100
    .kernarg_segment_align: 8
    .kernarg_segment_size: 88
    .language:       OpenCL C
    .language_version:
      - 2
      - 0
    .max_flat_workgroup_size: 256
    .name:           _ZN9rocsparseL38csr2bsr_block_per_row_multipass_kernelILj256ELj32EfliEEv20rocsparse_direction_T3_S2_S2_S2_S2_21rocsparse_index_base_PKT1_PKT2_PKS2_S3_PS4_PS7_PS2_
    .private_segment_fixed_size: 0
    .sgpr_count:     38
    .sgpr_spill_count: 0
    .symbol:         _ZN9rocsparseL38csr2bsr_block_per_row_multipass_kernelILj256ELj32EfliEEv20rocsparse_direction_T3_S2_S2_S2_S2_21rocsparse_index_base_PKT1_PKT2_PKS2_S3_PS4_PS7_PS2_.kd
    .uniform_work_group_size: 1
    .uses_dynamic_stack: false
    .vgpr_count:     41
    .vgpr_spill_count: 0
    .wavefront_size: 32
    .workgroup_processor_mode: 1
  - .args:
      - .offset:         0
        .size:           4
        .value_kind:     by_value
      - .offset:         4
        .size:           4
        .value_kind:     by_value
      - .offset:         8
        .size:           4
        .value_kind:     by_value
      - .offset:         12
        .size:           4
        .value_kind:     by_value
      - .offset:         16
        .size:           4
        .value_kind:     by_value
      - .offset:         20
        .size:           4
        .value_kind:     by_value
      - .offset:         24
        .size:           4
        .value_kind:     by_value
      - .actual_access:  read_only
        .address_space:  global
        .offset:         32
        .size:           8
        .value_kind:     global_buffer
      - .actual_access:  read_only
        .address_space:  global
        .offset:         40
        .size:           8
        .value_kind:     global_buffer
      - .actual_access:  read_only
        .address_space:  global
        .offset:         48
        .size:           8
        .value_kind:     global_buffer
      - .offset:         56
        .size:           4
        .value_kind:     by_value
      - .actual_access:  write_only
        .address_space:  global
        .offset:         64
        .size:           8
        .value_kind:     global_buffer
      - .actual_access:  read_only
        .address_space:  global
        .offset:         72
        .size:           8
        .value_kind:     global_buffer
      - .actual_access:  write_only
        .address_space:  global
        .offset:         80
        .size:           8
        .value_kind:     global_buffer
    .group_segment_fixed_size: 16388
    .kernarg_segment_align: 8
    .kernarg_segment_size: 88
    .language:       OpenCL C
    .language_version:
      - 2
      - 0
    .max_flat_workgroup_size: 256
    .name:           _ZN9rocsparseL38csr2bsr_block_per_row_multipass_kernelILj256ELj64EfliEEv20rocsparse_direction_T3_S2_S2_S2_S2_21rocsparse_index_base_PKT1_PKT2_PKS2_S3_PS4_PS7_PS2_
    .private_segment_fixed_size: 0
    .sgpr_count:     50
    .sgpr_spill_count: 0
    .symbol:         _ZN9rocsparseL38csr2bsr_block_per_row_multipass_kernelILj256ELj64EfliEEv20rocsparse_direction_T3_S2_S2_S2_S2_21rocsparse_index_base_PKT1_PKT2_PKS2_S3_PS4_PS7_PS2_.kd
    .uniform_work_group_size: 1
    .uses_dynamic_stack: false
    .vgpr_count:     64
    .vgpr_spill_count: 0
    .wavefront_size: 32
    .workgroup_processor_mode: 1
  - .args:
      - .offset:         0
        .size:           4
        .value_kind:     by_value
      - .offset:         4
        .size:           4
        .value_kind:     by_value
      - .offset:         8
        .size:           4
        .value_kind:     by_value
      - .offset:         12
        .size:           4
        .value_kind:     by_value
      - .offset:         16
        .size:           4
        .value_kind:     by_value
      - .offset:         20
        .size:           4
        .value_kind:     by_value
      - .offset:         24
        .size:           4
        .value_kind:     by_value
      - .offset:         28
        .size:           4
        .value_kind:     by_value
      - .actual_access:  read_only
        .address_space:  global
        .offset:         32
        .size:           8
        .value_kind:     global_buffer
      - .actual_access:  read_only
        .address_space:  global
        .offset:         40
        .size:           8
        .value_kind:     global_buffer
      - .actual_access:  read_only
        .address_space:  global
        .offset:         48
        .size:           8
        .value_kind:     global_buffer
      - .offset:         56
        .size:           4
        .value_kind:     by_value
      - .actual_access:  write_only
        .address_space:  global
        .offset:         64
        .size:           8
        .value_kind:     global_buffer
      - .actual_access:  read_only
        .address_space:  global
        .offset:         72
        .size:           8
        .value_kind:     global_buffer
      - .actual_access:  write_only
        .address_space:  global
        .offset:         80
        .size:           8
        .value_kind:     global_buffer
      - .address_space:  global
        .offset:         88
        .size:           8
        .value_kind:     global_buffer
      - .address_space:  global
        .offset:         96
        .size:           8
        .value_kind:     global_buffer
      - .address_space:  global
        .offset:         104
        .size:           8
        .value_kind:     global_buffer
    .group_segment_fixed_size: 0
    .kernarg_segment_align: 8
    .kernarg_segment_size: 112
    .language:       OpenCL C
    .language_version:
      - 2
      - 0
    .max_flat_workgroup_size: 32
    .name:           _ZN9rocsparseL21csr2bsr_65_inf_kernelILj32EfliEEv20rocsparse_direction_T2_S2_S2_S2_S2_S2_21rocsparse_index_base_PKT0_PKT1_PKS2_S3_PS4_PS7_PS2_SD_SE_SC_
    .private_segment_fixed_size: 0
    .sgpr_count:     36
    .sgpr_spill_count: 0
    .symbol:         _ZN9rocsparseL21csr2bsr_65_inf_kernelILj32EfliEEv20rocsparse_direction_T2_S2_S2_S2_S2_S2_21rocsparse_index_base_PKT0_PKT1_PKS2_S3_PS4_PS7_PS2_SD_SE_SC_.kd
    .uniform_work_group_size: 1
    .uses_dynamic_stack: false
    .vgpr_count:     39
    .vgpr_spill_count: 0
    .wavefront_size: 32
    .workgroup_processor_mode: 1
  - .args:
      - .offset:         0
        .size:           8
        .value_kind:     by_value
      - .offset:         8
        .size:           8
        .value_kind:     by_value
      - .offset:         16
        .size:           8
        .value_kind:     by_value
      - .offset:         24
        .size:           8
        .value_kind:     by_value
      - .offset:         32
        .size:           4
        .value_kind:     by_value
      - .address_space:  global
        .offset:         40
        .size:           8
        .value_kind:     global_buffer
      - .address_space:  global
        .offset:         48
        .size:           8
        .value_kind:     global_buffer
      - .address_space:  global
        .offset:         56
        .size:           8
        .value_kind:     global_buffer
      - .offset:         64
        .size:           4
        .value_kind:     by_value
      - .address_space:  global
        .offset:         72
        .size:           8
        .value_kind:     global_buffer
      - .address_space:  global
        .offset:         80
        .size:           8
        .value_kind:     global_buffer
      - .address_space:  global
        .offset:         88
        .size:           8
        .value_kind:     global_buffer
      - .offset:         96
        .size:           4
        .value_kind:     hidden_block_count_x
      - .offset:         100
        .size:           4
        .value_kind:     hidden_block_count_y
      - .offset:         104
        .size:           4
        .value_kind:     hidden_block_count_z
      - .offset:         108
        .size:           2
        .value_kind:     hidden_group_size_x
      - .offset:         110
        .size:           2
        .value_kind:     hidden_group_size_y
      - .offset:         112
        .size:           2
        .value_kind:     hidden_group_size_z
      - .offset:         114
        .size:           2
        .value_kind:     hidden_remainder_x
      - .offset:         116
        .size:           2
        .value_kind:     hidden_remainder_y
      - .offset:         118
        .size:           2
        .value_kind:     hidden_remainder_z
      - .offset:         136
        .size:           8
        .value_kind:     hidden_global_offset_x
      - .offset:         144
        .size:           8
        .value_kind:     hidden_global_offset_y
      - .offset:         152
        .size:           8
        .value_kind:     hidden_global_offset_z
      - .offset:         160
        .size:           2
        .value_kind:     hidden_grid_dims
    .group_segment_fixed_size: 0
    .kernarg_segment_align: 8
    .kernarg_segment_size: 352
    .language:       OpenCL C
    .language_version:
      - 2
      - 0
    .max_flat_workgroup_size: 256
    .name:           _ZN9rocsparseL35csr2bsr_block_dim_equals_one_kernelILj256EfilEEvT2_S1_S1_S1_21rocsparse_index_base_PKT0_PKT1_PKS1_S2_PS3_PS6_PS1_
    .private_segment_fixed_size: 0
    .sgpr_count:     18
    .sgpr_spill_count: 0
    .symbol:         _ZN9rocsparseL35csr2bsr_block_dim_equals_one_kernelILj256EfilEEvT2_S1_S1_S1_21rocsparse_index_base_PKT0_PKT1_PKS1_S2_PS3_PS6_PS1_.kd
    .uniform_work_group_size: 1
    .uses_dynamic_stack: false
    .vgpr_count:     10
    .vgpr_spill_count: 0
    .wavefront_size: 32
    .workgroup_processor_mode: 1
  - .args:
      - .offset:         0
        .size:           4
        .value_kind:     by_value
      - .offset:         8
        .size:           8
        .value_kind:     by_value
      - .offset:         16
        .size:           8
        .value_kind:     by_value
      - .offset:         24
        .size:           8
        .value_kind:     by_value
      - .offset:         32
        .size:           8
        .value_kind:     by_value
      - .offset:         40
        .size:           8
        .value_kind:     by_value
      - .offset:         48
        .size:           4
        .value_kind:     by_value
      - .actual_access:  read_only
        .address_space:  global
        .offset:         56
        .size:           8
        .value_kind:     global_buffer
      - .actual_access:  read_only
        .address_space:  global
        .offset:         64
        .size:           8
        .value_kind:     global_buffer
      - .actual_access:  read_only
        .address_space:  global
        .offset:         72
        .size:           8
        .value_kind:     global_buffer
      - .offset:         80
        .size:           4
        .value_kind:     by_value
      - .actual_access:  write_only
        .address_space:  global
        .offset:         88
        .size:           8
        .value_kind:     global_buffer
      - .actual_access:  read_only
        .address_space:  global
        .offset:         96
        .size:           8
        .value_kind:     global_buffer
      - .actual_access:  write_only
        .address_space:  global
        .offset:         104
        .size:           8
        .value_kind:     global_buffer
    .group_segment_fixed_size: 1040
    .kernarg_segment_align: 8
    .kernarg_segment_size: 112
    .language:       OpenCL C
    .language_version:
      - 2
      - 0
    .max_flat_workgroup_size: 256
    .name:           _ZN9rocsparseL42csr2bsr_wavefront_per_row_multipass_kernelILj256ELj16ELj4EfilEEv20rocsparse_direction_T4_S2_S2_S2_S2_21rocsparse_index_base_PKT2_PKT3_PKS2_S3_PS4_PS7_PS2_
    .private_segment_fixed_size: 0
    .sgpr_count:     27
    .sgpr_spill_count: 0
    .symbol:         _ZN9rocsparseL42csr2bsr_wavefront_per_row_multipass_kernelILj256ELj16ELj4EfilEEv20rocsparse_direction_T4_S2_S2_S2_S2_21rocsparse_index_base_PKT2_PKT3_PKS2_S3_PS4_PS7_PS2_.kd
    .uniform_work_group_size: 1
    .uses_dynamic_stack: false
    .vgpr_count:     38
    .vgpr_spill_count: 0
    .wavefront_size: 32
    .workgroup_processor_mode: 1
  - .args:
      - .offset:         0
        .size:           4
        .value_kind:     by_value
      - .offset:         8
        .size:           8
        .value_kind:     by_value
      - .offset:         16
        .size:           8
        .value_kind:     by_value
      - .offset:         24
        .size:           8
        .value_kind:     by_value
      - .offset:         32
        .size:           8
        .value_kind:     by_value
      - .offset:         40
        .size:           8
        .value_kind:     by_value
      - .offset:         48
        .size:           4
        .value_kind:     by_value
      - .actual_access:  read_only
        .address_space:  global
        .offset:         56
        .size:           8
        .value_kind:     global_buffer
      - .actual_access:  read_only
        .address_space:  global
        .offset:         64
        .size:           8
        .value_kind:     global_buffer
      - .actual_access:  read_only
        .address_space:  global
        .offset:         72
        .size:           8
        .value_kind:     global_buffer
      - .offset:         80
        .size:           4
        .value_kind:     by_value
      - .actual_access:  write_only
        .address_space:  global
        .offset:         88
        .size:           8
        .value_kind:     global_buffer
      - .actual_access:  read_only
        .address_space:  global
        .offset:         96
        .size:           8
        .value_kind:     global_buffer
      - .actual_access:  write_only
        .address_space:  global
        .offset:         104
        .size:           8
        .value_kind:     global_buffer
    .group_segment_fixed_size: 1028
    .kernarg_segment_align: 8
    .kernarg_segment_size: 112
    .language:       OpenCL C
    .language_version:
      - 2
      - 0
    .max_flat_workgroup_size: 256
    .name:           _ZN9rocsparseL42csr2bsr_wavefront_per_row_multipass_kernelILj256ELj64ELj8EfilEEv20rocsparse_direction_T4_S2_S2_S2_S2_21rocsparse_index_base_PKT2_PKT3_PKS2_S3_PS4_PS7_PS2_
    .private_segment_fixed_size: 0
    .sgpr_count:     27
    .sgpr_spill_count: 0
    .symbol:         _ZN9rocsparseL42csr2bsr_wavefront_per_row_multipass_kernelILj256ELj64ELj8EfilEEv20rocsparse_direction_T4_S2_S2_S2_S2_21rocsparse_index_base_PKT2_PKT3_PKS2_S3_PS4_PS7_PS2_.kd
    .uniform_work_group_size: 1
    .uses_dynamic_stack: false
    .vgpr_count:     40
    .vgpr_spill_count: 0
    .wavefront_size: 32
    .workgroup_processor_mode: 1
  - .args:
      - .offset:         0
        .size:           4
        .value_kind:     by_value
      - .offset:         8
        .size:           8
        .value_kind:     by_value
      - .offset:         16
        .size:           8
        .value_kind:     by_value
      - .offset:         24
        .size:           8
        .value_kind:     by_value
      - .offset:         32
        .size:           8
        .value_kind:     by_value
      - .offset:         40
        .size:           8
        .value_kind:     by_value
      - .offset:         48
        .size:           4
        .value_kind:     by_value
      - .actual_access:  read_only
        .address_space:  global
        .offset:         56
        .size:           8
        .value_kind:     global_buffer
      - .actual_access:  read_only
        .address_space:  global
        .offset:         64
        .size:           8
        .value_kind:     global_buffer
      - .actual_access:  read_only
        .address_space:  global
        .offset:         72
        .size:           8
        .value_kind:     global_buffer
      - .offset:         80
        .size:           4
        .value_kind:     by_value
      - .actual_access:  write_only
        .address_space:  global
        .offset:         88
        .size:           8
        .value_kind:     global_buffer
      - .actual_access:  read_only
        .address_space:  global
        .offset:         96
        .size:           8
        .value_kind:     global_buffer
      - .actual_access:  write_only
        .address_space:  global
        .offset:         104
        .size:           8
        .value_kind:     global_buffer
    .group_segment_fixed_size: 2056
    .kernarg_segment_align: 8
    .kernarg_segment_size: 112
    .language:       OpenCL C
    .language_version:
      - 2
      - 0
    .max_flat_workgroup_size: 256
    .name:           _ZN9rocsparseL42csr2bsr_wavefront_per_row_multipass_kernelILj256ELj32ELj8EfilEEv20rocsparse_direction_T4_S2_S2_S2_S2_21rocsparse_index_base_PKT2_PKT3_PKS2_S3_PS4_PS7_PS2_
    .private_segment_fixed_size: 0
    .sgpr_count:     29
    .sgpr_spill_count: 0
    .symbol:         _ZN9rocsparseL42csr2bsr_wavefront_per_row_multipass_kernelILj256ELj32ELj8EfilEEv20rocsparse_direction_T4_S2_S2_S2_S2_21rocsparse_index_base_PKT2_PKT3_PKS2_S3_PS4_PS7_PS2_.kd
    .uniform_work_group_size: 1
    .uses_dynamic_stack: false
    .vgpr_count:     45
    .vgpr_spill_count: 0
    .wavefront_size: 32
    .workgroup_processor_mode: 1
  - .args:
      - .offset:         0
        .size:           4
        .value_kind:     by_value
      - .offset:         8
        .size:           8
        .value_kind:     by_value
      - .offset:         16
        .size:           8
        .value_kind:     by_value
      - .offset:         24
        .size:           8
        .value_kind:     by_value
      - .offset:         32
        .size:           8
        .value_kind:     by_value
      - .offset:         40
        .size:           8
        .value_kind:     by_value
      - .offset:         48
        .size:           4
        .value_kind:     by_value
      - .actual_access:  read_only
        .address_space:  global
        .offset:         56
        .size:           8
        .value_kind:     global_buffer
      - .actual_access:  read_only
        .address_space:  global
        .offset:         64
        .size:           8
        .value_kind:     global_buffer
      - .actual_access:  read_only
        .address_space:  global
        .offset:         72
        .size:           8
        .value_kind:     global_buffer
      - .offset:         80
        .size:           4
        .value_kind:     by_value
      - .actual_access:  write_only
        .address_space:  global
        .offset:         88
        .size:           8
        .value_kind:     global_buffer
      - .actual_access:  read_only
        .address_space:  global
        .offset:         96
        .size:           8
        .value_kind:     global_buffer
      - .actual_access:  write_only
        .address_space:  global
        .offset:         104
        .size:           8
        .value_kind:     global_buffer
    .group_segment_fixed_size: 4100
    .kernarg_segment_align: 8
    .kernarg_segment_size: 112
    .language:       OpenCL C
    .language_version:
      - 2
      - 0
    .max_flat_workgroup_size: 256
    .name:           _ZN9rocsparseL42csr2bsr_wavefront_per_row_multipass_kernelILj256ELj64ELj16EfilEEv20rocsparse_direction_T4_S2_S2_S2_S2_21rocsparse_index_base_PKT2_PKT3_PKS2_S3_PS4_PS7_PS2_
    .private_segment_fixed_size: 0
    .sgpr_count:     31
    .sgpr_spill_count: 0
    .symbol:         _ZN9rocsparseL42csr2bsr_wavefront_per_row_multipass_kernelILj256ELj64ELj16EfilEEv20rocsparse_direction_T4_S2_S2_S2_S2_21rocsparse_index_base_PKT2_PKT3_PKS2_S3_PS4_PS7_PS2_.kd
    .uniform_work_group_size: 1
    .uses_dynamic_stack: false
    .vgpr_count:     50
    .vgpr_spill_count: 0
    .wavefront_size: 32
    .workgroup_processor_mode: 1
  - .args:
      - .offset:         0
        .size:           4
        .value_kind:     by_value
      - .offset:         8
        .size:           8
        .value_kind:     by_value
      - .offset:         16
        .size:           8
        .value_kind:     by_value
      - .offset:         24
        .size:           8
        .value_kind:     by_value
      - .offset:         32
        .size:           8
        .value_kind:     by_value
      - .offset:         40
        .size:           8
        .value_kind:     by_value
      - .offset:         48
        .size:           4
        .value_kind:     by_value
      - .actual_access:  read_only
        .address_space:  global
        .offset:         56
        .size:           8
        .value_kind:     global_buffer
      - .actual_access:  read_only
        .address_space:  global
        .offset:         64
        .size:           8
        .value_kind:     global_buffer
      - .actual_access:  read_only
        .address_space:  global
        .offset:         72
        .size:           8
        .value_kind:     global_buffer
      - .offset:         80
        .size:           4
        .value_kind:     by_value
      - .actual_access:  write_only
        .address_space:  global
        .offset:         88
        .size:           8
        .value_kind:     global_buffer
      - .actual_access:  read_only
        .address_space:  global
        .offset:         96
        .size:           8
        .value_kind:     global_buffer
      - .actual_access:  write_only
        .address_space:  global
        .offset:         104
        .size:           8
        .value_kind:     global_buffer
    .group_segment_fixed_size: 8200
    .kernarg_segment_align: 8
    .kernarg_segment_size: 112
    .language:       OpenCL C
    .language_version:
      - 2
      - 0
    .max_flat_workgroup_size: 256
    .name:           _ZN9rocsparseL42csr2bsr_wavefront_per_row_multipass_kernelILj256ELj32ELj16EfilEEv20rocsparse_direction_T4_S2_S2_S2_S2_21rocsparse_index_base_PKT2_PKT3_PKS2_S3_PS4_PS7_PS2_
    .private_segment_fixed_size: 0
    .sgpr_count:     36
    .sgpr_spill_count: 0
    .symbol:         _ZN9rocsparseL42csr2bsr_wavefront_per_row_multipass_kernelILj256ELj32ELj16EfilEEv20rocsparse_direction_T4_S2_S2_S2_S2_21rocsparse_index_base_PKT2_PKT3_PKS2_S3_PS4_PS7_PS2_.kd
    .uniform_work_group_size: 1
    .uses_dynamic_stack: false
    .vgpr_count:     57
    .vgpr_spill_count: 0
    .wavefront_size: 32
    .workgroup_processor_mode: 1
  - .args:
      - .offset:         0
        .size:           4
        .value_kind:     by_value
      - .offset:         8
        .size:           8
        .value_kind:     by_value
      - .offset:         16
        .size:           8
        .value_kind:     by_value
      - .offset:         24
        .size:           8
        .value_kind:     by_value
      - .offset:         32
        .size:           8
        .value_kind:     by_value
      - .offset:         40
        .size:           8
        .value_kind:     by_value
      - .offset:         48
        .size:           4
        .value_kind:     by_value
      - .actual_access:  read_only
        .address_space:  global
        .offset:         56
        .size:           8
        .value_kind:     global_buffer
      - .actual_access:  read_only
        .address_space:  global
        .offset:         64
        .size:           8
        .value_kind:     global_buffer
      - .actual_access:  read_only
        .address_space:  global
        .offset:         72
        .size:           8
        .value_kind:     global_buffer
      - .offset:         80
        .size:           4
        .value_kind:     by_value
      - .actual_access:  write_only
        .address_space:  global
        .offset:         88
        .size:           8
        .value_kind:     global_buffer
      - .actual_access:  read_only
        .address_space:  global
        .offset:         96
        .size:           8
        .value_kind:     global_buffer
      - .actual_access:  write_only
        .address_space:  global
        .offset:         104
        .size:           8
        .value_kind:     global_buffer
    .group_segment_fixed_size: 4100
    .kernarg_segment_align: 8
    .kernarg_segment_size: 112
    .language:       OpenCL C
    .language_version:
      - 2
      - 0
    .max_flat_workgroup_size: 256
    .name:           _ZN9rocsparseL38csr2bsr_block_per_row_multipass_kernelILj256ELj32EfilEEv20rocsparse_direction_T3_S2_S2_S2_S2_21rocsparse_index_base_PKT1_PKT2_PKS2_S3_PS4_PS7_PS2_
    .private_segment_fixed_size: 0
    .sgpr_count:     42
    .sgpr_spill_count: 0
    .symbol:         _ZN9rocsparseL38csr2bsr_block_per_row_multipass_kernelILj256ELj32EfilEEv20rocsparse_direction_T3_S2_S2_S2_S2_21rocsparse_index_base_PKT1_PKT2_PKS2_S3_PS4_PS7_PS2_.kd
    .uniform_work_group_size: 1
    .uses_dynamic_stack: false
    .vgpr_count:     42
    .vgpr_spill_count: 0
    .wavefront_size: 32
    .workgroup_processor_mode: 1
  - .args:
      - .offset:         0
        .size:           4
        .value_kind:     by_value
      - .offset:         8
        .size:           8
        .value_kind:     by_value
      - .offset:         16
        .size:           8
        .value_kind:     by_value
      - .offset:         24
        .size:           8
        .value_kind:     by_value
      - .offset:         32
        .size:           8
        .value_kind:     by_value
      - .offset:         40
        .size:           8
        .value_kind:     by_value
      - .offset:         48
        .size:           4
        .value_kind:     by_value
      - .actual_access:  read_only
        .address_space:  global
        .offset:         56
        .size:           8
        .value_kind:     global_buffer
      - .actual_access:  read_only
        .address_space:  global
        .offset:         64
        .size:           8
        .value_kind:     global_buffer
      - .actual_access:  read_only
        .address_space:  global
        .offset:         72
        .size:           8
        .value_kind:     global_buffer
      - .offset:         80
        .size:           4
        .value_kind:     by_value
      - .actual_access:  write_only
        .address_space:  global
        .offset:         88
        .size:           8
        .value_kind:     global_buffer
      - .actual_access:  read_only
        .address_space:  global
        .offset:         96
        .size:           8
        .value_kind:     global_buffer
      - .actual_access:  write_only
        .address_space:  global
        .offset:         104
        .size:           8
        .value_kind:     global_buffer
    .group_segment_fixed_size: 16388
    .kernarg_segment_align: 8
    .kernarg_segment_size: 112
    .language:       OpenCL C
    .language_version:
      - 2
      - 0
    .max_flat_workgroup_size: 256
    .name:           _ZN9rocsparseL38csr2bsr_block_per_row_multipass_kernelILj256ELj64EfilEEv20rocsparse_direction_T3_S2_S2_S2_S2_21rocsparse_index_base_PKT1_PKT2_PKS2_S3_PS4_PS7_PS2_
    .private_segment_fixed_size: 0
    .sgpr_count:     54
    .sgpr_spill_count: 0
    .symbol:         _ZN9rocsparseL38csr2bsr_block_per_row_multipass_kernelILj256ELj64EfilEEv20rocsparse_direction_T3_S2_S2_S2_S2_21rocsparse_index_base_PKT1_PKT2_PKS2_S3_PS4_PS7_PS2_.kd
    .uniform_work_group_size: 1
    .uses_dynamic_stack: false
    .vgpr_count:     65
    .vgpr_spill_count: 0
    .wavefront_size: 32
    .workgroup_processor_mode: 1
  - .args:
      - .offset:         0
        .size:           4
        .value_kind:     by_value
      - .offset:         8
        .size:           8
        .value_kind:     by_value
      - .offset:         16
        .size:           8
        .value_kind:     by_value
      - .offset:         24
        .size:           8
        .value_kind:     by_value
      - .offset:         32
        .size:           8
        .value_kind:     by_value
      - .offset:         40
        .size:           8
        .value_kind:     by_value
      - .offset:         48
        .size:           8
        .value_kind:     by_value
      - .offset:         56
        .size:           4
        .value_kind:     by_value
      - .actual_access:  read_only
        .address_space:  global
        .offset:         64
        .size:           8
        .value_kind:     global_buffer
      - .actual_access:  read_only
        .address_space:  global
        .offset:         72
        .size:           8
        .value_kind:     global_buffer
      - .actual_access:  read_only
        .address_space:  global
        .offset:         80
        .size:           8
        .value_kind:     global_buffer
      - .offset:         88
        .size:           4
        .value_kind:     by_value
      - .actual_access:  write_only
        .address_space:  global
        .offset:         96
        .size:           8
        .value_kind:     global_buffer
      - .actual_access:  read_only
        .address_space:  global
        .offset:         104
        .size:           8
        .value_kind:     global_buffer
      - .actual_access:  write_only
        .address_space:  global
        .offset:         112
        .size:           8
        .value_kind:     global_buffer
      - .address_space:  global
        .offset:         120
        .size:           8
        .value_kind:     global_buffer
      - .address_space:  global
        .offset:         128
        .size:           8
        .value_kind:     global_buffer
      - .address_space:  global
        .offset:         136
        .size:           8
        .value_kind:     global_buffer
    .group_segment_fixed_size: 0
    .kernarg_segment_align: 8
    .kernarg_segment_size: 144
    .language:       OpenCL C
    .language_version:
      - 2
      - 0
    .max_flat_workgroup_size: 32
    .name:           _ZN9rocsparseL21csr2bsr_65_inf_kernelILj32EfilEEv20rocsparse_direction_T2_S2_S2_S2_S2_S2_21rocsparse_index_base_PKT0_PKT1_PKS2_S3_PS4_PS7_PS2_SD_SE_SC_
    .private_segment_fixed_size: 0
    .sgpr_count:     39
    .sgpr_spill_count: 0
    .symbol:         _ZN9rocsparseL21csr2bsr_65_inf_kernelILj32EfilEEv20rocsparse_direction_T2_S2_S2_S2_S2_S2_21rocsparse_index_base_PKT0_PKT1_PKS2_S3_PS4_PS7_PS2_SD_SE_SC_.kd
    .uniform_work_group_size: 1
    .uses_dynamic_stack: false
    .vgpr_count:     52
    .vgpr_spill_count: 0
    .wavefront_size: 32
    .workgroup_processor_mode: 1
  - .args:
      - .offset:         0
        .size:           8
        .value_kind:     by_value
      - .offset:         8
        .size:           8
        .value_kind:     by_value
      - .offset:         16
        .size:           8
        .value_kind:     by_value
      - .offset:         24
        .size:           8
        .value_kind:     by_value
      - .offset:         32
        .size:           4
        .value_kind:     by_value
      - .address_space:  global
        .offset:         40
        .size:           8
        .value_kind:     global_buffer
      - .address_space:  global
        .offset:         48
        .size:           8
        .value_kind:     global_buffer
      - .address_space:  global
        .offset:         56
        .size:           8
        .value_kind:     global_buffer
      - .offset:         64
        .size:           4
        .value_kind:     by_value
      - .address_space:  global
        .offset:         72
        .size:           8
        .value_kind:     global_buffer
      - .address_space:  global
        .offset:         80
        .size:           8
        .value_kind:     global_buffer
      - .address_space:  global
        .offset:         88
        .size:           8
        .value_kind:     global_buffer
      - .offset:         96
        .size:           4
        .value_kind:     hidden_block_count_x
      - .offset:         100
        .size:           4
        .value_kind:     hidden_block_count_y
      - .offset:         104
        .size:           4
        .value_kind:     hidden_block_count_z
      - .offset:         108
        .size:           2
        .value_kind:     hidden_group_size_x
      - .offset:         110
        .size:           2
        .value_kind:     hidden_group_size_y
      - .offset:         112
        .size:           2
        .value_kind:     hidden_group_size_z
      - .offset:         114
        .size:           2
        .value_kind:     hidden_remainder_x
      - .offset:         116
        .size:           2
        .value_kind:     hidden_remainder_y
      - .offset:         118
        .size:           2
        .value_kind:     hidden_remainder_z
      - .offset:         136
        .size:           8
        .value_kind:     hidden_global_offset_x
      - .offset:         144
        .size:           8
        .value_kind:     hidden_global_offset_y
      - .offset:         152
        .size:           8
        .value_kind:     hidden_global_offset_z
      - .offset:         160
        .size:           2
        .value_kind:     hidden_grid_dims
    .group_segment_fixed_size: 0
    .kernarg_segment_align: 8
    .kernarg_segment_size: 352
    .language:       OpenCL C
    .language_version:
      - 2
      - 0
    .max_flat_workgroup_size: 256
    .name:           _ZN9rocsparseL35csr2bsr_block_dim_equals_one_kernelILj256EfllEEvT2_S1_S1_S1_21rocsparse_index_base_PKT0_PKT1_PKS1_S2_PS3_PS6_PS1_
    .private_segment_fixed_size: 0
    .sgpr_count:     22
    .sgpr_spill_count: 0
    .symbol:         _ZN9rocsparseL35csr2bsr_block_dim_equals_one_kernelILj256EfllEEvT2_S1_S1_S1_21rocsparse_index_base_PKT0_PKT1_PKS1_S2_PS3_PS6_PS1_.kd
    .uniform_work_group_size: 1
    .uses_dynamic_stack: false
    .vgpr_count:     13
    .vgpr_spill_count: 0
    .wavefront_size: 32
    .workgroup_processor_mode: 1
  - .args:
      - .offset:         0
        .size:           4
        .value_kind:     by_value
      - .offset:         8
        .size:           8
        .value_kind:     by_value
      - .offset:         16
        .size:           8
        .value_kind:     by_value
      - .offset:         24
        .size:           8
        .value_kind:     by_value
      - .offset:         32
        .size:           8
        .value_kind:     by_value
      - .offset:         40
        .size:           8
        .value_kind:     by_value
      - .offset:         48
        .size:           4
        .value_kind:     by_value
      - .actual_access:  read_only
        .address_space:  global
        .offset:         56
        .size:           8
        .value_kind:     global_buffer
      - .actual_access:  read_only
        .address_space:  global
        .offset:         64
        .size:           8
        .value_kind:     global_buffer
      - .actual_access:  read_only
        .address_space:  global
        .offset:         72
        .size:           8
        .value_kind:     global_buffer
      - .offset:         80
        .size:           4
        .value_kind:     by_value
      - .actual_access:  write_only
        .address_space:  global
        .offset:         88
        .size:           8
        .value_kind:     global_buffer
      - .actual_access:  read_only
        .address_space:  global
        .offset:         96
        .size:           8
        .value_kind:     global_buffer
      - .actual_access:  write_only
        .address_space:  global
        .offset:         104
        .size:           8
        .value_kind:     global_buffer
    .group_segment_fixed_size: 1040
    .kernarg_segment_align: 8
    .kernarg_segment_size: 112
    .language:       OpenCL C
    .language_version:
      - 2
      - 0
    .max_flat_workgroup_size: 256
    .name:           _ZN9rocsparseL42csr2bsr_wavefront_per_row_multipass_kernelILj256ELj16ELj4EfllEEv20rocsparse_direction_T4_S2_S2_S2_S2_21rocsparse_index_base_PKT2_PKT3_PKS2_S3_PS4_PS7_PS2_
    .private_segment_fixed_size: 0
    .sgpr_count:     27
    .sgpr_spill_count: 0
    .symbol:         _ZN9rocsparseL42csr2bsr_wavefront_per_row_multipass_kernelILj256ELj16ELj4EfllEEv20rocsparse_direction_T4_S2_S2_S2_S2_21rocsparse_index_base_PKT2_PKT3_PKS2_S3_PS4_PS7_PS2_.kd
    .uniform_work_group_size: 1
    .uses_dynamic_stack: false
    .vgpr_count:     44
    .vgpr_spill_count: 0
    .wavefront_size: 32
    .workgroup_processor_mode: 1
  - .args:
      - .offset:         0
        .size:           4
        .value_kind:     by_value
      - .offset:         8
        .size:           8
        .value_kind:     by_value
      - .offset:         16
        .size:           8
        .value_kind:     by_value
      - .offset:         24
        .size:           8
        .value_kind:     by_value
      - .offset:         32
        .size:           8
        .value_kind:     by_value
      - .offset:         40
        .size:           8
        .value_kind:     by_value
      - .offset:         48
        .size:           4
        .value_kind:     by_value
      - .actual_access:  read_only
        .address_space:  global
        .offset:         56
        .size:           8
        .value_kind:     global_buffer
      - .actual_access:  read_only
        .address_space:  global
        .offset:         64
        .size:           8
        .value_kind:     global_buffer
      - .actual_access:  read_only
        .address_space:  global
        .offset:         72
        .size:           8
        .value_kind:     global_buffer
      - .offset:         80
        .size:           4
        .value_kind:     by_value
      - .actual_access:  write_only
        .address_space:  global
        .offset:         88
        .size:           8
        .value_kind:     global_buffer
      - .actual_access:  read_only
        .address_space:  global
        .offset:         96
        .size:           8
        .value_kind:     global_buffer
      - .actual_access:  write_only
        .address_space:  global
        .offset:         104
        .size:           8
        .value_kind:     global_buffer
    .group_segment_fixed_size: 1028
    .kernarg_segment_align: 8
    .kernarg_segment_size: 112
    .language:       OpenCL C
    .language_version:
      - 2
      - 0
    .max_flat_workgroup_size: 256
    .name:           _ZN9rocsparseL42csr2bsr_wavefront_per_row_multipass_kernelILj256ELj64ELj8EfllEEv20rocsparse_direction_T4_S2_S2_S2_S2_21rocsparse_index_base_PKT2_PKT3_PKS2_S3_PS4_PS7_PS2_
    .private_segment_fixed_size: 0
    .sgpr_count:     27
    .sgpr_spill_count: 0
    .symbol:         _ZN9rocsparseL42csr2bsr_wavefront_per_row_multipass_kernelILj256ELj64ELj8EfllEEv20rocsparse_direction_T4_S2_S2_S2_S2_21rocsparse_index_base_PKT2_PKT3_PKS2_S3_PS4_PS7_PS2_.kd
    .uniform_work_group_size: 1
    .uses_dynamic_stack: false
    .vgpr_count:     46
    .vgpr_spill_count: 0
    .wavefront_size: 32
    .workgroup_processor_mode: 1
  - .args:
      - .offset:         0
        .size:           4
        .value_kind:     by_value
      - .offset:         8
        .size:           8
        .value_kind:     by_value
      - .offset:         16
        .size:           8
        .value_kind:     by_value
      - .offset:         24
        .size:           8
        .value_kind:     by_value
      - .offset:         32
        .size:           8
        .value_kind:     by_value
      - .offset:         40
        .size:           8
        .value_kind:     by_value
      - .offset:         48
        .size:           4
        .value_kind:     by_value
      - .actual_access:  read_only
        .address_space:  global
        .offset:         56
        .size:           8
        .value_kind:     global_buffer
      - .actual_access:  read_only
        .address_space:  global
        .offset:         64
        .size:           8
        .value_kind:     global_buffer
      - .actual_access:  read_only
        .address_space:  global
        .offset:         72
        .size:           8
        .value_kind:     global_buffer
      - .offset:         80
        .size:           4
        .value_kind:     by_value
      - .actual_access:  write_only
        .address_space:  global
        .offset:         88
        .size:           8
        .value_kind:     global_buffer
      - .actual_access:  read_only
        .address_space:  global
        .offset:         96
        .size:           8
        .value_kind:     global_buffer
      - .actual_access:  write_only
        .address_space:  global
        .offset:         104
        .size:           8
        .value_kind:     global_buffer
    .group_segment_fixed_size: 2056
    .kernarg_segment_align: 8
    .kernarg_segment_size: 112
    .language:       OpenCL C
    .language_version:
      - 2
      - 0
    .max_flat_workgroup_size: 256
    .name:           _ZN9rocsparseL42csr2bsr_wavefront_per_row_multipass_kernelILj256ELj32ELj8EfllEEv20rocsparse_direction_T4_S2_S2_S2_S2_21rocsparse_index_base_PKT2_PKT3_PKS2_S3_PS4_PS7_PS2_
    .private_segment_fixed_size: 0
    .sgpr_count:     29
    .sgpr_spill_count: 0
    .symbol:         _ZN9rocsparseL42csr2bsr_wavefront_per_row_multipass_kernelILj256ELj32ELj8EfllEEv20rocsparse_direction_T4_S2_S2_S2_S2_21rocsparse_index_base_PKT2_PKT3_PKS2_S3_PS4_PS7_PS2_.kd
    .uniform_work_group_size: 1
    .uses_dynamic_stack: false
    .vgpr_count:     51
    .vgpr_spill_count: 0
    .wavefront_size: 32
    .workgroup_processor_mode: 1
  - .args:
      - .offset:         0
        .size:           4
        .value_kind:     by_value
      - .offset:         8
        .size:           8
        .value_kind:     by_value
      - .offset:         16
        .size:           8
        .value_kind:     by_value
      - .offset:         24
        .size:           8
        .value_kind:     by_value
      - .offset:         32
        .size:           8
        .value_kind:     by_value
      - .offset:         40
        .size:           8
        .value_kind:     by_value
      - .offset:         48
        .size:           4
        .value_kind:     by_value
      - .actual_access:  read_only
        .address_space:  global
        .offset:         56
        .size:           8
        .value_kind:     global_buffer
      - .actual_access:  read_only
        .address_space:  global
        .offset:         64
        .size:           8
        .value_kind:     global_buffer
      - .actual_access:  read_only
        .address_space:  global
        .offset:         72
        .size:           8
        .value_kind:     global_buffer
      - .offset:         80
        .size:           4
        .value_kind:     by_value
      - .actual_access:  write_only
        .address_space:  global
        .offset:         88
        .size:           8
        .value_kind:     global_buffer
      - .actual_access:  read_only
        .address_space:  global
        .offset:         96
        .size:           8
        .value_kind:     global_buffer
      - .actual_access:  write_only
        .address_space:  global
        .offset:         104
        .size:           8
        .value_kind:     global_buffer
    .group_segment_fixed_size: 4100
    .kernarg_segment_align: 8
    .kernarg_segment_size: 112
    .language:       OpenCL C
    .language_version:
      - 2
      - 0
    .max_flat_workgroup_size: 256
    .name:           _ZN9rocsparseL42csr2bsr_wavefront_per_row_multipass_kernelILj256ELj64ELj16EfllEEv20rocsparse_direction_T4_S2_S2_S2_S2_21rocsparse_index_base_PKT2_PKT3_PKS2_S3_PS4_PS7_PS2_
    .private_segment_fixed_size: 0
    .sgpr_count:     31
    .sgpr_spill_count: 0
    .symbol:         _ZN9rocsparseL42csr2bsr_wavefront_per_row_multipass_kernelILj256ELj64ELj16EfllEEv20rocsparse_direction_T4_S2_S2_S2_S2_21rocsparse_index_base_PKT2_PKT3_PKS2_S3_PS4_PS7_PS2_.kd
    .uniform_work_group_size: 1
    .uses_dynamic_stack: false
    .vgpr_count:     56
    .vgpr_spill_count: 0
    .wavefront_size: 32
    .workgroup_processor_mode: 1
  - .args:
      - .offset:         0
        .size:           4
        .value_kind:     by_value
      - .offset:         8
        .size:           8
        .value_kind:     by_value
      - .offset:         16
        .size:           8
        .value_kind:     by_value
      - .offset:         24
        .size:           8
        .value_kind:     by_value
      - .offset:         32
        .size:           8
        .value_kind:     by_value
      - .offset:         40
        .size:           8
        .value_kind:     by_value
      - .offset:         48
        .size:           4
        .value_kind:     by_value
      - .actual_access:  read_only
        .address_space:  global
        .offset:         56
        .size:           8
        .value_kind:     global_buffer
      - .actual_access:  read_only
        .address_space:  global
        .offset:         64
        .size:           8
        .value_kind:     global_buffer
      - .actual_access:  read_only
        .address_space:  global
        .offset:         72
        .size:           8
        .value_kind:     global_buffer
      - .offset:         80
        .size:           4
        .value_kind:     by_value
      - .actual_access:  write_only
        .address_space:  global
        .offset:         88
        .size:           8
        .value_kind:     global_buffer
      - .actual_access:  read_only
        .address_space:  global
        .offset:         96
        .size:           8
        .value_kind:     global_buffer
      - .actual_access:  write_only
        .address_space:  global
        .offset:         104
        .size:           8
        .value_kind:     global_buffer
    .group_segment_fixed_size: 8200
    .kernarg_segment_align: 8
    .kernarg_segment_size: 112
    .language:       OpenCL C
    .language_version:
      - 2
      - 0
    .max_flat_workgroup_size: 256
    .name:           _ZN9rocsparseL42csr2bsr_wavefront_per_row_multipass_kernelILj256ELj32ELj16EfllEEv20rocsparse_direction_T4_S2_S2_S2_S2_21rocsparse_index_base_PKT2_PKT3_PKS2_S3_PS4_PS7_PS2_
    .private_segment_fixed_size: 0
    .sgpr_count:     36
    .sgpr_spill_count: 0
    .symbol:         _ZN9rocsparseL42csr2bsr_wavefront_per_row_multipass_kernelILj256ELj32ELj16EfllEEv20rocsparse_direction_T4_S2_S2_S2_S2_21rocsparse_index_base_PKT2_PKT3_PKS2_S3_PS4_PS7_PS2_.kd
    .uniform_work_group_size: 1
    .uses_dynamic_stack: false
    .vgpr_count:     63
    .vgpr_spill_count: 0
    .wavefront_size: 32
    .workgroup_processor_mode: 1
  - .args:
      - .offset:         0
        .size:           4
        .value_kind:     by_value
      - .offset:         8
        .size:           8
        .value_kind:     by_value
      - .offset:         16
        .size:           8
        .value_kind:     by_value
      - .offset:         24
        .size:           8
        .value_kind:     by_value
      - .offset:         32
        .size:           8
        .value_kind:     by_value
      - .offset:         40
        .size:           8
        .value_kind:     by_value
      - .offset:         48
        .size:           4
        .value_kind:     by_value
      - .actual_access:  read_only
        .address_space:  global
        .offset:         56
        .size:           8
        .value_kind:     global_buffer
      - .actual_access:  read_only
        .address_space:  global
        .offset:         64
        .size:           8
        .value_kind:     global_buffer
      - .actual_access:  read_only
        .address_space:  global
        .offset:         72
        .size:           8
        .value_kind:     global_buffer
      - .offset:         80
        .size:           4
        .value_kind:     by_value
      - .actual_access:  write_only
        .address_space:  global
        .offset:         88
        .size:           8
        .value_kind:     global_buffer
      - .actual_access:  read_only
        .address_space:  global
        .offset:         96
        .size:           8
        .value_kind:     global_buffer
      - .actual_access:  write_only
        .address_space:  global
        .offset:         104
        .size:           8
        .value_kind:     global_buffer
    .group_segment_fixed_size: 4100
    .kernarg_segment_align: 8
    .kernarg_segment_size: 112
    .language:       OpenCL C
    .language_version:
      - 2
      - 0
    .max_flat_workgroup_size: 256
    .name:           _ZN9rocsparseL38csr2bsr_block_per_row_multipass_kernelILj256ELj32EfllEEv20rocsparse_direction_T3_S2_S2_S2_S2_21rocsparse_index_base_PKT1_PKT2_PKS2_S3_PS4_PS7_PS2_
    .private_segment_fixed_size: 0
    .sgpr_count:     43
    .sgpr_spill_count: 0
    .symbol:         _ZN9rocsparseL38csr2bsr_block_per_row_multipass_kernelILj256ELj32EfllEEv20rocsparse_direction_T3_S2_S2_S2_S2_21rocsparse_index_base_PKT1_PKT2_PKS2_S3_PS4_PS7_PS2_.kd
    .uniform_work_group_size: 1
    .uses_dynamic_stack: false
    .vgpr_count:     47
    .vgpr_spill_count: 0
    .wavefront_size: 32
    .workgroup_processor_mode: 1
  - .args:
      - .offset:         0
        .size:           4
        .value_kind:     by_value
      - .offset:         8
        .size:           8
        .value_kind:     by_value
      - .offset:         16
        .size:           8
        .value_kind:     by_value
      - .offset:         24
        .size:           8
        .value_kind:     by_value
      - .offset:         32
        .size:           8
        .value_kind:     by_value
      - .offset:         40
        .size:           8
        .value_kind:     by_value
      - .offset:         48
        .size:           4
        .value_kind:     by_value
      - .actual_access:  read_only
        .address_space:  global
        .offset:         56
        .size:           8
        .value_kind:     global_buffer
      - .actual_access:  read_only
        .address_space:  global
        .offset:         64
        .size:           8
        .value_kind:     global_buffer
      - .actual_access:  read_only
        .address_space:  global
        .offset:         72
        .size:           8
        .value_kind:     global_buffer
      - .offset:         80
        .size:           4
        .value_kind:     by_value
      - .actual_access:  write_only
        .address_space:  global
        .offset:         88
        .size:           8
        .value_kind:     global_buffer
      - .actual_access:  read_only
        .address_space:  global
        .offset:         96
        .size:           8
        .value_kind:     global_buffer
      - .actual_access:  write_only
        .address_space:  global
        .offset:         104
        .size:           8
        .value_kind:     global_buffer
    .group_segment_fixed_size: 16388
    .kernarg_segment_align: 8
    .kernarg_segment_size: 112
    .language:       OpenCL C
    .language_version:
      - 2
      - 0
    .max_flat_workgroup_size: 256
    .name:           _ZN9rocsparseL38csr2bsr_block_per_row_multipass_kernelILj256ELj64EfllEEv20rocsparse_direction_T3_S2_S2_S2_S2_21rocsparse_index_base_PKT1_PKT2_PKS2_S3_PS4_PS7_PS2_
    .private_segment_fixed_size: 0
    .sgpr_count:     55
    .sgpr_spill_count: 0
    .symbol:         _ZN9rocsparseL38csr2bsr_block_per_row_multipass_kernelILj256ELj64EfllEEv20rocsparse_direction_T3_S2_S2_S2_S2_21rocsparse_index_base_PKT1_PKT2_PKS2_S3_PS4_PS7_PS2_.kd
    .uniform_work_group_size: 1
    .uses_dynamic_stack: false
    .vgpr_count:     70
    .vgpr_spill_count: 0
    .wavefront_size: 32
    .workgroup_processor_mode: 1
  - .args:
      - .offset:         0
        .size:           4
        .value_kind:     by_value
      - .offset:         8
        .size:           8
        .value_kind:     by_value
      - .offset:         16
        .size:           8
        .value_kind:     by_value
      - .offset:         24
        .size:           8
        .value_kind:     by_value
      - .offset:         32
        .size:           8
        .value_kind:     by_value
      - .offset:         40
        .size:           8
        .value_kind:     by_value
      - .offset:         48
        .size:           8
        .value_kind:     by_value
      - .offset:         56
        .size:           4
        .value_kind:     by_value
      - .actual_access:  read_only
        .address_space:  global
        .offset:         64
        .size:           8
        .value_kind:     global_buffer
      - .actual_access:  read_only
        .address_space:  global
        .offset:         72
        .size:           8
        .value_kind:     global_buffer
      - .actual_access:  read_only
        .address_space:  global
        .offset:         80
        .size:           8
        .value_kind:     global_buffer
      - .offset:         88
        .size:           4
        .value_kind:     by_value
      - .actual_access:  write_only
        .address_space:  global
        .offset:         96
        .size:           8
        .value_kind:     global_buffer
      - .actual_access:  read_only
        .address_space:  global
        .offset:         104
        .size:           8
        .value_kind:     global_buffer
      - .actual_access:  write_only
        .address_space:  global
        .offset:         112
        .size:           8
        .value_kind:     global_buffer
      - .address_space:  global
        .offset:         120
        .size:           8
        .value_kind:     global_buffer
      - .address_space:  global
        .offset:         128
        .size:           8
        .value_kind:     global_buffer
      - .address_space:  global
        .offset:         136
        .size:           8
        .value_kind:     global_buffer
    .group_segment_fixed_size: 0
    .kernarg_segment_align: 8
    .kernarg_segment_size: 144
    .language:       OpenCL C
    .language_version:
      - 2
      - 0
    .max_flat_workgroup_size: 32
    .name:           _ZN9rocsparseL21csr2bsr_65_inf_kernelILj32EfllEEv20rocsparse_direction_T2_S2_S2_S2_S2_S2_21rocsparse_index_base_PKT0_PKT1_PKS2_S3_PS4_PS7_PS2_SD_SE_SC_
    .private_segment_fixed_size: 0
    .sgpr_count:     39
    .sgpr_spill_count: 0
    .symbol:         _ZN9rocsparseL21csr2bsr_65_inf_kernelILj32EfllEEv20rocsparse_direction_T2_S2_S2_S2_S2_S2_21rocsparse_index_base_PKT0_PKT1_PKS2_S3_PS4_PS7_PS2_SD_SE_SC_.kd
    .uniform_work_group_size: 1
    .uses_dynamic_stack: false
    .vgpr_count:     52
    .vgpr_spill_count: 0
    .wavefront_size: 32
    .workgroup_processor_mode: 1
  - .args:
      - .offset:         0
        .size:           4
        .value_kind:     by_value
      - .offset:         4
        .size:           4
        .value_kind:     by_value
      - .offset:         8
        .size:           4
        .value_kind:     by_value
      - .offset:         12
        .size:           4
        .value_kind:     by_value
      - .offset:         16
        .size:           4
        .value_kind:     by_value
      - .address_space:  global
        .offset:         24
        .size:           8
        .value_kind:     global_buffer
      - .address_space:  global
        .offset:         32
        .size:           8
        .value_kind:     global_buffer
      - .address_space:  global
        .offset:         40
        .size:           8
        .value_kind:     global_buffer
      - .offset:         48
        .size:           4
        .value_kind:     by_value
      - .address_space:  global
        .offset:         56
        .size:           8
        .value_kind:     global_buffer
      - .address_space:  global
        .offset:         64
        .size:           8
        .value_kind:     global_buffer
      - .address_space:  global
        .offset:         72
        .size:           8
        .value_kind:     global_buffer
      - .offset:         80
        .size:           4
        .value_kind:     hidden_block_count_x
      - .offset:         84
        .size:           4
        .value_kind:     hidden_block_count_y
      - .offset:         88
        .size:           4
        .value_kind:     hidden_block_count_z
      - .offset:         92
        .size:           2
        .value_kind:     hidden_group_size_x
      - .offset:         94
        .size:           2
        .value_kind:     hidden_group_size_y
      - .offset:         96
        .size:           2
        .value_kind:     hidden_group_size_z
      - .offset:         98
        .size:           2
        .value_kind:     hidden_remainder_x
      - .offset:         100
        .size:           2
        .value_kind:     hidden_remainder_y
      - .offset:         102
        .size:           2
        .value_kind:     hidden_remainder_z
      - .offset:         120
        .size:           8
        .value_kind:     hidden_global_offset_x
      - .offset:         128
        .size:           8
        .value_kind:     hidden_global_offset_y
      - .offset:         136
        .size:           8
        .value_kind:     hidden_global_offset_z
      - .offset:         144
        .size:           2
        .value_kind:     hidden_grid_dims
    .group_segment_fixed_size: 0
    .kernarg_segment_align: 8
    .kernarg_segment_size: 336
    .language:       OpenCL C
    .language_version:
      - 2
      - 0
    .max_flat_workgroup_size: 256
    .name:           _ZN9rocsparseL35csr2bsr_block_dim_equals_one_kernelILj256E21rocsparse_complex_numIfEiiEEvT2_S3_S3_S3_21rocsparse_index_base_PKT0_PKT1_PKS3_S4_PS5_PS8_PS3_
    .private_segment_fixed_size: 0
    .sgpr_count:     18
    .sgpr_spill_count: 0
    .symbol:         _ZN9rocsparseL35csr2bsr_block_dim_equals_one_kernelILj256E21rocsparse_complex_numIfEiiEEvT2_S3_S3_S3_21rocsparse_index_base_PKT0_PKT1_PKS3_S4_PS5_PS8_PS3_.kd
    .uniform_work_group_size: 1
    .uses_dynamic_stack: false
    .vgpr_count:     8
    .vgpr_spill_count: 0
    .wavefront_size: 32
    .workgroup_processor_mode: 1
  - .args:
      - .offset:         0
        .size:           4
        .value_kind:     by_value
      - .offset:         4
        .size:           4
        .value_kind:     by_value
      - .offset:         8
        .size:           4
        .value_kind:     by_value
      - .offset:         12
        .size:           4
        .value_kind:     by_value
      - .offset:         16
        .size:           4
        .value_kind:     by_value
      - .offset:         20
        .size:           4
        .value_kind:     by_value
      - .offset:         24
        .size:           4
        .value_kind:     by_value
      - .actual_access:  read_only
        .address_space:  global
        .offset:         32
        .size:           8
        .value_kind:     global_buffer
      - .actual_access:  read_only
        .address_space:  global
        .offset:         40
        .size:           8
        .value_kind:     global_buffer
      - .actual_access:  read_only
        .address_space:  global
        .offset:         48
        .size:           8
        .value_kind:     global_buffer
      - .offset:         56
        .size:           4
        .value_kind:     by_value
      - .actual_access:  write_only
        .address_space:  global
        .offset:         64
        .size:           8
        .value_kind:     global_buffer
      - .actual_access:  read_only
        .address_space:  global
        .offset:         72
        .size:           8
        .value_kind:     global_buffer
      - .actual_access:  write_only
        .address_space:  global
        .offset:         80
        .size:           8
        .value_kind:     global_buffer
    .group_segment_fixed_size: 2064
    .kernarg_segment_align: 8
    .kernarg_segment_size: 88
    .language:       OpenCL C
    .language_version:
      - 2
      - 0
    .max_flat_workgroup_size: 256
    .name:           _ZN9rocsparseL42csr2bsr_wavefront_per_row_multipass_kernelILj256ELj16ELj4E21rocsparse_complex_numIfEiiEEv20rocsparse_direction_T4_S4_S4_S4_S4_21rocsparse_index_base_PKT2_PKT3_PKS4_S5_PS6_PS9_PS4_
    .private_segment_fixed_size: 0
    .sgpr_count:     22
    .sgpr_spill_count: 0
    .symbol:         _ZN9rocsparseL42csr2bsr_wavefront_per_row_multipass_kernelILj256ELj16ELj4E21rocsparse_complex_numIfEiiEEv20rocsparse_direction_T4_S4_S4_S4_S4_21rocsparse_index_base_PKT2_PKT3_PKS4_S5_PS6_PS9_PS4_.kd
    .uniform_work_group_size: 1
    .uses_dynamic_stack: false
    .vgpr_count:     29
    .vgpr_spill_count: 0
    .wavefront_size: 32
    .workgroup_processor_mode: 1
  - .args:
      - .offset:         0
        .size:           4
        .value_kind:     by_value
      - .offset:         4
        .size:           4
        .value_kind:     by_value
      - .offset:         8
        .size:           4
        .value_kind:     by_value
      - .offset:         12
        .size:           4
        .value_kind:     by_value
      - .offset:         16
        .size:           4
        .value_kind:     by_value
      - .offset:         20
        .size:           4
        .value_kind:     by_value
      - .offset:         24
        .size:           4
        .value_kind:     by_value
      - .actual_access:  read_only
        .address_space:  global
        .offset:         32
        .size:           8
        .value_kind:     global_buffer
      - .actual_access:  read_only
        .address_space:  global
        .offset:         40
        .size:           8
        .value_kind:     global_buffer
      - .actual_access:  read_only
        .address_space:  global
        .offset:         48
        .size:           8
        .value_kind:     global_buffer
      - .offset:         56
        .size:           4
        .value_kind:     by_value
      - .actual_access:  write_only
        .address_space:  global
        .offset:         64
        .size:           8
        .value_kind:     global_buffer
      - .actual_access:  read_only
        .address_space:  global
        .offset:         72
        .size:           8
        .value_kind:     global_buffer
      - .actual_access:  write_only
        .address_space:  global
        .offset:         80
        .size:           8
        .value_kind:     global_buffer
    .group_segment_fixed_size: 2052
    .kernarg_segment_align: 8
    .kernarg_segment_size: 88
    .language:       OpenCL C
    .language_version:
      - 2
      - 0
    .max_flat_workgroup_size: 256
    .name:           _ZN9rocsparseL42csr2bsr_wavefront_per_row_multipass_kernelILj256ELj64ELj8E21rocsparse_complex_numIfEiiEEv20rocsparse_direction_T4_S4_S4_S4_S4_21rocsparse_index_base_PKT2_PKT3_PKS4_S5_PS6_PS9_PS4_
    .private_segment_fixed_size: 0
    .sgpr_count:     22
    .sgpr_spill_count: 0
    .symbol:         _ZN9rocsparseL42csr2bsr_wavefront_per_row_multipass_kernelILj256ELj64ELj8E21rocsparse_complex_numIfEiiEEv20rocsparse_direction_T4_S4_S4_S4_S4_21rocsparse_index_base_PKT2_PKT3_PKS4_S5_PS6_PS9_PS4_.kd
    .uniform_work_group_size: 1
    .uses_dynamic_stack: false
    .vgpr_count:     31
    .vgpr_spill_count: 0
    .wavefront_size: 32
    .workgroup_processor_mode: 1
  - .args:
      - .offset:         0
        .size:           4
        .value_kind:     by_value
      - .offset:         4
        .size:           4
        .value_kind:     by_value
      - .offset:         8
        .size:           4
        .value_kind:     by_value
      - .offset:         12
        .size:           4
        .value_kind:     by_value
      - .offset:         16
        .size:           4
        .value_kind:     by_value
      - .offset:         20
        .size:           4
        .value_kind:     by_value
      - .offset:         24
        .size:           4
        .value_kind:     by_value
      - .actual_access:  read_only
        .address_space:  global
        .offset:         32
        .size:           8
        .value_kind:     global_buffer
      - .actual_access:  read_only
        .address_space:  global
        .offset:         40
        .size:           8
        .value_kind:     global_buffer
      - .actual_access:  read_only
        .address_space:  global
        .offset:         48
        .size:           8
        .value_kind:     global_buffer
      - .offset:         56
        .size:           4
        .value_kind:     by_value
      - .actual_access:  write_only
        .address_space:  global
        .offset:         64
        .size:           8
        .value_kind:     global_buffer
      - .actual_access:  read_only
        .address_space:  global
        .offset:         72
        .size:           8
        .value_kind:     global_buffer
      - .actual_access:  write_only
        .address_space:  global
        .offset:         80
        .size:           8
        .value_kind:     global_buffer
    .group_segment_fixed_size: 4104
    .kernarg_segment_align: 8
    .kernarg_segment_size: 88
    .language:       OpenCL C
    .language_version:
      - 2
      - 0
    .max_flat_workgroup_size: 256
    .name:           _ZN9rocsparseL42csr2bsr_wavefront_per_row_multipass_kernelILj256ELj32ELj8E21rocsparse_complex_numIfEiiEEv20rocsparse_direction_T4_S4_S4_S4_S4_21rocsparse_index_base_PKT2_PKT3_PKS4_S5_PS6_PS9_PS4_
    .private_segment_fixed_size: 0
    .sgpr_count:     24
    .sgpr_spill_count: 0
    .symbol:         _ZN9rocsparseL42csr2bsr_wavefront_per_row_multipass_kernelILj256ELj32ELj8E21rocsparse_complex_numIfEiiEEv20rocsparse_direction_T4_S4_S4_S4_S4_21rocsparse_index_base_PKT2_PKT3_PKS4_S5_PS6_PS9_PS4_.kd
    .uniform_work_group_size: 1
    .uses_dynamic_stack: false
    .vgpr_count:     39
    .vgpr_spill_count: 0
    .wavefront_size: 32
    .workgroup_processor_mode: 1
  - .args:
      - .offset:         0
        .size:           4
        .value_kind:     by_value
      - .offset:         4
        .size:           4
        .value_kind:     by_value
      - .offset:         8
        .size:           4
        .value_kind:     by_value
      - .offset:         12
        .size:           4
        .value_kind:     by_value
      - .offset:         16
        .size:           4
        .value_kind:     by_value
      - .offset:         20
        .size:           4
        .value_kind:     by_value
      - .offset:         24
        .size:           4
        .value_kind:     by_value
      - .actual_access:  read_only
        .address_space:  global
        .offset:         32
        .size:           8
        .value_kind:     global_buffer
      - .actual_access:  read_only
        .address_space:  global
        .offset:         40
        .size:           8
        .value_kind:     global_buffer
      - .actual_access:  read_only
        .address_space:  global
        .offset:         48
        .size:           8
        .value_kind:     global_buffer
      - .offset:         56
        .size:           4
        .value_kind:     by_value
      - .actual_access:  write_only
        .address_space:  global
        .offset:         64
        .size:           8
        .value_kind:     global_buffer
      - .actual_access:  read_only
        .address_space:  global
        .offset:         72
        .size:           8
        .value_kind:     global_buffer
      - .actual_access:  write_only
        .address_space:  global
        .offset:         80
        .size:           8
        .value_kind:     global_buffer
    .group_segment_fixed_size: 8196
    .kernarg_segment_align: 8
    .kernarg_segment_size: 88
    .language:       OpenCL C
    .language_version:
      - 2
      - 0
    .max_flat_workgroup_size: 256
    .name:           _ZN9rocsparseL42csr2bsr_wavefront_per_row_multipass_kernelILj256ELj64ELj16E21rocsparse_complex_numIfEiiEEv20rocsparse_direction_T4_S4_S4_S4_S4_21rocsparse_index_base_PKT2_PKT3_PKS4_S5_PS6_PS9_PS4_
    .private_segment_fixed_size: 0
    .sgpr_count:     26
    .sgpr_spill_count: 0
    .symbol:         _ZN9rocsparseL42csr2bsr_wavefront_per_row_multipass_kernelILj256ELj64ELj16E21rocsparse_complex_numIfEiiEEv20rocsparse_direction_T4_S4_S4_S4_S4_21rocsparse_index_base_PKT2_PKT3_PKS4_S5_PS6_PS9_PS4_.kd
    .uniform_work_group_size: 1
    .uses_dynamic_stack: false
    .vgpr_count:     44
    .vgpr_spill_count: 0
    .wavefront_size: 32
    .workgroup_processor_mode: 1
  - .args:
      - .offset:         0
        .size:           4
        .value_kind:     by_value
      - .offset:         4
        .size:           4
        .value_kind:     by_value
      - .offset:         8
        .size:           4
        .value_kind:     by_value
      - .offset:         12
        .size:           4
        .value_kind:     by_value
      - .offset:         16
        .size:           4
        .value_kind:     by_value
      - .offset:         20
        .size:           4
        .value_kind:     by_value
      - .offset:         24
        .size:           4
        .value_kind:     by_value
      - .actual_access:  read_only
        .address_space:  global
        .offset:         32
        .size:           8
        .value_kind:     global_buffer
      - .actual_access:  read_only
        .address_space:  global
        .offset:         40
        .size:           8
        .value_kind:     global_buffer
      - .actual_access:  read_only
        .address_space:  global
        .offset:         48
        .size:           8
        .value_kind:     global_buffer
      - .offset:         56
        .size:           4
        .value_kind:     by_value
      - .actual_access:  write_only
        .address_space:  global
        .offset:         64
        .size:           8
        .value_kind:     global_buffer
      - .actual_access:  read_only
        .address_space:  global
        .offset:         72
        .size:           8
        .value_kind:     global_buffer
      - .actual_access:  write_only
        .address_space:  global
        .offset:         80
        .size:           8
        .value_kind:     global_buffer
    .group_segment_fixed_size: 16392
    .kernarg_segment_align: 8
    .kernarg_segment_size: 88
    .language:       OpenCL C
    .language_version:
      - 2
      - 0
    .max_flat_workgroup_size: 256
    .name:           _ZN9rocsparseL42csr2bsr_wavefront_per_row_multipass_kernelILj256ELj32ELj16E21rocsparse_complex_numIfEiiEEv20rocsparse_direction_T4_S4_S4_S4_S4_21rocsparse_index_base_PKT2_PKT3_PKS4_S5_PS6_PS9_PS4_
    .private_segment_fixed_size: 0
    .sgpr_count:     30
    .sgpr_spill_count: 0
    .symbol:         _ZN9rocsparseL42csr2bsr_wavefront_per_row_multipass_kernelILj256ELj32ELj16E21rocsparse_complex_numIfEiiEEv20rocsparse_direction_T4_S4_S4_S4_S4_21rocsparse_index_base_PKT2_PKT3_PKS4_S5_PS6_PS9_PS4_.kd
    .uniform_work_group_size: 1
    .uses_dynamic_stack: false
    .vgpr_count:     51
    .vgpr_spill_count: 0
    .wavefront_size: 32
    .workgroup_processor_mode: 1
  - .args:
      - .offset:         0
        .size:           4
        .value_kind:     by_value
      - .offset:         4
        .size:           4
        .value_kind:     by_value
      - .offset:         8
        .size:           4
        .value_kind:     by_value
      - .offset:         12
        .size:           4
        .value_kind:     by_value
      - .offset:         16
        .size:           4
        .value_kind:     by_value
      - .offset:         20
        .size:           4
        .value_kind:     by_value
      - .offset:         24
        .size:           4
        .value_kind:     by_value
      - .actual_access:  read_only
        .address_space:  global
        .offset:         32
        .size:           8
        .value_kind:     global_buffer
      - .actual_access:  read_only
        .address_space:  global
        .offset:         40
        .size:           8
        .value_kind:     global_buffer
      - .actual_access:  read_only
        .address_space:  global
        .offset:         48
        .size:           8
        .value_kind:     global_buffer
      - .offset:         56
        .size:           4
        .value_kind:     by_value
      - .actual_access:  write_only
        .address_space:  global
        .offset:         64
        .size:           8
        .value_kind:     global_buffer
      - .actual_access:  read_only
        .address_space:  global
        .offset:         72
        .size:           8
        .value_kind:     global_buffer
      - .actual_access:  write_only
        .address_space:  global
        .offset:         80
        .size:           8
        .value_kind:     global_buffer
    .group_segment_fixed_size: 8196
    .kernarg_segment_align: 8
    .kernarg_segment_size: 88
    .language:       OpenCL C
    .language_version:
      - 2
      - 0
    .max_flat_workgroup_size: 256
    .name:           _ZN9rocsparseL38csr2bsr_block_per_row_multipass_kernelILj256ELj32E21rocsparse_complex_numIfEiiEEv20rocsparse_direction_T3_S4_S4_S4_S4_21rocsparse_index_base_PKT1_PKT2_PKS4_S5_PS6_PS9_PS4_
    .private_segment_fixed_size: 0
    .sgpr_count:     40
    .sgpr_spill_count: 0
    .symbol:         _ZN9rocsparseL38csr2bsr_block_per_row_multipass_kernelILj256ELj32E21rocsparse_complex_numIfEiiEEv20rocsparse_direction_T3_S4_S4_S4_S4_21rocsparse_index_base_PKT1_PKT2_PKS4_S5_PS6_PS9_PS4_.kd
    .uniform_work_group_size: 1
    .uses_dynamic_stack: false
    .vgpr_count:     38
    .vgpr_spill_count: 0
    .wavefront_size: 32
    .workgroup_processor_mode: 1
  - .args:
      - .offset:         0
        .size:           4
        .value_kind:     by_value
      - .offset:         4
        .size:           4
        .value_kind:     by_value
      - .offset:         8
        .size:           4
        .value_kind:     by_value
      - .offset:         12
        .size:           4
        .value_kind:     by_value
      - .offset:         16
        .size:           4
        .value_kind:     by_value
      - .offset:         20
        .size:           4
        .value_kind:     by_value
      - .offset:         24
        .size:           4
        .value_kind:     by_value
      - .actual_access:  read_only
        .address_space:  global
        .offset:         32
        .size:           8
        .value_kind:     global_buffer
      - .actual_access:  read_only
        .address_space:  global
        .offset:         40
        .size:           8
        .value_kind:     global_buffer
      - .actual_access:  read_only
        .address_space:  global
        .offset:         48
        .size:           8
        .value_kind:     global_buffer
      - .offset:         56
        .size:           4
        .value_kind:     by_value
      - .actual_access:  write_only
        .address_space:  global
        .offset:         64
        .size:           8
        .value_kind:     global_buffer
      - .actual_access:  read_only
        .address_space:  global
        .offset:         72
        .size:           8
        .value_kind:     global_buffer
      - .actual_access:  write_only
        .address_space:  global
        .offset:         80
        .size:           8
        .value_kind:     global_buffer
    .group_segment_fixed_size: 32772
    .kernarg_segment_align: 8
    .kernarg_segment_size: 88
    .language:       OpenCL C
    .language_version:
      - 2
      - 0
    .max_flat_workgroup_size: 256
    .name:           _ZN9rocsparseL38csr2bsr_block_per_row_multipass_kernelILj256ELj64E21rocsparse_complex_numIfEiiEEv20rocsparse_direction_T3_S4_S4_S4_S4_21rocsparse_index_base_PKT1_PKT2_PKS4_S5_PS6_PS9_PS4_
    .private_segment_fixed_size: 0
    .sgpr_count:     50
    .sgpr_spill_count: 0
    .symbol:         _ZN9rocsparseL38csr2bsr_block_per_row_multipass_kernelILj256ELj64E21rocsparse_complex_numIfEiiEEv20rocsparse_direction_T3_S4_S4_S4_S4_21rocsparse_index_base_PKT1_PKT2_PKS4_S5_PS6_PS9_PS4_.kd
    .uniform_work_group_size: 1
    .uses_dynamic_stack: false
    .vgpr_count:     61
    .vgpr_spill_count: 0
    .wavefront_size: 32
    .workgroup_processor_mode: 1
  - .args:
      - .offset:         0
        .size:           4
        .value_kind:     by_value
      - .offset:         4
        .size:           4
        .value_kind:     by_value
      - .offset:         8
        .size:           4
        .value_kind:     by_value
      - .offset:         12
        .size:           4
        .value_kind:     by_value
      - .offset:         16
        .size:           4
        .value_kind:     by_value
      - .offset:         20
        .size:           4
        .value_kind:     by_value
      - .offset:         24
        .size:           4
        .value_kind:     by_value
      - .offset:         28
        .size:           4
        .value_kind:     by_value
      - .actual_access:  read_only
        .address_space:  global
        .offset:         32
        .size:           8
        .value_kind:     global_buffer
      - .actual_access:  read_only
        .address_space:  global
        .offset:         40
        .size:           8
        .value_kind:     global_buffer
      - .actual_access:  read_only
        .address_space:  global
        .offset:         48
        .size:           8
        .value_kind:     global_buffer
      - .offset:         56
        .size:           4
        .value_kind:     by_value
      - .actual_access:  write_only
        .address_space:  global
        .offset:         64
        .size:           8
        .value_kind:     global_buffer
      - .actual_access:  read_only
        .address_space:  global
        .offset:         72
        .size:           8
        .value_kind:     global_buffer
      - .actual_access:  write_only
        .address_space:  global
        .offset:         80
        .size:           8
        .value_kind:     global_buffer
      - .address_space:  global
        .offset:         88
        .size:           8
        .value_kind:     global_buffer
      - .address_space:  global
        .offset:         96
        .size:           8
        .value_kind:     global_buffer
      - .address_space:  global
        .offset:         104
        .size:           8
        .value_kind:     global_buffer
    .group_segment_fixed_size: 0
    .kernarg_segment_align: 8
    .kernarg_segment_size: 112
    .language:       OpenCL C
    .language_version:
      - 2
      - 0
    .max_flat_workgroup_size: 32
    .name:           _ZN9rocsparseL21csr2bsr_65_inf_kernelILj32E21rocsparse_complex_numIfEiiEEv20rocsparse_direction_T2_S4_S4_S4_S4_S4_21rocsparse_index_base_PKT0_PKT1_PKS4_S5_PS6_PS9_PS4_SF_SG_SE_
    .private_segment_fixed_size: 0
    .sgpr_count:     36
    .sgpr_spill_count: 0
    .symbol:         _ZN9rocsparseL21csr2bsr_65_inf_kernelILj32E21rocsparse_complex_numIfEiiEEv20rocsparse_direction_T2_S4_S4_S4_S4_S4_21rocsparse_index_base_PKT0_PKT1_PKS4_S5_PS6_PS9_PS4_SF_SG_SE_.kd
    .uniform_work_group_size: 1
    .uses_dynamic_stack: false
    .vgpr_count:     41
    .vgpr_spill_count: 0
    .wavefront_size: 32
    .workgroup_processor_mode: 1
  - .args:
      - .offset:         0
        .size:           4
        .value_kind:     by_value
      - .offset:         4
        .size:           4
        .value_kind:     by_value
      - .offset:         8
        .size:           4
        .value_kind:     by_value
      - .offset:         12
        .size:           4
        .value_kind:     by_value
      - .offset:         16
        .size:           4
        .value_kind:     by_value
      - .address_space:  global
        .offset:         24
        .size:           8
        .value_kind:     global_buffer
      - .address_space:  global
        .offset:         32
        .size:           8
        .value_kind:     global_buffer
      - .address_space:  global
        .offset:         40
        .size:           8
        .value_kind:     global_buffer
      - .offset:         48
        .size:           4
        .value_kind:     by_value
      - .address_space:  global
        .offset:         56
        .size:           8
        .value_kind:     global_buffer
      - .address_space:  global
        .offset:         64
        .size:           8
        .value_kind:     global_buffer
      - .address_space:  global
        .offset:         72
        .size:           8
        .value_kind:     global_buffer
      - .offset:         80
        .size:           4
        .value_kind:     hidden_block_count_x
      - .offset:         84
        .size:           4
        .value_kind:     hidden_block_count_y
      - .offset:         88
        .size:           4
        .value_kind:     hidden_block_count_z
      - .offset:         92
        .size:           2
        .value_kind:     hidden_group_size_x
      - .offset:         94
        .size:           2
        .value_kind:     hidden_group_size_y
      - .offset:         96
        .size:           2
        .value_kind:     hidden_group_size_z
      - .offset:         98
        .size:           2
        .value_kind:     hidden_remainder_x
      - .offset:         100
        .size:           2
        .value_kind:     hidden_remainder_y
      - .offset:         102
        .size:           2
        .value_kind:     hidden_remainder_z
      - .offset:         120
        .size:           8
        .value_kind:     hidden_global_offset_x
      - .offset:         128
        .size:           8
        .value_kind:     hidden_global_offset_y
      - .offset:         136
        .size:           8
        .value_kind:     hidden_global_offset_z
      - .offset:         144
        .size:           2
        .value_kind:     hidden_grid_dims
    .group_segment_fixed_size: 0
    .kernarg_segment_align: 8
    .kernarg_segment_size: 336
    .language:       OpenCL C
    .language_version:
      - 2
      - 0
    .max_flat_workgroup_size: 256
    .name:           _ZN9rocsparseL35csr2bsr_block_dim_equals_one_kernelILj256E21rocsparse_complex_numIfEliEEvT2_S3_S3_S3_21rocsparse_index_base_PKT0_PKT1_PKS3_S4_PS5_PS8_PS3_
    .private_segment_fixed_size: 0
    .sgpr_count:     20
    .sgpr_spill_count: 0
    .symbol:         _ZN9rocsparseL35csr2bsr_block_dim_equals_one_kernelILj256E21rocsparse_complex_numIfEliEEvT2_S3_S3_S3_21rocsparse_index_base_PKT0_PKT1_PKS3_S4_PS5_PS8_PS3_.kd
    .uniform_work_group_size: 1
    .uses_dynamic_stack: false
    .vgpr_count:     11
    .vgpr_spill_count: 0
    .wavefront_size: 32
    .workgroup_processor_mode: 1
  - .args:
      - .offset:         0
        .size:           4
        .value_kind:     by_value
      - .offset:         4
        .size:           4
        .value_kind:     by_value
      - .offset:         8
        .size:           4
        .value_kind:     by_value
      - .offset:         12
        .size:           4
        .value_kind:     by_value
      - .offset:         16
        .size:           4
        .value_kind:     by_value
      - .offset:         20
        .size:           4
        .value_kind:     by_value
      - .offset:         24
        .size:           4
        .value_kind:     by_value
      - .actual_access:  read_only
        .address_space:  global
        .offset:         32
        .size:           8
        .value_kind:     global_buffer
      - .actual_access:  read_only
        .address_space:  global
        .offset:         40
        .size:           8
        .value_kind:     global_buffer
      - .actual_access:  read_only
        .address_space:  global
        .offset:         48
        .size:           8
        .value_kind:     global_buffer
      - .offset:         56
        .size:           4
        .value_kind:     by_value
      - .actual_access:  write_only
        .address_space:  global
        .offset:         64
        .size:           8
        .value_kind:     global_buffer
      - .actual_access:  read_only
        .address_space:  global
        .offset:         72
        .size:           8
        .value_kind:     global_buffer
      - .actual_access:  write_only
        .address_space:  global
        .offset:         80
        .size:           8
        .value_kind:     global_buffer
    .group_segment_fixed_size: 2064
    .kernarg_segment_align: 8
    .kernarg_segment_size: 88
    .language:       OpenCL C
    .language_version:
      - 2
      - 0
    .max_flat_workgroup_size: 256
    .name:           _ZN9rocsparseL42csr2bsr_wavefront_per_row_multipass_kernelILj256ELj16ELj4E21rocsparse_complex_numIfEliEEv20rocsparse_direction_T4_S4_S4_S4_S4_21rocsparse_index_base_PKT2_PKT3_PKS4_S5_PS6_PS9_PS4_
    .private_segment_fixed_size: 0
    .sgpr_count:     22
    .sgpr_spill_count: 0
    .symbol:         _ZN9rocsparseL42csr2bsr_wavefront_per_row_multipass_kernelILj256ELj16ELj4E21rocsparse_complex_numIfEliEEv20rocsparse_direction_T4_S4_S4_S4_S4_21rocsparse_index_base_PKT2_PKT3_PKS4_S5_PS6_PS9_PS4_.kd
    .uniform_work_group_size: 1
    .uses_dynamic_stack: false
    .vgpr_count:     37
    .vgpr_spill_count: 0
    .wavefront_size: 32
    .workgroup_processor_mode: 1
  - .args:
      - .offset:         0
        .size:           4
        .value_kind:     by_value
      - .offset:         4
        .size:           4
        .value_kind:     by_value
      - .offset:         8
        .size:           4
        .value_kind:     by_value
      - .offset:         12
        .size:           4
        .value_kind:     by_value
      - .offset:         16
        .size:           4
        .value_kind:     by_value
      - .offset:         20
        .size:           4
        .value_kind:     by_value
      - .offset:         24
        .size:           4
        .value_kind:     by_value
      - .actual_access:  read_only
        .address_space:  global
        .offset:         32
        .size:           8
        .value_kind:     global_buffer
      - .actual_access:  read_only
        .address_space:  global
        .offset:         40
        .size:           8
        .value_kind:     global_buffer
      - .actual_access:  read_only
        .address_space:  global
        .offset:         48
        .size:           8
        .value_kind:     global_buffer
      - .offset:         56
        .size:           4
        .value_kind:     by_value
      - .actual_access:  write_only
        .address_space:  global
        .offset:         64
        .size:           8
        .value_kind:     global_buffer
      - .actual_access:  read_only
        .address_space:  global
        .offset:         72
        .size:           8
        .value_kind:     global_buffer
      - .actual_access:  write_only
        .address_space:  global
        .offset:         80
        .size:           8
        .value_kind:     global_buffer
    .group_segment_fixed_size: 2052
    .kernarg_segment_align: 8
    .kernarg_segment_size: 88
    .language:       OpenCL C
    .language_version:
      - 2
      - 0
    .max_flat_workgroup_size: 256
    .name:           _ZN9rocsparseL42csr2bsr_wavefront_per_row_multipass_kernelILj256ELj64ELj8E21rocsparse_complex_numIfEliEEv20rocsparse_direction_T4_S4_S4_S4_S4_21rocsparse_index_base_PKT2_PKT3_PKS4_S5_PS6_PS9_PS4_
    .private_segment_fixed_size: 0
    .sgpr_count:     22
    .sgpr_spill_count: 0
    .symbol:         _ZN9rocsparseL42csr2bsr_wavefront_per_row_multipass_kernelILj256ELj64ELj8E21rocsparse_complex_numIfEliEEv20rocsparse_direction_T4_S4_S4_S4_S4_21rocsparse_index_base_PKT2_PKT3_PKS4_S5_PS6_PS9_PS4_.kd
    .uniform_work_group_size: 1
    .uses_dynamic_stack: false
    .vgpr_count:     39
    .vgpr_spill_count: 0
    .wavefront_size: 32
    .workgroup_processor_mode: 1
  - .args:
      - .offset:         0
        .size:           4
        .value_kind:     by_value
      - .offset:         4
        .size:           4
        .value_kind:     by_value
      - .offset:         8
        .size:           4
        .value_kind:     by_value
      - .offset:         12
        .size:           4
        .value_kind:     by_value
      - .offset:         16
        .size:           4
        .value_kind:     by_value
      - .offset:         20
        .size:           4
        .value_kind:     by_value
      - .offset:         24
        .size:           4
        .value_kind:     by_value
      - .actual_access:  read_only
        .address_space:  global
        .offset:         32
        .size:           8
        .value_kind:     global_buffer
      - .actual_access:  read_only
        .address_space:  global
        .offset:         40
        .size:           8
        .value_kind:     global_buffer
      - .actual_access:  read_only
        .address_space:  global
        .offset:         48
        .size:           8
        .value_kind:     global_buffer
      - .offset:         56
        .size:           4
        .value_kind:     by_value
      - .actual_access:  write_only
        .address_space:  global
        .offset:         64
        .size:           8
        .value_kind:     global_buffer
      - .actual_access:  read_only
        .address_space:  global
        .offset:         72
        .size:           8
        .value_kind:     global_buffer
      - .actual_access:  write_only
        .address_space:  global
        .offset:         80
        .size:           8
        .value_kind:     global_buffer
    .group_segment_fixed_size: 4104
    .kernarg_segment_align: 8
    .kernarg_segment_size: 88
    .language:       OpenCL C
    .language_version:
      - 2
      - 0
    .max_flat_workgroup_size: 256
    .name:           _ZN9rocsparseL42csr2bsr_wavefront_per_row_multipass_kernelILj256ELj32ELj8E21rocsparse_complex_numIfEliEEv20rocsparse_direction_T4_S4_S4_S4_S4_21rocsparse_index_base_PKT2_PKT3_PKS4_S5_PS6_PS9_PS4_
    .private_segment_fixed_size: 0
    .sgpr_count:     24
    .sgpr_spill_count: 0
    .symbol:         _ZN9rocsparseL42csr2bsr_wavefront_per_row_multipass_kernelILj256ELj32ELj8E21rocsparse_complex_numIfEliEEv20rocsparse_direction_T4_S4_S4_S4_S4_21rocsparse_index_base_PKT2_PKT3_PKS4_S5_PS6_PS9_PS4_.kd
    .uniform_work_group_size: 1
    .uses_dynamic_stack: false
    .vgpr_count:     45
    .vgpr_spill_count: 0
    .wavefront_size: 32
    .workgroup_processor_mode: 1
  - .args:
      - .offset:         0
        .size:           4
        .value_kind:     by_value
      - .offset:         4
        .size:           4
        .value_kind:     by_value
      - .offset:         8
        .size:           4
        .value_kind:     by_value
      - .offset:         12
        .size:           4
        .value_kind:     by_value
      - .offset:         16
        .size:           4
        .value_kind:     by_value
      - .offset:         20
        .size:           4
        .value_kind:     by_value
      - .offset:         24
        .size:           4
        .value_kind:     by_value
      - .actual_access:  read_only
        .address_space:  global
        .offset:         32
        .size:           8
        .value_kind:     global_buffer
      - .actual_access:  read_only
        .address_space:  global
        .offset:         40
        .size:           8
        .value_kind:     global_buffer
      - .actual_access:  read_only
        .address_space:  global
        .offset:         48
        .size:           8
        .value_kind:     global_buffer
      - .offset:         56
        .size:           4
        .value_kind:     by_value
      - .actual_access:  write_only
        .address_space:  global
        .offset:         64
        .size:           8
        .value_kind:     global_buffer
      - .actual_access:  read_only
        .address_space:  global
        .offset:         72
        .size:           8
        .value_kind:     global_buffer
      - .actual_access:  write_only
        .address_space:  global
        .offset:         80
        .size:           8
        .value_kind:     global_buffer
    .group_segment_fixed_size: 8196
    .kernarg_segment_align: 8
    .kernarg_segment_size: 88
    .language:       OpenCL C
    .language_version:
      - 2
      - 0
    .max_flat_workgroup_size: 256
    .name:           _ZN9rocsparseL42csr2bsr_wavefront_per_row_multipass_kernelILj256ELj64ELj16E21rocsparse_complex_numIfEliEEv20rocsparse_direction_T4_S4_S4_S4_S4_21rocsparse_index_base_PKT2_PKT3_PKS4_S5_PS6_PS9_PS4_
    .private_segment_fixed_size: 0
    .sgpr_count:     26
    .sgpr_spill_count: 0
    .symbol:         _ZN9rocsparseL42csr2bsr_wavefront_per_row_multipass_kernelILj256ELj64ELj16E21rocsparse_complex_numIfEliEEv20rocsparse_direction_T4_S4_S4_S4_S4_21rocsparse_index_base_PKT2_PKT3_PKS4_S5_PS6_PS9_PS4_.kd
    .uniform_work_group_size: 1
    .uses_dynamic_stack: false
    .vgpr_count:     50
    .vgpr_spill_count: 0
    .wavefront_size: 32
    .workgroup_processor_mode: 1
  - .args:
      - .offset:         0
        .size:           4
        .value_kind:     by_value
      - .offset:         4
        .size:           4
        .value_kind:     by_value
      - .offset:         8
        .size:           4
        .value_kind:     by_value
      - .offset:         12
        .size:           4
        .value_kind:     by_value
      - .offset:         16
        .size:           4
        .value_kind:     by_value
      - .offset:         20
        .size:           4
        .value_kind:     by_value
      - .offset:         24
        .size:           4
        .value_kind:     by_value
      - .actual_access:  read_only
        .address_space:  global
        .offset:         32
        .size:           8
        .value_kind:     global_buffer
      - .actual_access:  read_only
        .address_space:  global
        .offset:         40
        .size:           8
        .value_kind:     global_buffer
      - .actual_access:  read_only
        .address_space:  global
        .offset:         48
        .size:           8
        .value_kind:     global_buffer
      - .offset:         56
        .size:           4
        .value_kind:     by_value
      - .actual_access:  write_only
        .address_space:  global
        .offset:         64
        .size:           8
        .value_kind:     global_buffer
      - .actual_access:  read_only
        .address_space:  global
        .offset:         72
        .size:           8
        .value_kind:     global_buffer
      - .actual_access:  write_only
        .address_space:  global
        .offset:         80
        .size:           8
        .value_kind:     global_buffer
    .group_segment_fixed_size: 16392
    .kernarg_segment_align: 8
    .kernarg_segment_size: 88
    .language:       OpenCL C
    .language_version:
      - 2
      - 0
    .max_flat_workgroup_size: 256
    .name:           _ZN9rocsparseL42csr2bsr_wavefront_per_row_multipass_kernelILj256ELj32ELj16E21rocsparse_complex_numIfEliEEv20rocsparse_direction_T4_S4_S4_S4_S4_21rocsparse_index_base_PKT2_PKT3_PKS4_S5_PS6_PS9_PS4_
    .private_segment_fixed_size: 0
    .sgpr_count:     30
    .sgpr_spill_count: 0
    .symbol:         _ZN9rocsparseL42csr2bsr_wavefront_per_row_multipass_kernelILj256ELj32ELj16E21rocsparse_complex_numIfEliEEv20rocsparse_direction_T4_S4_S4_S4_S4_21rocsparse_index_base_PKT2_PKT3_PKS4_S5_PS6_PS9_PS4_.kd
    .uniform_work_group_size: 1
    .uses_dynamic_stack: false
    .vgpr_count:     57
    .vgpr_spill_count: 0
    .wavefront_size: 32
    .workgroup_processor_mode: 1
  - .args:
      - .offset:         0
        .size:           4
        .value_kind:     by_value
      - .offset:         4
        .size:           4
        .value_kind:     by_value
      - .offset:         8
        .size:           4
        .value_kind:     by_value
      - .offset:         12
        .size:           4
        .value_kind:     by_value
      - .offset:         16
        .size:           4
        .value_kind:     by_value
      - .offset:         20
        .size:           4
        .value_kind:     by_value
      - .offset:         24
        .size:           4
        .value_kind:     by_value
      - .actual_access:  read_only
        .address_space:  global
        .offset:         32
        .size:           8
        .value_kind:     global_buffer
      - .actual_access:  read_only
        .address_space:  global
        .offset:         40
        .size:           8
        .value_kind:     global_buffer
      - .actual_access:  read_only
        .address_space:  global
        .offset:         48
        .size:           8
        .value_kind:     global_buffer
      - .offset:         56
        .size:           4
        .value_kind:     by_value
      - .actual_access:  write_only
        .address_space:  global
        .offset:         64
        .size:           8
        .value_kind:     global_buffer
      - .actual_access:  read_only
        .address_space:  global
        .offset:         72
        .size:           8
        .value_kind:     global_buffer
      - .actual_access:  write_only
        .address_space:  global
        .offset:         80
        .size:           8
        .value_kind:     global_buffer
    .group_segment_fixed_size: 8196
    .kernarg_segment_align: 8
    .kernarg_segment_size: 88
    .language:       OpenCL C
    .language_version:
      - 2
      - 0
    .max_flat_workgroup_size: 256
    .name:           _ZN9rocsparseL38csr2bsr_block_per_row_multipass_kernelILj256ELj32E21rocsparse_complex_numIfEliEEv20rocsparse_direction_T3_S4_S4_S4_S4_21rocsparse_index_base_PKT1_PKT2_PKS4_S5_PS6_PS9_PS4_
    .private_segment_fixed_size: 0
    .sgpr_count:     38
    .sgpr_spill_count: 0
    .symbol:         _ZN9rocsparseL38csr2bsr_block_per_row_multipass_kernelILj256ELj32E21rocsparse_complex_numIfEliEEv20rocsparse_direction_T3_S4_S4_S4_S4_21rocsparse_index_base_PKT1_PKT2_PKS4_S5_PS6_PS9_PS4_.kd
    .uniform_work_group_size: 1
    .uses_dynamic_stack: false
    .vgpr_count:     44
    .vgpr_spill_count: 0
    .wavefront_size: 32
    .workgroup_processor_mode: 1
  - .args:
      - .offset:         0
        .size:           4
        .value_kind:     by_value
      - .offset:         4
        .size:           4
        .value_kind:     by_value
      - .offset:         8
        .size:           4
        .value_kind:     by_value
      - .offset:         12
        .size:           4
        .value_kind:     by_value
      - .offset:         16
        .size:           4
        .value_kind:     by_value
      - .offset:         20
        .size:           4
        .value_kind:     by_value
      - .offset:         24
        .size:           4
        .value_kind:     by_value
      - .actual_access:  read_only
        .address_space:  global
        .offset:         32
        .size:           8
        .value_kind:     global_buffer
      - .actual_access:  read_only
        .address_space:  global
        .offset:         40
        .size:           8
        .value_kind:     global_buffer
      - .actual_access:  read_only
        .address_space:  global
        .offset:         48
        .size:           8
        .value_kind:     global_buffer
      - .offset:         56
        .size:           4
        .value_kind:     by_value
      - .actual_access:  write_only
        .address_space:  global
        .offset:         64
        .size:           8
        .value_kind:     global_buffer
      - .actual_access:  read_only
        .address_space:  global
        .offset:         72
        .size:           8
        .value_kind:     global_buffer
      - .actual_access:  write_only
        .address_space:  global
        .offset:         80
        .size:           8
        .value_kind:     global_buffer
    .group_segment_fixed_size: 32772
    .kernarg_segment_align: 8
    .kernarg_segment_size: 88
    .language:       OpenCL C
    .language_version:
      - 2
      - 0
    .max_flat_workgroup_size: 256
    .name:           _ZN9rocsparseL38csr2bsr_block_per_row_multipass_kernelILj256ELj64E21rocsparse_complex_numIfEliEEv20rocsparse_direction_T3_S4_S4_S4_S4_21rocsparse_index_base_PKT1_PKT2_PKS4_S5_PS6_PS9_PS4_
    .private_segment_fixed_size: 0
    .sgpr_count:     50
    .sgpr_spill_count: 0
    .symbol:         _ZN9rocsparseL38csr2bsr_block_per_row_multipass_kernelILj256ELj64E21rocsparse_complex_numIfEliEEv20rocsparse_direction_T3_S4_S4_S4_S4_21rocsparse_index_base_PKT1_PKT2_PKS4_S5_PS6_PS9_PS4_.kd
    .uniform_work_group_size: 1
    .uses_dynamic_stack: false
    .vgpr_count:     67
    .vgpr_spill_count: 0
    .wavefront_size: 32
    .workgroup_processor_mode: 1
  - .args:
      - .offset:         0
        .size:           4
        .value_kind:     by_value
      - .offset:         4
        .size:           4
        .value_kind:     by_value
      - .offset:         8
        .size:           4
        .value_kind:     by_value
      - .offset:         12
        .size:           4
        .value_kind:     by_value
      - .offset:         16
        .size:           4
        .value_kind:     by_value
      - .offset:         20
        .size:           4
        .value_kind:     by_value
      - .offset:         24
        .size:           4
        .value_kind:     by_value
      - .offset:         28
        .size:           4
        .value_kind:     by_value
      - .actual_access:  read_only
        .address_space:  global
        .offset:         32
        .size:           8
        .value_kind:     global_buffer
      - .actual_access:  read_only
        .address_space:  global
        .offset:         40
        .size:           8
        .value_kind:     global_buffer
      - .actual_access:  read_only
        .address_space:  global
        .offset:         48
        .size:           8
        .value_kind:     global_buffer
      - .offset:         56
        .size:           4
        .value_kind:     by_value
      - .actual_access:  write_only
        .address_space:  global
        .offset:         64
        .size:           8
        .value_kind:     global_buffer
      - .actual_access:  read_only
        .address_space:  global
        .offset:         72
        .size:           8
        .value_kind:     global_buffer
      - .actual_access:  write_only
        .address_space:  global
        .offset:         80
        .size:           8
        .value_kind:     global_buffer
      - .address_space:  global
        .offset:         88
        .size:           8
        .value_kind:     global_buffer
      - .address_space:  global
        .offset:         96
        .size:           8
        .value_kind:     global_buffer
      - .address_space:  global
        .offset:         104
        .size:           8
        .value_kind:     global_buffer
    .group_segment_fixed_size: 0
    .kernarg_segment_align: 8
    .kernarg_segment_size: 112
    .language:       OpenCL C
    .language_version:
      - 2
      - 0
    .max_flat_workgroup_size: 32
    .name:           _ZN9rocsparseL21csr2bsr_65_inf_kernelILj32E21rocsparse_complex_numIfEliEEv20rocsparse_direction_T2_S4_S4_S4_S4_S4_21rocsparse_index_base_PKT0_PKT1_PKS4_S5_PS6_PS9_PS4_SF_SG_SE_
    .private_segment_fixed_size: 0
    .sgpr_count:     36
    .sgpr_spill_count: 0
    .symbol:         _ZN9rocsparseL21csr2bsr_65_inf_kernelILj32E21rocsparse_complex_numIfEliEEv20rocsparse_direction_T2_S4_S4_S4_S4_S4_21rocsparse_index_base_PKT0_PKT1_PKS4_S5_PS6_PS9_PS4_SF_SG_SE_.kd
    .uniform_work_group_size: 1
    .uses_dynamic_stack: false
    .vgpr_count:     41
    .vgpr_spill_count: 0
    .wavefront_size: 32
    .workgroup_processor_mode: 1
  - .args:
      - .offset:         0
        .size:           8
        .value_kind:     by_value
      - .offset:         8
        .size:           8
        .value_kind:     by_value
      - .offset:         16
        .size:           8
        .value_kind:     by_value
      - .offset:         24
        .size:           8
        .value_kind:     by_value
      - .offset:         32
        .size:           4
        .value_kind:     by_value
      - .address_space:  global
        .offset:         40
        .size:           8
        .value_kind:     global_buffer
      - .address_space:  global
        .offset:         48
        .size:           8
        .value_kind:     global_buffer
      - .address_space:  global
        .offset:         56
        .size:           8
        .value_kind:     global_buffer
      - .offset:         64
        .size:           4
        .value_kind:     by_value
      - .address_space:  global
        .offset:         72
        .size:           8
        .value_kind:     global_buffer
      - .address_space:  global
        .offset:         80
        .size:           8
        .value_kind:     global_buffer
      - .address_space:  global
        .offset:         88
        .size:           8
        .value_kind:     global_buffer
      - .offset:         96
        .size:           4
        .value_kind:     hidden_block_count_x
      - .offset:         100
        .size:           4
        .value_kind:     hidden_block_count_y
      - .offset:         104
        .size:           4
        .value_kind:     hidden_block_count_z
      - .offset:         108
        .size:           2
        .value_kind:     hidden_group_size_x
      - .offset:         110
        .size:           2
        .value_kind:     hidden_group_size_y
      - .offset:         112
        .size:           2
        .value_kind:     hidden_group_size_z
      - .offset:         114
        .size:           2
        .value_kind:     hidden_remainder_x
      - .offset:         116
        .size:           2
        .value_kind:     hidden_remainder_y
      - .offset:         118
        .size:           2
        .value_kind:     hidden_remainder_z
      - .offset:         136
        .size:           8
        .value_kind:     hidden_global_offset_x
      - .offset:         144
        .size:           8
        .value_kind:     hidden_global_offset_y
      - .offset:         152
        .size:           8
        .value_kind:     hidden_global_offset_z
      - .offset:         160
        .size:           2
        .value_kind:     hidden_grid_dims
    .group_segment_fixed_size: 0
    .kernarg_segment_align: 8
    .kernarg_segment_size: 352
    .language:       OpenCL C
    .language_version:
      - 2
      - 0
    .max_flat_workgroup_size: 256
    .name:           _ZN9rocsparseL35csr2bsr_block_dim_equals_one_kernelILj256E21rocsparse_complex_numIfEilEEvT2_S3_S3_S3_21rocsparse_index_base_PKT0_PKT1_PKS3_S4_PS5_PS8_PS3_
    .private_segment_fixed_size: 0
    .sgpr_count:     18
    .sgpr_spill_count: 0
    .symbol:         _ZN9rocsparseL35csr2bsr_block_dim_equals_one_kernelILj256E21rocsparse_complex_numIfEilEEvT2_S3_S3_S3_21rocsparse_index_base_PKT0_PKT1_PKS3_S4_PS5_PS8_PS3_.kd
    .uniform_work_group_size: 1
    .uses_dynamic_stack: false
    .vgpr_count:     9
    .vgpr_spill_count: 0
    .wavefront_size: 32
    .workgroup_processor_mode: 1
  - .args:
      - .offset:         0
        .size:           4
        .value_kind:     by_value
      - .offset:         8
        .size:           8
        .value_kind:     by_value
      - .offset:         16
        .size:           8
        .value_kind:     by_value
      - .offset:         24
        .size:           8
        .value_kind:     by_value
      - .offset:         32
        .size:           8
        .value_kind:     by_value
      - .offset:         40
        .size:           8
        .value_kind:     by_value
      - .offset:         48
        .size:           4
        .value_kind:     by_value
      - .actual_access:  read_only
        .address_space:  global
        .offset:         56
        .size:           8
        .value_kind:     global_buffer
      - .actual_access:  read_only
        .address_space:  global
        .offset:         64
        .size:           8
        .value_kind:     global_buffer
      - .actual_access:  read_only
        .address_space:  global
        .offset:         72
        .size:           8
        .value_kind:     global_buffer
      - .offset:         80
        .size:           4
        .value_kind:     by_value
      - .actual_access:  write_only
        .address_space:  global
        .offset:         88
        .size:           8
        .value_kind:     global_buffer
      - .actual_access:  read_only
        .address_space:  global
        .offset:         96
        .size:           8
        .value_kind:     global_buffer
      - .actual_access:  write_only
        .address_space:  global
        .offset:         104
        .size:           8
        .value_kind:     global_buffer
    .group_segment_fixed_size: 2064
    .kernarg_segment_align: 8
    .kernarg_segment_size: 112
    .language:       OpenCL C
    .language_version:
      - 2
      - 0
    .max_flat_workgroup_size: 256
    .name:           _ZN9rocsparseL42csr2bsr_wavefront_per_row_multipass_kernelILj256ELj16ELj4E21rocsparse_complex_numIfEilEEv20rocsparse_direction_T4_S4_S4_S4_S4_21rocsparse_index_base_PKT2_PKT3_PKS4_S5_PS6_PS9_PS4_
    .private_segment_fixed_size: 0
    .sgpr_count:     27
    .sgpr_spill_count: 0
    .symbol:         _ZN9rocsparseL42csr2bsr_wavefront_per_row_multipass_kernelILj256ELj16ELj4E21rocsparse_complex_numIfEilEEv20rocsparse_direction_T4_S4_S4_S4_S4_21rocsparse_index_base_PKT2_PKT3_PKS4_S5_PS6_PS9_PS4_.kd
    .uniform_work_group_size: 1
    .uses_dynamic_stack: false
    .vgpr_count:     41
    .vgpr_spill_count: 0
    .wavefront_size: 32
    .workgroup_processor_mode: 1
  - .args:
      - .offset:         0
        .size:           4
        .value_kind:     by_value
      - .offset:         8
        .size:           8
        .value_kind:     by_value
      - .offset:         16
        .size:           8
        .value_kind:     by_value
      - .offset:         24
        .size:           8
        .value_kind:     by_value
      - .offset:         32
        .size:           8
        .value_kind:     by_value
      - .offset:         40
        .size:           8
        .value_kind:     by_value
      - .offset:         48
        .size:           4
        .value_kind:     by_value
      - .actual_access:  read_only
        .address_space:  global
        .offset:         56
        .size:           8
        .value_kind:     global_buffer
      - .actual_access:  read_only
        .address_space:  global
        .offset:         64
        .size:           8
        .value_kind:     global_buffer
      - .actual_access:  read_only
        .address_space:  global
        .offset:         72
        .size:           8
        .value_kind:     global_buffer
      - .offset:         80
        .size:           4
        .value_kind:     by_value
      - .actual_access:  write_only
        .address_space:  global
        .offset:         88
        .size:           8
        .value_kind:     global_buffer
      - .actual_access:  read_only
        .address_space:  global
        .offset:         96
        .size:           8
        .value_kind:     global_buffer
      - .actual_access:  write_only
        .address_space:  global
        .offset:         104
        .size:           8
        .value_kind:     global_buffer
    .group_segment_fixed_size: 2052
    .kernarg_segment_align: 8
    .kernarg_segment_size: 112
    .language:       OpenCL C
    .language_version:
      - 2
      - 0
    .max_flat_workgroup_size: 256
    .name:           _ZN9rocsparseL42csr2bsr_wavefront_per_row_multipass_kernelILj256ELj64ELj8E21rocsparse_complex_numIfEilEEv20rocsparse_direction_T4_S4_S4_S4_S4_21rocsparse_index_base_PKT2_PKT3_PKS4_S5_PS6_PS9_PS4_
    .private_segment_fixed_size: 0
    .sgpr_count:     27
    .sgpr_spill_count: 0
    .symbol:         _ZN9rocsparseL42csr2bsr_wavefront_per_row_multipass_kernelILj256ELj64ELj8E21rocsparse_complex_numIfEilEEv20rocsparse_direction_T4_S4_S4_S4_S4_21rocsparse_index_base_PKT2_PKT3_PKS4_S5_PS6_PS9_PS4_.kd
    .uniform_work_group_size: 1
    .uses_dynamic_stack: false
    .vgpr_count:     43
    .vgpr_spill_count: 0
    .wavefront_size: 32
    .workgroup_processor_mode: 1
  - .args:
      - .offset:         0
        .size:           4
        .value_kind:     by_value
      - .offset:         8
        .size:           8
        .value_kind:     by_value
      - .offset:         16
        .size:           8
        .value_kind:     by_value
      - .offset:         24
        .size:           8
        .value_kind:     by_value
      - .offset:         32
        .size:           8
        .value_kind:     by_value
      - .offset:         40
        .size:           8
        .value_kind:     by_value
      - .offset:         48
        .size:           4
        .value_kind:     by_value
      - .actual_access:  read_only
        .address_space:  global
        .offset:         56
        .size:           8
        .value_kind:     global_buffer
      - .actual_access:  read_only
        .address_space:  global
        .offset:         64
        .size:           8
        .value_kind:     global_buffer
      - .actual_access:  read_only
        .address_space:  global
        .offset:         72
        .size:           8
        .value_kind:     global_buffer
      - .offset:         80
        .size:           4
        .value_kind:     by_value
      - .actual_access:  write_only
        .address_space:  global
        .offset:         88
        .size:           8
        .value_kind:     global_buffer
      - .actual_access:  read_only
        .address_space:  global
        .offset:         96
        .size:           8
        .value_kind:     global_buffer
      - .actual_access:  write_only
        .address_space:  global
        .offset:         104
        .size:           8
        .value_kind:     global_buffer
    .group_segment_fixed_size: 4104
    .kernarg_segment_align: 8
    .kernarg_segment_size: 112
    .language:       OpenCL C
    .language_version:
      - 2
      - 0
    .max_flat_workgroup_size: 256
    .name:           _ZN9rocsparseL42csr2bsr_wavefront_per_row_multipass_kernelILj256ELj32ELj8E21rocsparse_complex_numIfEilEEv20rocsparse_direction_T4_S4_S4_S4_S4_21rocsparse_index_base_PKT2_PKT3_PKS4_S5_PS6_PS9_PS4_
    .private_segment_fixed_size: 0
    .sgpr_count:     29
    .sgpr_spill_count: 0
    .symbol:         _ZN9rocsparseL42csr2bsr_wavefront_per_row_multipass_kernelILj256ELj32ELj8E21rocsparse_complex_numIfEilEEv20rocsparse_direction_T4_S4_S4_S4_S4_21rocsparse_index_base_PKT2_PKT3_PKS4_S5_PS6_PS9_PS4_.kd
    .uniform_work_group_size: 1
    .uses_dynamic_stack: false
    .vgpr_count:     48
    .vgpr_spill_count: 0
    .wavefront_size: 32
    .workgroup_processor_mode: 1
  - .args:
      - .offset:         0
        .size:           4
        .value_kind:     by_value
      - .offset:         8
        .size:           8
        .value_kind:     by_value
      - .offset:         16
        .size:           8
        .value_kind:     by_value
      - .offset:         24
        .size:           8
        .value_kind:     by_value
      - .offset:         32
        .size:           8
        .value_kind:     by_value
      - .offset:         40
        .size:           8
        .value_kind:     by_value
      - .offset:         48
        .size:           4
        .value_kind:     by_value
      - .actual_access:  read_only
        .address_space:  global
        .offset:         56
        .size:           8
        .value_kind:     global_buffer
      - .actual_access:  read_only
        .address_space:  global
        .offset:         64
        .size:           8
        .value_kind:     global_buffer
      - .actual_access:  read_only
        .address_space:  global
        .offset:         72
        .size:           8
        .value_kind:     global_buffer
      - .offset:         80
        .size:           4
        .value_kind:     by_value
      - .actual_access:  write_only
        .address_space:  global
        .offset:         88
        .size:           8
        .value_kind:     global_buffer
      - .actual_access:  read_only
        .address_space:  global
        .offset:         96
        .size:           8
        .value_kind:     global_buffer
      - .actual_access:  write_only
        .address_space:  global
        .offset:         104
        .size:           8
        .value_kind:     global_buffer
    .group_segment_fixed_size: 8196
    .kernarg_segment_align: 8
    .kernarg_segment_size: 112
    .language:       OpenCL C
    .language_version:
      - 2
      - 0
    .max_flat_workgroup_size: 256
    .name:           _ZN9rocsparseL42csr2bsr_wavefront_per_row_multipass_kernelILj256ELj64ELj16E21rocsparse_complex_numIfEilEEv20rocsparse_direction_T4_S4_S4_S4_S4_21rocsparse_index_base_PKT2_PKT3_PKS4_S5_PS6_PS9_PS4_
    .private_segment_fixed_size: 0
    .sgpr_count:     31
    .sgpr_spill_count: 0
    .symbol:         _ZN9rocsparseL42csr2bsr_wavefront_per_row_multipass_kernelILj256ELj64ELj16E21rocsparse_complex_numIfEilEEv20rocsparse_direction_T4_S4_S4_S4_S4_21rocsparse_index_base_PKT2_PKT3_PKS4_S5_PS6_PS9_PS4_.kd
    .uniform_work_group_size: 1
    .uses_dynamic_stack: false
    .vgpr_count:     53
    .vgpr_spill_count: 0
    .wavefront_size: 32
    .workgroup_processor_mode: 1
  - .args:
      - .offset:         0
        .size:           4
        .value_kind:     by_value
      - .offset:         8
        .size:           8
        .value_kind:     by_value
      - .offset:         16
        .size:           8
        .value_kind:     by_value
      - .offset:         24
        .size:           8
        .value_kind:     by_value
      - .offset:         32
        .size:           8
        .value_kind:     by_value
      - .offset:         40
        .size:           8
        .value_kind:     by_value
      - .offset:         48
        .size:           4
        .value_kind:     by_value
      - .actual_access:  read_only
        .address_space:  global
        .offset:         56
        .size:           8
        .value_kind:     global_buffer
      - .actual_access:  read_only
        .address_space:  global
        .offset:         64
        .size:           8
        .value_kind:     global_buffer
      - .actual_access:  read_only
        .address_space:  global
        .offset:         72
        .size:           8
        .value_kind:     global_buffer
      - .offset:         80
        .size:           4
        .value_kind:     by_value
      - .actual_access:  write_only
        .address_space:  global
        .offset:         88
        .size:           8
        .value_kind:     global_buffer
      - .actual_access:  read_only
        .address_space:  global
        .offset:         96
        .size:           8
        .value_kind:     global_buffer
      - .actual_access:  write_only
        .address_space:  global
        .offset:         104
        .size:           8
        .value_kind:     global_buffer
    .group_segment_fixed_size: 16392
    .kernarg_segment_align: 8
    .kernarg_segment_size: 112
    .language:       OpenCL C
    .language_version:
      - 2
      - 0
    .max_flat_workgroup_size: 256
    .name:           _ZN9rocsparseL42csr2bsr_wavefront_per_row_multipass_kernelILj256ELj32ELj16E21rocsparse_complex_numIfEilEEv20rocsparse_direction_T4_S4_S4_S4_S4_21rocsparse_index_base_PKT2_PKT3_PKS4_S5_PS6_PS9_PS4_
    .private_segment_fixed_size: 0
    .sgpr_count:     38
    .sgpr_spill_count: 0
    .symbol:         _ZN9rocsparseL42csr2bsr_wavefront_per_row_multipass_kernelILj256ELj32ELj16E21rocsparse_complex_numIfEilEEv20rocsparse_direction_T4_S4_S4_S4_S4_21rocsparse_index_base_PKT2_PKT3_PKS4_S5_PS6_PS9_PS4_.kd
    .uniform_work_group_size: 1
    .uses_dynamic_stack: false
    .vgpr_count:     58
    .vgpr_spill_count: 0
    .wavefront_size: 32
    .workgroup_processor_mode: 1
  - .args:
      - .offset:         0
        .size:           4
        .value_kind:     by_value
      - .offset:         8
        .size:           8
        .value_kind:     by_value
      - .offset:         16
        .size:           8
        .value_kind:     by_value
      - .offset:         24
        .size:           8
        .value_kind:     by_value
      - .offset:         32
        .size:           8
        .value_kind:     by_value
      - .offset:         40
        .size:           8
        .value_kind:     by_value
      - .offset:         48
        .size:           4
        .value_kind:     by_value
      - .actual_access:  read_only
        .address_space:  global
        .offset:         56
        .size:           8
        .value_kind:     global_buffer
      - .actual_access:  read_only
        .address_space:  global
        .offset:         64
        .size:           8
        .value_kind:     global_buffer
      - .actual_access:  read_only
        .address_space:  global
        .offset:         72
        .size:           8
        .value_kind:     global_buffer
      - .offset:         80
        .size:           4
        .value_kind:     by_value
      - .actual_access:  write_only
        .address_space:  global
        .offset:         88
        .size:           8
        .value_kind:     global_buffer
      - .actual_access:  read_only
        .address_space:  global
        .offset:         96
        .size:           8
        .value_kind:     global_buffer
      - .actual_access:  write_only
        .address_space:  global
        .offset:         104
        .size:           8
        .value_kind:     global_buffer
    .group_segment_fixed_size: 8196
    .kernarg_segment_align: 8
    .kernarg_segment_size: 112
    .language:       OpenCL C
    .language_version:
      - 2
      - 0
    .max_flat_workgroup_size: 256
    .name:           _ZN9rocsparseL38csr2bsr_block_per_row_multipass_kernelILj256ELj32E21rocsparse_complex_numIfEilEEv20rocsparse_direction_T3_S4_S4_S4_S4_21rocsparse_index_base_PKT1_PKT2_PKS4_S5_PS6_PS9_PS4_
    .private_segment_fixed_size: 0
    .sgpr_count:     42
    .sgpr_spill_count: 0
    .symbol:         _ZN9rocsparseL38csr2bsr_block_per_row_multipass_kernelILj256ELj32E21rocsparse_complex_numIfEilEEv20rocsparse_direction_T3_S4_S4_S4_S4_21rocsparse_index_base_PKT1_PKT2_PKS4_S5_PS6_PS9_PS4_.kd
    .uniform_work_group_size: 1
    .uses_dynamic_stack: false
    .vgpr_count:     45
    .vgpr_spill_count: 0
    .wavefront_size: 32
    .workgroup_processor_mode: 1
  - .args:
      - .offset:         0
        .size:           4
        .value_kind:     by_value
      - .offset:         8
        .size:           8
        .value_kind:     by_value
      - .offset:         16
        .size:           8
        .value_kind:     by_value
      - .offset:         24
        .size:           8
        .value_kind:     by_value
      - .offset:         32
        .size:           8
        .value_kind:     by_value
      - .offset:         40
        .size:           8
        .value_kind:     by_value
      - .offset:         48
        .size:           4
        .value_kind:     by_value
      - .actual_access:  read_only
        .address_space:  global
        .offset:         56
        .size:           8
        .value_kind:     global_buffer
      - .actual_access:  read_only
        .address_space:  global
        .offset:         64
        .size:           8
        .value_kind:     global_buffer
      - .actual_access:  read_only
        .address_space:  global
        .offset:         72
        .size:           8
        .value_kind:     global_buffer
      - .offset:         80
        .size:           4
        .value_kind:     by_value
      - .actual_access:  write_only
        .address_space:  global
        .offset:         88
        .size:           8
        .value_kind:     global_buffer
      - .actual_access:  read_only
        .address_space:  global
        .offset:         96
        .size:           8
        .value_kind:     global_buffer
      - .actual_access:  write_only
        .address_space:  global
        .offset:         104
        .size:           8
        .value_kind:     global_buffer
    .group_segment_fixed_size: 32772
    .kernarg_segment_align: 8
    .kernarg_segment_size: 112
    .language:       OpenCL C
    .language_version:
      - 2
      - 0
    .max_flat_workgroup_size: 256
    .name:           _ZN9rocsparseL38csr2bsr_block_per_row_multipass_kernelILj256ELj64E21rocsparse_complex_numIfEilEEv20rocsparse_direction_T3_S4_S4_S4_S4_21rocsparse_index_base_PKT1_PKT2_PKS4_S5_PS6_PS9_PS4_
    .private_segment_fixed_size: 0
    .sgpr_count:     54
    .sgpr_spill_count: 0
    .symbol:         _ZN9rocsparseL38csr2bsr_block_per_row_multipass_kernelILj256ELj64E21rocsparse_complex_numIfEilEEv20rocsparse_direction_T3_S4_S4_S4_S4_21rocsparse_index_base_PKT1_PKT2_PKS4_S5_PS6_PS9_PS4_.kd
    .uniform_work_group_size: 1
    .uses_dynamic_stack: false
    .vgpr_count:     69
    .vgpr_spill_count: 0
    .wavefront_size: 32
    .workgroup_processor_mode: 1
  - .args:
      - .offset:         0
        .size:           4
        .value_kind:     by_value
      - .offset:         8
        .size:           8
        .value_kind:     by_value
      - .offset:         16
        .size:           8
        .value_kind:     by_value
      - .offset:         24
        .size:           8
        .value_kind:     by_value
      - .offset:         32
        .size:           8
        .value_kind:     by_value
      - .offset:         40
        .size:           8
        .value_kind:     by_value
      - .offset:         48
        .size:           8
        .value_kind:     by_value
      - .offset:         56
        .size:           4
        .value_kind:     by_value
      - .actual_access:  read_only
        .address_space:  global
        .offset:         64
        .size:           8
        .value_kind:     global_buffer
      - .actual_access:  read_only
        .address_space:  global
        .offset:         72
        .size:           8
        .value_kind:     global_buffer
      - .actual_access:  read_only
        .address_space:  global
        .offset:         80
        .size:           8
        .value_kind:     global_buffer
      - .offset:         88
        .size:           4
        .value_kind:     by_value
      - .actual_access:  write_only
        .address_space:  global
        .offset:         96
        .size:           8
        .value_kind:     global_buffer
      - .actual_access:  read_only
        .address_space:  global
        .offset:         104
        .size:           8
        .value_kind:     global_buffer
      - .actual_access:  write_only
        .address_space:  global
        .offset:         112
        .size:           8
        .value_kind:     global_buffer
      - .address_space:  global
        .offset:         120
        .size:           8
        .value_kind:     global_buffer
      - .address_space:  global
        .offset:         128
        .size:           8
        .value_kind:     global_buffer
      - .address_space:  global
        .offset:         136
        .size:           8
        .value_kind:     global_buffer
    .group_segment_fixed_size: 0
    .kernarg_segment_align: 8
    .kernarg_segment_size: 144
    .language:       OpenCL C
    .language_version:
      - 2
      - 0
    .max_flat_workgroup_size: 32
    .name:           _ZN9rocsparseL21csr2bsr_65_inf_kernelILj32E21rocsparse_complex_numIfEilEEv20rocsparse_direction_T2_S4_S4_S4_S4_S4_21rocsparse_index_base_PKT0_PKT1_PKS4_S5_PS6_PS9_PS4_SF_SG_SE_
    .private_segment_fixed_size: 0
    .sgpr_count:     40
    .sgpr_spill_count: 0
    .symbol:         _ZN9rocsparseL21csr2bsr_65_inf_kernelILj32E21rocsparse_complex_numIfEilEEv20rocsparse_direction_T2_S4_S4_S4_S4_S4_21rocsparse_index_base_PKT0_PKT1_PKS4_S5_PS6_PS9_PS4_SF_SG_SE_.kd
    .uniform_work_group_size: 1
    .uses_dynamic_stack: false
    .vgpr_count:     48
    .vgpr_spill_count: 0
    .wavefront_size: 32
    .workgroup_processor_mode: 1
  - .args:
      - .offset:         0
        .size:           8
        .value_kind:     by_value
      - .offset:         8
        .size:           8
        .value_kind:     by_value
      - .offset:         16
        .size:           8
        .value_kind:     by_value
      - .offset:         24
        .size:           8
        .value_kind:     by_value
      - .offset:         32
        .size:           4
        .value_kind:     by_value
      - .address_space:  global
        .offset:         40
        .size:           8
        .value_kind:     global_buffer
      - .address_space:  global
        .offset:         48
        .size:           8
        .value_kind:     global_buffer
      - .address_space:  global
        .offset:         56
        .size:           8
        .value_kind:     global_buffer
      - .offset:         64
        .size:           4
        .value_kind:     by_value
      - .address_space:  global
        .offset:         72
        .size:           8
        .value_kind:     global_buffer
      - .address_space:  global
        .offset:         80
        .size:           8
        .value_kind:     global_buffer
      - .address_space:  global
        .offset:         88
        .size:           8
        .value_kind:     global_buffer
      - .offset:         96
        .size:           4
        .value_kind:     hidden_block_count_x
      - .offset:         100
        .size:           4
        .value_kind:     hidden_block_count_y
      - .offset:         104
        .size:           4
        .value_kind:     hidden_block_count_z
      - .offset:         108
        .size:           2
        .value_kind:     hidden_group_size_x
      - .offset:         110
        .size:           2
        .value_kind:     hidden_group_size_y
      - .offset:         112
        .size:           2
        .value_kind:     hidden_group_size_z
      - .offset:         114
        .size:           2
        .value_kind:     hidden_remainder_x
      - .offset:         116
        .size:           2
        .value_kind:     hidden_remainder_y
      - .offset:         118
        .size:           2
        .value_kind:     hidden_remainder_z
      - .offset:         136
        .size:           8
        .value_kind:     hidden_global_offset_x
      - .offset:         144
        .size:           8
        .value_kind:     hidden_global_offset_y
      - .offset:         152
        .size:           8
        .value_kind:     hidden_global_offset_z
      - .offset:         160
        .size:           2
        .value_kind:     hidden_grid_dims
    .group_segment_fixed_size: 0
    .kernarg_segment_align: 8
    .kernarg_segment_size: 352
    .language:       OpenCL C
    .language_version:
      - 2
      - 0
    .max_flat_workgroup_size: 256
    .name:           _ZN9rocsparseL35csr2bsr_block_dim_equals_one_kernelILj256E21rocsparse_complex_numIfEllEEvT2_S3_S3_S3_21rocsparse_index_base_PKT0_PKT1_PKS3_S4_PS5_PS8_PS3_
    .private_segment_fixed_size: 0
    .sgpr_count:     19
    .sgpr_spill_count: 0
    .symbol:         _ZN9rocsparseL35csr2bsr_block_dim_equals_one_kernelILj256E21rocsparse_complex_numIfEllEEvT2_S3_S3_S3_21rocsparse_index_base_PKT0_PKT1_PKS3_S4_PS5_PS8_PS3_.kd
    .uniform_work_group_size: 1
    .uses_dynamic_stack: false
    .vgpr_count:     10
    .vgpr_spill_count: 0
    .wavefront_size: 32
    .workgroup_processor_mode: 1
  - .args:
      - .offset:         0
        .size:           4
        .value_kind:     by_value
      - .offset:         8
        .size:           8
        .value_kind:     by_value
      - .offset:         16
        .size:           8
        .value_kind:     by_value
      - .offset:         24
        .size:           8
        .value_kind:     by_value
      - .offset:         32
        .size:           8
        .value_kind:     by_value
      - .offset:         40
        .size:           8
        .value_kind:     by_value
      - .offset:         48
        .size:           4
        .value_kind:     by_value
      - .actual_access:  read_only
        .address_space:  global
        .offset:         56
        .size:           8
        .value_kind:     global_buffer
      - .actual_access:  read_only
        .address_space:  global
        .offset:         64
        .size:           8
        .value_kind:     global_buffer
      - .actual_access:  read_only
        .address_space:  global
        .offset:         72
        .size:           8
        .value_kind:     global_buffer
      - .offset:         80
        .size:           4
        .value_kind:     by_value
      - .actual_access:  write_only
        .address_space:  global
        .offset:         88
        .size:           8
        .value_kind:     global_buffer
      - .actual_access:  read_only
        .address_space:  global
        .offset:         96
        .size:           8
        .value_kind:     global_buffer
      - .actual_access:  write_only
        .address_space:  global
        .offset:         104
        .size:           8
        .value_kind:     global_buffer
    .group_segment_fixed_size: 2064
    .kernarg_segment_align: 8
    .kernarg_segment_size: 112
    .language:       OpenCL C
    .language_version:
      - 2
      - 0
    .max_flat_workgroup_size: 256
    .name:           _ZN9rocsparseL42csr2bsr_wavefront_per_row_multipass_kernelILj256ELj16ELj4E21rocsparse_complex_numIfEllEEv20rocsparse_direction_T4_S4_S4_S4_S4_21rocsparse_index_base_PKT2_PKT3_PKS4_S5_PS6_PS9_PS4_
    .private_segment_fixed_size: 0
    .sgpr_count:     27
    .sgpr_spill_count: 0
    .symbol:         _ZN9rocsparseL42csr2bsr_wavefront_per_row_multipass_kernelILj256ELj16ELj4E21rocsparse_complex_numIfEllEEv20rocsparse_direction_T4_S4_S4_S4_S4_21rocsparse_index_base_PKT2_PKT3_PKS4_S5_PS6_PS9_PS4_.kd
    .uniform_work_group_size: 1
    .uses_dynamic_stack: false
    .vgpr_count:     46
    .vgpr_spill_count: 0
    .wavefront_size: 32
    .workgroup_processor_mode: 1
  - .args:
      - .offset:         0
        .size:           4
        .value_kind:     by_value
      - .offset:         8
        .size:           8
        .value_kind:     by_value
      - .offset:         16
        .size:           8
        .value_kind:     by_value
      - .offset:         24
        .size:           8
        .value_kind:     by_value
      - .offset:         32
        .size:           8
        .value_kind:     by_value
      - .offset:         40
        .size:           8
        .value_kind:     by_value
      - .offset:         48
        .size:           4
        .value_kind:     by_value
      - .actual_access:  read_only
        .address_space:  global
        .offset:         56
        .size:           8
        .value_kind:     global_buffer
      - .actual_access:  read_only
        .address_space:  global
        .offset:         64
        .size:           8
        .value_kind:     global_buffer
      - .actual_access:  read_only
        .address_space:  global
        .offset:         72
        .size:           8
        .value_kind:     global_buffer
      - .offset:         80
        .size:           4
        .value_kind:     by_value
      - .actual_access:  write_only
        .address_space:  global
        .offset:         88
        .size:           8
        .value_kind:     global_buffer
      - .actual_access:  read_only
        .address_space:  global
        .offset:         96
        .size:           8
        .value_kind:     global_buffer
      - .actual_access:  write_only
        .address_space:  global
        .offset:         104
        .size:           8
        .value_kind:     global_buffer
    .group_segment_fixed_size: 2052
    .kernarg_segment_align: 8
    .kernarg_segment_size: 112
    .language:       OpenCL C
    .language_version:
      - 2
      - 0
    .max_flat_workgroup_size: 256
    .name:           _ZN9rocsparseL42csr2bsr_wavefront_per_row_multipass_kernelILj256ELj64ELj8E21rocsparse_complex_numIfEllEEv20rocsparse_direction_T4_S4_S4_S4_S4_21rocsparse_index_base_PKT2_PKT3_PKS4_S5_PS6_PS9_PS4_
    .private_segment_fixed_size: 0
    .sgpr_count:     27
    .sgpr_spill_count: 0
    .symbol:         _ZN9rocsparseL42csr2bsr_wavefront_per_row_multipass_kernelILj256ELj64ELj8E21rocsparse_complex_numIfEllEEv20rocsparse_direction_T4_S4_S4_S4_S4_21rocsparse_index_base_PKT2_PKT3_PKS4_S5_PS6_PS9_PS4_.kd
    .uniform_work_group_size: 1
    .uses_dynamic_stack: false
    .vgpr_count:     48
    .vgpr_spill_count: 0
    .wavefront_size: 32
    .workgroup_processor_mode: 1
  - .args:
      - .offset:         0
        .size:           4
        .value_kind:     by_value
      - .offset:         8
        .size:           8
        .value_kind:     by_value
      - .offset:         16
        .size:           8
        .value_kind:     by_value
      - .offset:         24
        .size:           8
        .value_kind:     by_value
      - .offset:         32
        .size:           8
        .value_kind:     by_value
      - .offset:         40
        .size:           8
        .value_kind:     by_value
      - .offset:         48
        .size:           4
        .value_kind:     by_value
      - .actual_access:  read_only
        .address_space:  global
        .offset:         56
        .size:           8
        .value_kind:     global_buffer
      - .actual_access:  read_only
        .address_space:  global
        .offset:         64
        .size:           8
        .value_kind:     global_buffer
      - .actual_access:  read_only
        .address_space:  global
        .offset:         72
        .size:           8
        .value_kind:     global_buffer
      - .offset:         80
        .size:           4
        .value_kind:     by_value
      - .actual_access:  write_only
        .address_space:  global
        .offset:         88
        .size:           8
        .value_kind:     global_buffer
      - .actual_access:  read_only
        .address_space:  global
        .offset:         96
        .size:           8
        .value_kind:     global_buffer
      - .actual_access:  write_only
        .address_space:  global
        .offset:         104
        .size:           8
        .value_kind:     global_buffer
    .group_segment_fixed_size: 4104
    .kernarg_segment_align: 8
    .kernarg_segment_size: 112
    .language:       OpenCL C
    .language_version:
      - 2
      - 0
    .max_flat_workgroup_size: 256
    .name:           _ZN9rocsparseL42csr2bsr_wavefront_per_row_multipass_kernelILj256ELj32ELj8E21rocsparse_complex_numIfEllEEv20rocsparse_direction_T4_S4_S4_S4_S4_21rocsparse_index_base_PKT2_PKT3_PKS4_S5_PS6_PS9_PS4_
    .private_segment_fixed_size: 0
    .sgpr_count:     29
    .sgpr_spill_count: 0
    .symbol:         _ZN9rocsparseL42csr2bsr_wavefront_per_row_multipass_kernelILj256ELj32ELj8E21rocsparse_complex_numIfEllEEv20rocsparse_direction_T4_S4_S4_S4_S4_21rocsparse_index_base_PKT2_PKT3_PKS4_S5_PS6_PS9_PS4_.kd
    .uniform_work_group_size: 1
    .uses_dynamic_stack: false
    .vgpr_count:     53
    .vgpr_spill_count: 0
    .wavefront_size: 32
    .workgroup_processor_mode: 1
  - .args:
      - .offset:         0
        .size:           4
        .value_kind:     by_value
      - .offset:         8
        .size:           8
        .value_kind:     by_value
      - .offset:         16
        .size:           8
        .value_kind:     by_value
      - .offset:         24
        .size:           8
        .value_kind:     by_value
      - .offset:         32
        .size:           8
        .value_kind:     by_value
      - .offset:         40
        .size:           8
        .value_kind:     by_value
      - .offset:         48
        .size:           4
        .value_kind:     by_value
      - .actual_access:  read_only
        .address_space:  global
        .offset:         56
        .size:           8
        .value_kind:     global_buffer
      - .actual_access:  read_only
        .address_space:  global
        .offset:         64
        .size:           8
        .value_kind:     global_buffer
      - .actual_access:  read_only
        .address_space:  global
        .offset:         72
        .size:           8
        .value_kind:     global_buffer
      - .offset:         80
        .size:           4
        .value_kind:     by_value
      - .actual_access:  write_only
        .address_space:  global
        .offset:         88
        .size:           8
        .value_kind:     global_buffer
      - .actual_access:  read_only
        .address_space:  global
        .offset:         96
        .size:           8
        .value_kind:     global_buffer
      - .actual_access:  write_only
        .address_space:  global
        .offset:         104
        .size:           8
        .value_kind:     global_buffer
    .group_segment_fixed_size: 8196
    .kernarg_segment_align: 8
    .kernarg_segment_size: 112
    .language:       OpenCL C
    .language_version:
      - 2
      - 0
    .max_flat_workgroup_size: 256
    .name:           _ZN9rocsparseL42csr2bsr_wavefront_per_row_multipass_kernelILj256ELj64ELj16E21rocsparse_complex_numIfEllEEv20rocsparse_direction_T4_S4_S4_S4_S4_21rocsparse_index_base_PKT2_PKT3_PKS4_S5_PS6_PS9_PS4_
    .private_segment_fixed_size: 0
    .sgpr_count:     31
    .sgpr_spill_count: 0
    .symbol:         _ZN9rocsparseL42csr2bsr_wavefront_per_row_multipass_kernelILj256ELj64ELj16E21rocsparse_complex_numIfEllEEv20rocsparse_direction_T4_S4_S4_S4_S4_21rocsparse_index_base_PKT2_PKT3_PKS4_S5_PS6_PS9_PS4_.kd
    .uniform_work_group_size: 1
    .uses_dynamic_stack: false
    .vgpr_count:     58
    .vgpr_spill_count: 0
    .wavefront_size: 32
    .workgroup_processor_mode: 1
  - .args:
      - .offset:         0
        .size:           4
        .value_kind:     by_value
      - .offset:         8
        .size:           8
        .value_kind:     by_value
      - .offset:         16
        .size:           8
        .value_kind:     by_value
      - .offset:         24
        .size:           8
        .value_kind:     by_value
      - .offset:         32
        .size:           8
        .value_kind:     by_value
      - .offset:         40
        .size:           8
        .value_kind:     by_value
      - .offset:         48
        .size:           4
        .value_kind:     by_value
      - .actual_access:  read_only
        .address_space:  global
        .offset:         56
        .size:           8
        .value_kind:     global_buffer
      - .actual_access:  read_only
        .address_space:  global
        .offset:         64
        .size:           8
        .value_kind:     global_buffer
      - .actual_access:  read_only
        .address_space:  global
        .offset:         72
        .size:           8
        .value_kind:     global_buffer
      - .offset:         80
        .size:           4
        .value_kind:     by_value
      - .actual_access:  write_only
        .address_space:  global
        .offset:         88
        .size:           8
        .value_kind:     global_buffer
      - .actual_access:  read_only
        .address_space:  global
        .offset:         96
        .size:           8
        .value_kind:     global_buffer
      - .actual_access:  write_only
        .address_space:  global
        .offset:         104
        .size:           8
        .value_kind:     global_buffer
    .group_segment_fixed_size: 16392
    .kernarg_segment_align: 8
    .kernarg_segment_size: 112
    .language:       OpenCL C
    .language_version:
      - 2
      - 0
    .max_flat_workgroup_size: 256
    .name:           _ZN9rocsparseL42csr2bsr_wavefront_per_row_multipass_kernelILj256ELj32ELj16E21rocsparse_complex_numIfEllEEv20rocsparse_direction_T4_S4_S4_S4_S4_21rocsparse_index_base_PKT2_PKT3_PKS4_S5_PS6_PS9_PS4_
    .private_segment_fixed_size: 0
    .sgpr_count:     38
    .sgpr_spill_count: 0
    .symbol:         _ZN9rocsparseL42csr2bsr_wavefront_per_row_multipass_kernelILj256ELj32ELj16E21rocsparse_complex_numIfEllEEv20rocsparse_direction_T4_S4_S4_S4_S4_21rocsparse_index_base_PKT2_PKT3_PKS4_S5_PS6_PS9_PS4_.kd
    .uniform_work_group_size: 1
    .uses_dynamic_stack: false
    .vgpr_count:     63
    .vgpr_spill_count: 0
    .wavefront_size: 32
    .workgroup_processor_mode: 1
  - .args:
      - .offset:         0
        .size:           4
        .value_kind:     by_value
      - .offset:         8
        .size:           8
        .value_kind:     by_value
      - .offset:         16
        .size:           8
        .value_kind:     by_value
      - .offset:         24
        .size:           8
        .value_kind:     by_value
      - .offset:         32
        .size:           8
        .value_kind:     by_value
      - .offset:         40
        .size:           8
        .value_kind:     by_value
      - .offset:         48
        .size:           4
        .value_kind:     by_value
      - .actual_access:  read_only
        .address_space:  global
        .offset:         56
        .size:           8
        .value_kind:     global_buffer
      - .actual_access:  read_only
        .address_space:  global
        .offset:         64
        .size:           8
        .value_kind:     global_buffer
      - .actual_access:  read_only
        .address_space:  global
        .offset:         72
        .size:           8
        .value_kind:     global_buffer
      - .offset:         80
        .size:           4
        .value_kind:     by_value
      - .actual_access:  write_only
        .address_space:  global
        .offset:         88
        .size:           8
        .value_kind:     global_buffer
      - .actual_access:  read_only
        .address_space:  global
        .offset:         96
        .size:           8
        .value_kind:     global_buffer
      - .actual_access:  write_only
        .address_space:  global
        .offset:         104
        .size:           8
        .value_kind:     global_buffer
    .group_segment_fixed_size: 8196
    .kernarg_segment_align: 8
    .kernarg_segment_size: 112
    .language:       OpenCL C
    .language_version:
      - 2
      - 0
    .max_flat_workgroup_size: 256
    .name:           _ZN9rocsparseL38csr2bsr_block_per_row_multipass_kernelILj256ELj32E21rocsparse_complex_numIfEllEEv20rocsparse_direction_T3_S4_S4_S4_S4_21rocsparse_index_base_PKT1_PKT2_PKS4_S5_PS6_PS9_PS4_
    .private_segment_fixed_size: 0
    .sgpr_count:     43
    .sgpr_spill_count: 0
    .symbol:         _ZN9rocsparseL38csr2bsr_block_per_row_multipass_kernelILj256ELj32E21rocsparse_complex_numIfEllEEv20rocsparse_direction_T3_S4_S4_S4_S4_21rocsparse_index_base_PKT1_PKT2_PKS4_S5_PS6_PS9_PS4_.kd
    .uniform_work_group_size: 1
    .uses_dynamic_stack: false
    .vgpr_count:     49
    .vgpr_spill_count: 0
    .wavefront_size: 32
    .workgroup_processor_mode: 1
  - .args:
      - .offset:         0
        .size:           4
        .value_kind:     by_value
      - .offset:         8
        .size:           8
        .value_kind:     by_value
      - .offset:         16
        .size:           8
        .value_kind:     by_value
      - .offset:         24
        .size:           8
        .value_kind:     by_value
      - .offset:         32
        .size:           8
        .value_kind:     by_value
      - .offset:         40
        .size:           8
        .value_kind:     by_value
      - .offset:         48
        .size:           4
        .value_kind:     by_value
      - .actual_access:  read_only
        .address_space:  global
        .offset:         56
        .size:           8
        .value_kind:     global_buffer
      - .actual_access:  read_only
        .address_space:  global
        .offset:         64
        .size:           8
        .value_kind:     global_buffer
      - .actual_access:  read_only
        .address_space:  global
        .offset:         72
        .size:           8
        .value_kind:     global_buffer
      - .offset:         80
        .size:           4
        .value_kind:     by_value
      - .actual_access:  write_only
        .address_space:  global
        .offset:         88
        .size:           8
        .value_kind:     global_buffer
      - .actual_access:  read_only
        .address_space:  global
        .offset:         96
        .size:           8
        .value_kind:     global_buffer
      - .actual_access:  write_only
        .address_space:  global
        .offset:         104
        .size:           8
        .value_kind:     global_buffer
    .group_segment_fixed_size: 32772
    .kernarg_segment_align: 8
    .kernarg_segment_size: 112
    .language:       OpenCL C
    .language_version:
      - 2
      - 0
    .max_flat_workgroup_size: 256
    .name:           _ZN9rocsparseL38csr2bsr_block_per_row_multipass_kernelILj256ELj64E21rocsparse_complex_numIfEllEEv20rocsparse_direction_T3_S4_S4_S4_S4_21rocsparse_index_base_PKT1_PKT2_PKS4_S5_PS6_PS9_PS4_
    .private_segment_fixed_size: 0
    .sgpr_count:     55
    .sgpr_spill_count: 0
    .symbol:         _ZN9rocsparseL38csr2bsr_block_per_row_multipass_kernelILj256ELj64E21rocsparse_complex_numIfEllEEv20rocsparse_direction_T3_S4_S4_S4_S4_21rocsparse_index_base_PKT1_PKT2_PKS4_S5_PS6_PS9_PS4_.kd
    .uniform_work_group_size: 1
    .uses_dynamic_stack: false
    .vgpr_count:     72
    .vgpr_spill_count: 0
    .wavefront_size: 32
    .workgroup_processor_mode: 1
  - .args:
      - .offset:         0
        .size:           4
        .value_kind:     by_value
      - .offset:         8
        .size:           8
        .value_kind:     by_value
      - .offset:         16
        .size:           8
        .value_kind:     by_value
      - .offset:         24
        .size:           8
        .value_kind:     by_value
      - .offset:         32
        .size:           8
        .value_kind:     by_value
      - .offset:         40
        .size:           8
        .value_kind:     by_value
      - .offset:         48
        .size:           8
        .value_kind:     by_value
      - .offset:         56
        .size:           4
        .value_kind:     by_value
      - .actual_access:  read_only
        .address_space:  global
        .offset:         64
        .size:           8
        .value_kind:     global_buffer
      - .actual_access:  read_only
        .address_space:  global
        .offset:         72
        .size:           8
        .value_kind:     global_buffer
      - .actual_access:  read_only
        .address_space:  global
        .offset:         80
        .size:           8
        .value_kind:     global_buffer
      - .offset:         88
        .size:           4
        .value_kind:     by_value
      - .actual_access:  write_only
        .address_space:  global
        .offset:         96
        .size:           8
        .value_kind:     global_buffer
      - .actual_access:  read_only
        .address_space:  global
        .offset:         104
        .size:           8
        .value_kind:     global_buffer
      - .actual_access:  write_only
        .address_space:  global
        .offset:         112
        .size:           8
        .value_kind:     global_buffer
      - .address_space:  global
        .offset:         120
        .size:           8
        .value_kind:     global_buffer
      - .address_space:  global
        .offset:         128
        .size:           8
        .value_kind:     global_buffer
      - .address_space:  global
        .offset:         136
        .size:           8
        .value_kind:     global_buffer
    .group_segment_fixed_size: 0
    .kernarg_segment_align: 8
    .kernarg_segment_size: 144
    .language:       OpenCL C
    .language_version:
      - 2
      - 0
    .max_flat_workgroup_size: 32
    .name:           _ZN9rocsparseL21csr2bsr_65_inf_kernelILj32E21rocsparse_complex_numIfEllEEv20rocsparse_direction_T2_S4_S4_S4_S4_S4_21rocsparse_index_base_PKT0_PKT1_PKS4_S5_PS6_PS9_PS4_SF_SG_SE_
    .private_segment_fixed_size: 0
    .sgpr_count:     40
    .sgpr_spill_count: 0
    .symbol:         _ZN9rocsparseL21csr2bsr_65_inf_kernelILj32E21rocsparse_complex_numIfEllEEv20rocsparse_direction_T2_S4_S4_S4_S4_S4_21rocsparse_index_base_PKT0_PKT1_PKS4_S5_PS6_PS9_PS4_SF_SG_SE_.kd
    .uniform_work_group_size: 1
    .uses_dynamic_stack: false
    .vgpr_count:     48
    .vgpr_spill_count: 0
    .wavefront_size: 32
    .workgroup_processor_mode: 1
  - .args:
      - .offset:         0
        .size:           4
        .value_kind:     by_value
      - .offset:         4
        .size:           4
        .value_kind:     by_value
      - .offset:         8
        .size:           4
        .value_kind:     by_value
      - .offset:         12
        .size:           4
        .value_kind:     by_value
      - .offset:         16
        .size:           4
        .value_kind:     by_value
      - .address_space:  global
        .offset:         24
        .size:           8
        .value_kind:     global_buffer
      - .address_space:  global
        .offset:         32
        .size:           8
        .value_kind:     global_buffer
      - .address_space:  global
        .offset:         40
        .size:           8
        .value_kind:     global_buffer
      - .offset:         48
        .size:           4
        .value_kind:     by_value
      - .address_space:  global
        .offset:         56
        .size:           8
        .value_kind:     global_buffer
      - .address_space:  global
        .offset:         64
        .size:           8
        .value_kind:     global_buffer
      - .address_space:  global
        .offset:         72
        .size:           8
        .value_kind:     global_buffer
      - .offset:         80
        .size:           4
        .value_kind:     hidden_block_count_x
      - .offset:         84
        .size:           4
        .value_kind:     hidden_block_count_y
      - .offset:         88
        .size:           4
        .value_kind:     hidden_block_count_z
      - .offset:         92
        .size:           2
        .value_kind:     hidden_group_size_x
      - .offset:         94
        .size:           2
        .value_kind:     hidden_group_size_y
      - .offset:         96
        .size:           2
        .value_kind:     hidden_group_size_z
      - .offset:         98
        .size:           2
        .value_kind:     hidden_remainder_x
      - .offset:         100
        .size:           2
        .value_kind:     hidden_remainder_y
      - .offset:         102
        .size:           2
        .value_kind:     hidden_remainder_z
      - .offset:         120
        .size:           8
        .value_kind:     hidden_global_offset_x
      - .offset:         128
        .size:           8
        .value_kind:     hidden_global_offset_y
      - .offset:         136
        .size:           8
        .value_kind:     hidden_global_offset_z
      - .offset:         144
        .size:           2
        .value_kind:     hidden_grid_dims
    .group_segment_fixed_size: 0
    .kernarg_segment_align: 8
    .kernarg_segment_size: 336
    .language:       OpenCL C
    .language_version:
      - 2
      - 0
    .max_flat_workgroup_size: 256
    .name:           _ZN9rocsparseL35csr2bsr_block_dim_equals_one_kernelILj256EdiiEEvT2_S1_S1_S1_21rocsparse_index_base_PKT0_PKT1_PKS1_S2_PS3_PS6_PS1_
    .private_segment_fixed_size: 0
    .sgpr_count:     18
    .sgpr_spill_count: 0
    .symbol:         _ZN9rocsparseL35csr2bsr_block_dim_equals_one_kernelILj256EdiiEEvT2_S1_S1_S1_21rocsparse_index_base_PKT0_PKT1_PKS1_S2_PS3_PS6_PS1_.kd
    .uniform_work_group_size: 1
    .uses_dynamic_stack: false
    .vgpr_count:     9
    .vgpr_spill_count: 0
    .wavefront_size: 32
    .workgroup_processor_mode: 1
  - .args:
      - .offset:         0
        .size:           4
        .value_kind:     by_value
      - .offset:         4
        .size:           4
        .value_kind:     by_value
      - .offset:         8
        .size:           4
        .value_kind:     by_value
      - .offset:         12
        .size:           4
        .value_kind:     by_value
      - .offset:         16
        .size:           4
        .value_kind:     by_value
      - .offset:         20
        .size:           4
        .value_kind:     by_value
      - .offset:         24
        .size:           4
        .value_kind:     by_value
      - .actual_access:  read_only
        .address_space:  global
        .offset:         32
        .size:           8
        .value_kind:     global_buffer
      - .actual_access:  read_only
        .address_space:  global
        .offset:         40
        .size:           8
        .value_kind:     global_buffer
      - .actual_access:  read_only
        .address_space:  global
        .offset:         48
        .size:           8
        .value_kind:     global_buffer
      - .offset:         56
        .size:           4
        .value_kind:     by_value
      - .actual_access:  write_only
        .address_space:  global
        .offset:         64
        .size:           8
        .value_kind:     global_buffer
      - .actual_access:  read_only
        .address_space:  global
        .offset:         72
        .size:           8
        .value_kind:     global_buffer
      - .actual_access:  write_only
        .address_space:  global
        .offset:         80
        .size:           8
        .value_kind:     global_buffer
    .group_segment_fixed_size: 2064
    .kernarg_segment_align: 8
    .kernarg_segment_size: 88
    .language:       OpenCL C
    .language_version:
      - 2
      - 0
    .max_flat_workgroup_size: 256
    .name:           _ZN9rocsparseL42csr2bsr_wavefront_per_row_multipass_kernelILj256ELj16ELj4EdiiEEv20rocsparse_direction_T4_S2_S2_S2_S2_21rocsparse_index_base_PKT2_PKT3_PKS2_S3_PS4_PS7_PS2_
    .private_segment_fixed_size: 0
    .sgpr_count:     22
    .sgpr_spill_count: 0
    .symbol:         _ZN9rocsparseL42csr2bsr_wavefront_per_row_multipass_kernelILj256ELj16ELj4EdiiEEv20rocsparse_direction_T4_S2_S2_S2_S2_21rocsparse_index_base_PKT2_PKT3_PKS2_S3_PS4_PS7_PS2_.kd
    .uniform_work_group_size: 1
    .uses_dynamic_stack: false
    .vgpr_count:     29
    .vgpr_spill_count: 0
    .wavefront_size: 32
    .workgroup_processor_mode: 1
  - .args:
      - .offset:         0
        .size:           4
        .value_kind:     by_value
      - .offset:         4
        .size:           4
        .value_kind:     by_value
      - .offset:         8
        .size:           4
        .value_kind:     by_value
      - .offset:         12
        .size:           4
        .value_kind:     by_value
      - .offset:         16
        .size:           4
        .value_kind:     by_value
      - .offset:         20
        .size:           4
        .value_kind:     by_value
      - .offset:         24
        .size:           4
        .value_kind:     by_value
      - .actual_access:  read_only
        .address_space:  global
        .offset:         32
        .size:           8
        .value_kind:     global_buffer
      - .actual_access:  read_only
        .address_space:  global
        .offset:         40
        .size:           8
        .value_kind:     global_buffer
      - .actual_access:  read_only
        .address_space:  global
        .offset:         48
        .size:           8
        .value_kind:     global_buffer
      - .offset:         56
        .size:           4
        .value_kind:     by_value
      - .actual_access:  write_only
        .address_space:  global
        .offset:         64
        .size:           8
        .value_kind:     global_buffer
      - .actual_access:  read_only
        .address_space:  global
        .offset:         72
        .size:           8
        .value_kind:     global_buffer
      - .actual_access:  write_only
        .address_space:  global
        .offset:         80
        .size:           8
        .value_kind:     global_buffer
    .group_segment_fixed_size: 2056
    .kernarg_segment_align: 8
    .kernarg_segment_size: 88
    .language:       OpenCL C
    .language_version:
      - 2
      - 0
    .max_flat_workgroup_size: 256
    .name:           _ZN9rocsparseL42csr2bsr_wavefront_per_row_multipass_kernelILj256ELj64ELj8EdiiEEv20rocsparse_direction_T4_S2_S2_S2_S2_21rocsparse_index_base_PKT2_PKT3_PKS2_S3_PS4_PS7_PS2_
    .private_segment_fixed_size: 0
    .sgpr_count:     22
    .sgpr_spill_count: 0
    .symbol:         _ZN9rocsparseL42csr2bsr_wavefront_per_row_multipass_kernelILj256ELj64ELj8EdiiEEv20rocsparse_direction_T4_S2_S2_S2_S2_21rocsparse_index_base_PKT2_PKT3_PKS2_S3_PS4_PS7_PS2_.kd
    .uniform_work_group_size: 1
    .uses_dynamic_stack: false
    .vgpr_count:     31
    .vgpr_spill_count: 0
    .wavefront_size: 32
    .workgroup_processor_mode: 1
  - .args:
      - .offset:         0
        .size:           4
        .value_kind:     by_value
      - .offset:         4
        .size:           4
        .value_kind:     by_value
      - .offset:         8
        .size:           4
        .value_kind:     by_value
      - .offset:         12
        .size:           4
        .value_kind:     by_value
      - .offset:         16
        .size:           4
        .value_kind:     by_value
      - .offset:         20
        .size:           4
        .value_kind:     by_value
      - .offset:         24
        .size:           4
        .value_kind:     by_value
      - .actual_access:  read_only
        .address_space:  global
        .offset:         32
        .size:           8
        .value_kind:     global_buffer
      - .actual_access:  read_only
        .address_space:  global
        .offset:         40
        .size:           8
        .value_kind:     global_buffer
      - .actual_access:  read_only
        .address_space:  global
        .offset:         48
        .size:           8
        .value_kind:     global_buffer
      - .offset:         56
        .size:           4
        .value_kind:     by_value
      - .actual_access:  write_only
        .address_space:  global
        .offset:         64
        .size:           8
        .value_kind:     global_buffer
      - .actual_access:  read_only
        .address_space:  global
        .offset:         72
        .size:           8
        .value_kind:     global_buffer
      - .actual_access:  write_only
        .address_space:  global
        .offset:         80
        .size:           8
        .value_kind:     global_buffer
    .group_segment_fixed_size: 4104
    .kernarg_segment_align: 8
    .kernarg_segment_size: 88
    .language:       OpenCL C
    .language_version:
      - 2
      - 0
    .max_flat_workgroup_size: 256
    .name:           _ZN9rocsparseL42csr2bsr_wavefront_per_row_multipass_kernelILj256ELj32ELj8EdiiEEv20rocsparse_direction_T4_S2_S2_S2_S2_21rocsparse_index_base_PKT2_PKT3_PKS2_S3_PS4_PS7_PS2_
    .private_segment_fixed_size: 0
    .sgpr_count:     24
    .sgpr_spill_count: 0
    .symbol:         _ZN9rocsparseL42csr2bsr_wavefront_per_row_multipass_kernelILj256ELj32ELj8EdiiEEv20rocsparse_direction_T4_S2_S2_S2_S2_21rocsparse_index_base_PKT2_PKT3_PKS2_S3_PS4_PS7_PS2_.kd
    .uniform_work_group_size: 1
    .uses_dynamic_stack: false
    .vgpr_count:     39
    .vgpr_spill_count: 0
    .wavefront_size: 32
    .workgroup_processor_mode: 1
  - .args:
      - .offset:         0
        .size:           4
        .value_kind:     by_value
      - .offset:         4
        .size:           4
        .value_kind:     by_value
      - .offset:         8
        .size:           4
        .value_kind:     by_value
      - .offset:         12
        .size:           4
        .value_kind:     by_value
      - .offset:         16
        .size:           4
        .value_kind:     by_value
      - .offset:         20
        .size:           4
        .value_kind:     by_value
      - .offset:         24
        .size:           4
        .value_kind:     by_value
      - .actual_access:  read_only
        .address_space:  global
        .offset:         32
        .size:           8
        .value_kind:     global_buffer
      - .actual_access:  read_only
        .address_space:  global
        .offset:         40
        .size:           8
        .value_kind:     global_buffer
      - .actual_access:  read_only
        .address_space:  global
        .offset:         48
        .size:           8
        .value_kind:     global_buffer
      - .offset:         56
        .size:           4
        .value_kind:     by_value
      - .actual_access:  write_only
        .address_space:  global
        .offset:         64
        .size:           8
        .value_kind:     global_buffer
      - .actual_access:  read_only
        .address_space:  global
        .offset:         72
        .size:           8
        .value_kind:     global_buffer
      - .actual_access:  write_only
        .address_space:  global
        .offset:         80
        .size:           8
        .value_kind:     global_buffer
    .group_segment_fixed_size: 8200
    .kernarg_segment_align: 8
    .kernarg_segment_size: 88
    .language:       OpenCL C
    .language_version:
      - 2
      - 0
    .max_flat_workgroup_size: 256
    .name:           _ZN9rocsparseL42csr2bsr_wavefront_per_row_multipass_kernelILj256ELj64ELj16EdiiEEv20rocsparse_direction_T4_S2_S2_S2_S2_21rocsparse_index_base_PKT2_PKT3_PKS2_S3_PS4_PS7_PS2_
    .private_segment_fixed_size: 0
    .sgpr_count:     26
    .sgpr_spill_count: 0
    .symbol:         _ZN9rocsparseL42csr2bsr_wavefront_per_row_multipass_kernelILj256ELj64ELj16EdiiEEv20rocsparse_direction_T4_S2_S2_S2_S2_21rocsparse_index_base_PKT2_PKT3_PKS2_S3_PS4_PS7_PS2_.kd
    .uniform_work_group_size: 1
    .uses_dynamic_stack: false
    .vgpr_count:     44
    .vgpr_spill_count: 0
    .wavefront_size: 32
    .workgroup_processor_mode: 1
  - .args:
      - .offset:         0
        .size:           4
        .value_kind:     by_value
      - .offset:         4
        .size:           4
        .value_kind:     by_value
      - .offset:         8
        .size:           4
        .value_kind:     by_value
      - .offset:         12
        .size:           4
        .value_kind:     by_value
      - .offset:         16
        .size:           4
        .value_kind:     by_value
      - .offset:         20
        .size:           4
        .value_kind:     by_value
      - .offset:         24
        .size:           4
        .value_kind:     by_value
      - .actual_access:  read_only
        .address_space:  global
        .offset:         32
        .size:           8
        .value_kind:     global_buffer
      - .actual_access:  read_only
        .address_space:  global
        .offset:         40
        .size:           8
        .value_kind:     global_buffer
      - .actual_access:  read_only
        .address_space:  global
        .offset:         48
        .size:           8
        .value_kind:     global_buffer
      - .offset:         56
        .size:           4
        .value_kind:     by_value
      - .actual_access:  write_only
        .address_space:  global
        .offset:         64
        .size:           8
        .value_kind:     global_buffer
      - .actual_access:  read_only
        .address_space:  global
        .offset:         72
        .size:           8
        .value_kind:     global_buffer
      - .actual_access:  write_only
        .address_space:  global
        .offset:         80
        .size:           8
        .value_kind:     global_buffer
    .group_segment_fixed_size: 16392
    .kernarg_segment_align: 8
    .kernarg_segment_size: 88
    .language:       OpenCL C
    .language_version:
      - 2
      - 0
    .max_flat_workgroup_size: 256
    .name:           _ZN9rocsparseL42csr2bsr_wavefront_per_row_multipass_kernelILj256ELj32ELj16EdiiEEv20rocsparse_direction_T4_S2_S2_S2_S2_21rocsparse_index_base_PKT2_PKT3_PKS2_S3_PS4_PS7_PS2_
    .private_segment_fixed_size: 0
    .sgpr_count:     30
    .sgpr_spill_count: 0
    .symbol:         _ZN9rocsparseL42csr2bsr_wavefront_per_row_multipass_kernelILj256ELj32ELj16EdiiEEv20rocsparse_direction_T4_S2_S2_S2_S2_21rocsparse_index_base_PKT2_PKT3_PKS2_S3_PS4_PS7_PS2_.kd
    .uniform_work_group_size: 1
    .uses_dynamic_stack: false
    .vgpr_count:     50
    .vgpr_spill_count: 0
    .wavefront_size: 32
    .workgroup_processor_mode: 1
  - .args:
      - .offset:         0
        .size:           4
        .value_kind:     by_value
      - .offset:         4
        .size:           4
        .value_kind:     by_value
      - .offset:         8
        .size:           4
        .value_kind:     by_value
      - .offset:         12
        .size:           4
        .value_kind:     by_value
      - .offset:         16
        .size:           4
        .value_kind:     by_value
      - .offset:         20
        .size:           4
        .value_kind:     by_value
      - .offset:         24
        .size:           4
        .value_kind:     by_value
      - .actual_access:  read_only
        .address_space:  global
        .offset:         32
        .size:           8
        .value_kind:     global_buffer
      - .actual_access:  read_only
        .address_space:  global
        .offset:         40
        .size:           8
        .value_kind:     global_buffer
      - .actual_access:  read_only
        .address_space:  global
        .offset:         48
        .size:           8
        .value_kind:     global_buffer
      - .offset:         56
        .size:           4
        .value_kind:     by_value
      - .actual_access:  write_only
        .address_space:  global
        .offset:         64
        .size:           8
        .value_kind:     global_buffer
      - .actual_access:  read_only
        .address_space:  global
        .offset:         72
        .size:           8
        .value_kind:     global_buffer
      - .actual_access:  write_only
        .address_space:  global
        .offset:         80
        .size:           8
        .value_kind:     global_buffer
    .group_segment_fixed_size: 8200
    .kernarg_segment_align: 8
    .kernarg_segment_size: 88
    .language:       OpenCL C
    .language_version:
      - 2
      - 0
    .max_flat_workgroup_size: 256
    .name:           _ZN9rocsparseL38csr2bsr_block_per_row_multipass_kernelILj256ELj32EdiiEEv20rocsparse_direction_T3_S2_S2_S2_S2_21rocsparse_index_base_PKT1_PKT2_PKS2_S3_PS4_PS7_PS2_
    .private_segment_fixed_size: 0
    .sgpr_count:     40
    .sgpr_spill_count: 0
    .symbol:         _ZN9rocsparseL38csr2bsr_block_per_row_multipass_kernelILj256ELj32EdiiEEv20rocsparse_direction_T3_S2_S2_S2_S2_21rocsparse_index_base_PKT1_PKT2_PKS2_S3_PS4_PS7_PS2_.kd
    .uniform_work_group_size: 1
    .uses_dynamic_stack: false
    .vgpr_count:     38
    .vgpr_spill_count: 0
    .wavefront_size: 32
    .workgroup_processor_mode: 1
  - .args:
      - .offset:         0
        .size:           4
        .value_kind:     by_value
      - .offset:         4
        .size:           4
        .value_kind:     by_value
      - .offset:         8
        .size:           4
        .value_kind:     by_value
      - .offset:         12
        .size:           4
        .value_kind:     by_value
      - .offset:         16
        .size:           4
        .value_kind:     by_value
      - .offset:         20
        .size:           4
        .value_kind:     by_value
      - .offset:         24
        .size:           4
        .value_kind:     by_value
      - .actual_access:  read_only
        .address_space:  global
        .offset:         32
        .size:           8
        .value_kind:     global_buffer
      - .actual_access:  read_only
        .address_space:  global
        .offset:         40
        .size:           8
        .value_kind:     global_buffer
      - .actual_access:  read_only
        .address_space:  global
        .offset:         48
        .size:           8
        .value_kind:     global_buffer
      - .offset:         56
        .size:           4
        .value_kind:     by_value
      - .actual_access:  write_only
        .address_space:  global
        .offset:         64
        .size:           8
        .value_kind:     global_buffer
      - .actual_access:  read_only
        .address_space:  global
        .offset:         72
        .size:           8
        .value_kind:     global_buffer
      - .actual_access:  write_only
        .address_space:  global
        .offset:         80
        .size:           8
        .value_kind:     global_buffer
    .group_segment_fixed_size: 32776
    .kernarg_segment_align: 8
    .kernarg_segment_size: 88
    .language:       OpenCL C
    .language_version:
      - 2
      - 0
    .max_flat_workgroup_size: 256
    .name:           _ZN9rocsparseL38csr2bsr_block_per_row_multipass_kernelILj256ELj64EdiiEEv20rocsparse_direction_T3_S2_S2_S2_S2_21rocsparse_index_base_PKT1_PKT2_PKS2_S3_PS4_PS7_PS2_
    .private_segment_fixed_size: 0
    .sgpr_count:     50
    .sgpr_spill_count: 0
    .symbol:         _ZN9rocsparseL38csr2bsr_block_per_row_multipass_kernelILj256ELj64EdiiEEv20rocsparse_direction_T3_S2_S2_S2_S2_21rocsparse_index_base_PKT1_PKT2_PKS2_S3_PS4_PS7_PS2_.kd
    .uniform_work_group_size: 1
    .uses_dynamic_stack: false
    .vgpr_count:     61
    .vgpr_spill_count: 0
    .wavefront_size: 32
    .workgroup_processor_mode: 1
  - .args:
      - .offset:         0
        .size:           4
        .value_kind:     by_value
      - .offset:         4
        .size:           4
        .value_kind:     by_value
      - .offset:         8
        .size:           4
        .value_kind:     by_value
      - .offset:         12
        .size:           4
        .value_kind:     by_value
      - .offset:         16
        .size:           4
        .value_kind:     by_value
      - .offset:         20
        .size:           4
        .value_kind:     by_value
      - .offset:         24
        .size:           4
        .value_kind:     by_value
      - .offset:         28
        .size:           4
        .value_kind:     by_value
      - .actual_access:  read_only
        .address_space:  global
        .offset:         32
        .size:           8
        .value_kind:     global_buffer
      - .actual_access:  read_only
        .address_space:  global
        .offset:         40
        .size:           8
        .value_kind:     global_buffer
      - .actual_access:  read_only
        .address_space:  global
        .offset:         48
        .size:           8
        .value_kind:     global_buffer
      - .offset:         56
        .size:           4
        .value_kind:     by_value
      - .actual_access:  write_only
        .address_space:  global
        .offset:         64
        .size:           8
        .value_kind:     global_buffer
      - .actual_access:  read_only
        .address_space:  global
        .offset:         72
        .size:           8
        .value_kind:     global_buffer
      - .actual_access:  write_only
        .address_space:  global
        .offset:         80
        .size:           8
        .value_kind:     global_buffer
      - .address_space:  global
        .offset:         88
        .size:           8
        .value_kind:     global_buffer
      - .address_space:  global
        .offset:         96
        .size:           8
        .value_kind:     global_buffer
      - .address_space:  global
        .offset:         104
        .size:           8
        .value_kind:     global_buffer
    .group_segment_fixed_size: 0
    .kernarg_segment_align: 8
    .kernarg_segment_size: 112
    .language:       OpenCL C
    .language_version:
      - 2
      - 0
    .max_flat_workgroup_size: 32
    .name:           _ZN9rocsparseL21csr2bsr_65_inf_kernelILj32EdiiEEv20rocsparse_direction_T2_S2_S2_S2_S2_S2_21rocsparse_index_base_PKT0_PKT1_PKS2_S3_PS4_PS7_PS2_SD_SE_SC_
    .private_segment_fixed_size: 0
    .sgpr_count:     36
    .sgpr_spill_count: 0
    .symbol:         _ZN9rocsparseL21csr2bsr_65_inf_kernelILj32EdiiEEv20rocsparse_direction_T2_S2_S2_S2_S2_S2_21rocsparse_index_base_PKT0_PKT1_PKS2_S3_PS4_PS7_PS2_SD_SE_SC_.kd
    .uniform_work_group_size: 1
    .uses_dynamic_stack: false
    .vgpr_count:     41
    .vgpr_spill_count: 0
    .wavefront_size: 32
    .workgroup_processor_mode: 1
  - .args:
      - .offset:         0
        .size:           4
        .value_kind:     by_value
      - .offset:         4
        .size:           4
        .value_kind:     by_value
      - .offset:         8
        .size:           4
        .value_kind:     by_value
      - .offset:         12
        .size:           4
        .value_kind:     by_value
      - .offset:         16
        .size:           4
        .value_kind:     by_value
      - .address_space:  global
        .offset:         24
        .size:           8
        .value_kind:     global_buffer
      - .address_space:  global
        .offset:         32
        .size:           8
        .value_kind:     global_buffer
      - .address_space:  global
        .offset:         40
        .size:           8
        .value_kind:     global_buffer
      - .offset:         48
        .size:           4
        .value_kind:     by_value
      - .address_space:  global
        .offset:         56
        .size:           8
        .value_kind:     global_buffer
      - .address_space:  global
        .offset:         64
        .size:           8
        .value_kind:     global_buffer
      - .address_space:  global
        .offset:         72
        .size:           8
        .value_kind:     global_buffer
      - .offset:         80
        .size:           4
        .value_kind:     hidden_block_count_x
      - .offset:         84
        .size:           4
        .value_kind:     hidden_block_count_y
      - .offset:         88
        .size:           4
        .value_kind:     hidden_block_count_z
      - .offset:         92
        .size:           2
        .value_kind:     hidden_group_size_x
      - .offset:         94
        .size:           2
        .value_kind:     hidden_group_size_y
      - .offset:         96
        .size:           2
        .value_kind:     hidden_group_size_z
      - .offset:         98
        .size:           2
        .value_kind:     hidden_remainder_x
      - .offset:         100
        .size:           2
        .value_kind:     hidden_remainder_y
      - .offset:         102
        .size:           2
        .value_kind:     hidden_remainder_z
      - .offset:         120
        .size:           8
        .value_kind:     hidden_global_offset_x
      - .offset:         128
        .size:           8
        .value_kind:     hidden_global_offset_y
      - .offset:         136
        .size:           8
        .value_kind:     hidden_global_offset_z
      - .offset:         144
        .size:           2
        .value_kind:     hidden_grid_dims
    .group_segment_fixed_size: 0
    .kernarg_segment_align: 8
    .kernarg_segment_size: 336
    .language:       OpenCL C
    .language_version:
      - 2
      - 0
    .max_flat_workgroup_size: 256
    .name:           _ZN9rocsparseL35csr2bsr_block_dim_equals_one_kernelILj256EdliEEvT2_S1_S1_S1_21rocsparse_index_base_PKT0_PKT1_PKS1_S2_PS3_PS6_PS1_
    .private_segment_fixed_size: 0
    .sgpr_count:     20
    .sgpr_spill_count: 0
    .symbol:         _ZN9rocsparseL35csr2bsr_block_dim_equals_one_kernelILj256EdliEEvT2_S1_S1_S1_21rocsparse_index_base_PKT0_PKT1_PKS1_S2_PS3_PS6_PS1_.kd
    .uniform_work_group_size: 1
    .uses_dynamic_stack: false
    .vgpr_count:     13
    .vgpr_spill_count: 0
    .wavefront_size: 32
    .workgroup_processor_mode: 1
  - .args:
      - .offset:         0
        .size:           4
        .value_kind:     by_value
      - .offset:         4
        .size:           4
        .value_kind:     by_value
      - .offset:         8
        .size:           4
        .value_kind:     by_value
      - .offset:         12
        .size:           4
        .value_kind:     by_value
      - .offset:         16
        .size:           4
        .value_kind:     by_value
      - .offset:         20
        .size:           4
        .value_kind:     by_value
      - .offset:         24
        .size:           4
        .value_kind:     by_value
      - .actual_access:  read_only
        .address_space:  global
        .offset:         32
        .size:           8
        .value_kind:     global_buffer
      - .actual_access:  read_only
        .address_space:  global
        .offset:         40
        .size:           8
        .value_kind:     global_buffer
      - .actual_access:  read_only
        .address_space:  global
        .offset:         48
        .size:           8
        .value_kind:     global_buffer
      - .offset:         56
        .size:           4
        .value_kind:     by_value
      - .actual_access:  write_only
        .address_space:  global
        .offset:         64
        .size:           8
        .value_kind:     global_buffer
      - .actual_access:  read_only
        .address_space:  global
        .offset:         72
        .size:           8
        .value_kind:     global_buffer
      - .actual_access:  write_only
        .address_space:  global
        .offset:         80
        .size:           8
        .value_kind:     global_buffer
    .group_segment_fixed_size: 2064
    .kernarg_segment_align: 8
    .kernarg_segment_size: 88
    .language:       OpenCL C
    .language_version:
      - 2
      - 0
    .max_flat_workgroup_size: 256
    .name:           _ZN9rocsparseL42csr2bsr_wavefront_per_row_multipass_kernelILj256ELj16ELj4EdliEEv20rocsparse_direction_T4_S2_S2_S2_S2_21rocsparse_index_base_PKT2_PKT3_PKS2_S3_PS4_PS7_PS2_
    .private_segment_fixed_size: 0
    .sgpr_count:     22
    .sgpr_spill_count: 0
    .symbol:         _ZN9rocsparseL42csr2bsr_wavefront_per_row_multipass_kernelILj256ELj16ELj4EdliEEv20rocsparse_direction_T4_S2_S2_S2_S2_21rocsparse_index_base_PKT2_PKT3_PKS2_S3_PS4_PS7_PS2_.kd
    .uniform_work_group_size: 1
    .uses_dynamic_stack: false
    .vgpr_count:     37
    .vgpr_spill_count: 0
    .wavefront_size: 32
    .workgroup_processor_mode: 1
  - .args:
      - .offset:         0
        .size:           4
        .value_kind:     by_value
      - .offset:         4
        .size:           4
        .value_kind:     by_value
      - .offset:         8
        .size:           4
        .value_kind:     by_value
      - .offset:         12
        .size:           4
        .value_kind:     by_value
      - .offset:         16
        .size:           4
        .value_kind:     by_value
      - .offset:         20
        .size:           4
        .value_kind:     by_value
      - .offset:         24
        .size:           4
        .value_kind:     by_value
      - .actual_access:  read_only
        .address_space:  global
        .offset:         32
        .size:           8
        .value_kind:     global_buffer
      - .actual_access:  read_only
        .address_space:  global
        .offset:         40
        .size:           8
        .value_kind:     global_buffer
      - .actual_access:  read_only
        .address_space:  global
        .offset:         48
        .size:           8
        .value_kind:     global_buffer
      - .offset:         56
        .size:           4
        .value_kind:     by_value
      - .actual_access:  write_only
        .address_space:  global
        .offset:         64
        .size:           8
        .value_kind:     global_buffer
      - .actual_access:  read_only
        .address_space:  global
        .offset:         72
        .size:           8
        .value_kind:     global_buffer
      - .actual_access:  write_only
        .address_space:  global
        .offset:         80
        .size:           8
        .value_kind:     global_buffer
    .group_segment_fixed_size: 2056
    .kernarg_segment_align: 8
    .kernarg_segment_size: 88
    .language:       OpenCL C
    .language_version:
      - 2
      - 0
    .max_flat_workgroup_size: 256
    .name:           _ZN9rocsparseL42csr2bsr_wavefront_per_row_multipass_kernelILj256ELj64ELj8EdliEEv20rocsparse_direction_T4_S2_S2_S2_S2_21rocsparse_index_base_PKT2_PKT3_PKS2_S3_PS4_PS7_PS2_
    .private_segment_fixed_size: 0
    .sgpr_count:     22
    .sgpr_spill_count: 0
    .symbol:         _ZN9rocsparseL42csr2bsr_wavefront_per_row_multipass_kernelILj256ELj64ELj8EdliEEv20rocsparse_direction_T4_S2_S2_S2_S2_21rocsparse_index_base_PKT2_PKT3_PKS2_S3_PS4_PS7_PS2_.kd
    .uniform_work_group_size: 1
    .uses_dynamic_stack: false
    .vgpr_count:     39
    .vgpr_spill_count: 0
    .wavefront_size: 32
    .workgroup_processor_mode: 1
  - .args:
      - .offset:         0
        .size:           4
        .value_kind:     by_value
      - .offset:         4
        .size:           4
        .value_kind:     by_value
      - .offset:         8
        .size:           4
        .value_kind:     by_value
      - .offset:         12
        .size:           4
        .value_kind:     by_value
      - .offset:         16
        .size:           4
        .value_kind:     by_value
      - .offset:         20
        .size:           4
        .value_kind:     by_value
      - .offset:         24
        .size:           4
        .value_kind:     by_value
      - .actual_access:  read_only
        .address_space:  global
        .offset:         32
        .size:           8
        .value_kind:     global_buffer
      - .actual_access:  read_only
        .address_space:  global
        .offset:         40
        .size:           8
        .value_kind:     global_buffer
      - .actual_access:  read_only
        .address_space:  global
        .offset:         48
        .size:           8
        .value_kind:     global_buffer
      - .offset:         56
        .size:           4
        .value_kind:     by_value
      - .actual_access:  write_only
        .address_space:  global
        .offset:         64
        .size:           8
        .value_kind:     global_buffer
      - .actual_access:  read_only
        .address_space:  global
        .offset:         72
        .size:           8
        .value_kind:     global_buffer
      - .actual_access:  write_only
        .address_space:  global
        .offset:         80
        .size:           8
        .value_kind:     global_buffer
    .group_segment_fixed_size: 4104
    .kernarg_segment_align: 8
    .kernarg_segment_size: 88
    .language:       OpenCL C
    .language_version:
      - 2
      - 0
    .max_flat_workgroup_size: 256
    .name:           _ZN9rocsparseL42csr2bsr_wavefront_per_row_multipass_kernelILj256ELj32ELj8EdliEEv20rocsparse_direction_T4_S2_S2_S2_S2_21rocsparse_index_base_PKT2_PKT3_PKS2_S3_PS4_PS7_PS2_
    .private_segment_fixed_size: 0
    .sgpr_count:     24
    .sgpr_spill_count: 0
    .symbol:         _ZN9rocsparseL42csr2bsr_wavefront_per_row_multipass_kernelILj256ELj32ELj8EdliEEv20rocsparse_direction_T4_S2_S2_S2_S2_21rocsparse_index_base_PKT2_PKT3_PKS2_S3_PS4_PS7_PS2_.kd
    .uniform_work_group_size: 1
    .uses_dynamic_stack: false
    .vgpr_count:     45
    .vgpr_spill_count: 0
    .wavefront_size: 32
    .workgroup_processor_mode: 1
  - .args:
      - .offset:         0
        .size:           4
        .value_kind:     by_value
      - .offset:         4
        .size:           4
        .value_kind:     by_value
      - .offset:         8
        .size:           4
        .value_kind:     by_value
      - .offset:         12
        .size:           4
        .value_kind:     by_value
      - .offset:         16
        .size:           4
        .value_kind:     by_value
      - .offset:         20
        .size:           4
        .value_kind:     by_value
      - .offset:         24
        .size:           4
        .value_kind:     by_value
      - .actual_access:  read_only
        .address_space:  global
        .offset:         32
        .size:           8
        .value_kind:     global_buffer
      - .actual_access:  read_only
        .address_space:  global
        .offset:         40
        .size:           8
        .value_kind:     global_buffer
      - .actual_access:  read_only
        .address_space:  global
        .offset:         48
        .size:           8
        .value_kind:     global_buffer
      - .offset:         56
        .size:           4
        .value_kind:     by_value
      - .actual_access:  write_only
        .address_space:  global
        .offset:         64
        .size:           8
        .value_kind:     global_buffer
      - .actual_access:  read_only
        .address_space:  global
        .offset:         72
        .size:           8
        .value_kind:     global_buffer
      - .actual_access:  write_only
        .address_space:  global
        .offset:         80
        .size:           8
        .value_kind:     global_buffer
    .group_segment_fixed_size: 8200
    .kernarg_segment_align: 8
    .kernarg_segment_size: 88
    .language:       OpenCL C
    .language_version:
      - 2
      - 0
    .max_flat_workgroup_size: 256
    .name:           _ZN9rocsparseL42csr2bsr_wavefront_per_row_multipass_kernelILj256ELj64ELj16EdliEEv20rocsparse_direction_T4_S2_S2_S2_S2_21rocsparse_index_base_PKT2_PKT3_PKS2_S3_PS4_PS7_PS2_
    .private_segment_fixed_size: 0
    .sgpr_count:     26
    .sgpr_spill_count: 0
    .symbol:         _ZN9rocsparseL42csr2bsr_wavefront_per_row_multipass_kernelILj256ELj64ELj16EdliEEv20rocsparse_direction_T4_S2_S2_S2_S2_21rocsparse_index_base_PKT2_PKT3_PKS2_S3_PS4_PS7_PS2_.kd
    .uniform_work_group_size: 1
    .uses_dynamic_stack: false
    .vgpr_count:     50
    .vgpr_spill_count: 0
    .wavefront_size: 32
    .workgroup_processor_mode: 1
  - .args:
      - .offset:         0
        .size:           4
        .value_kind:     by_value
      - .offset:         4
        .size:           4
        .value_kind:     by_value
      - .offset:         8
        .size:           4
        .value_kind:     by_value
      - .offset:         12
        .size:           4
        .value_kind:     by_value
      - .offset:         16
        .size:           4
        .value_kind:     by_value
      - .offset:         20
        .size:           4
        .value_kind:     by_value
      - .offset:         24
        .size:           4
        .value_kind:     by_value
      - .actual_access:  read_only
        .address_space:  global
        .offset:         32
        .size:           8
        .value_kind:     global_buffer
      - .actual_access:  read_only
        .address_space:  global
        .offset:         40
        .size:           8
        .value_kind:     global_buffer
      - .actual_access:  read_only
        .address_space:  global
        .offset:         48
        .size:           8
        .value_kind:     global_buffer
      - .offset:         56
        .size:           4
        .value_kind:     by_value
      - .actual_access:  write_only
        .address_space:  global
        .offset:         64
        .size:           8
        .value_kind:     global_buffer
      - .actual_access:  read_only
        .address_space:  global
        .offset:         72
        .size:           8
        .value_kind:     global_buffer
      - .actual_access:  write_only
        .address_space:  global
        .offset:         80
        .size:           8
        .value_kind:     global_buffer
    .group_segment_fixed_size: 16392
    .kernarg_segment_align: 8
    .kernarg_segment_size: 88
    .language:       OpenCL C
    .language_version:
      - 2
      - 0
    .max_flat_workgroup_size: 256
    .name:           _ZN9rocsparseL42csr2bsr_wavefront_per_row_multipass_kernelILj256ELj32ELj16EdliEEv20rocsparse_direction_T4_S2_S2_S2_S2_21rocsparse_index_base_PKT2_PKT3_PKS2_S3_PS4_PS7_PS2_
    .private_segment_fixed_size: 0
    .sgpr_count:     30
    .sgpr_spill_count: 0
    .symbol:         _ZN9rocsparseL42csr2bsr_wavefront_per_row_multipass_kernelILj256ELj32ELj16EdliEEv20rocsparse_direction_T4_S2_S2_S2_S2_21rocsparse_index_base_PKT2_PKT3_PKS2_S3_PS4_PS7_PS2_.kd
    .uniform_work_group_size: 1
    .uses_dynamic_stack: false
    .vgpr_count:     57
    .vgpr_spill_count: 0
    .wavefront_size: 32
    .workgroup_processor_mode: 1
  - .args:
      - .offset:         0
        .size:           4
        .value_kind:     by_value
      - .offset:         4
        .size:           4
        .value_kind:     by_value
      - .offset:         8
        .size:           4
        .value_kind:     by_value
      - .offset:         12
        .size:           4
        .value_kind:     by_value
      - .offset:         16
        .size:           4
        .value_kind:     by_value
      - .offset:         20
        .size:           4
        .value_kind:     by_value
      - .offset:         24
        .size:           4
        .value_kind:     by_value
      - .actual_access:  read_only
        .address_space:  global
        .offset:         32
        .size:           8
        .value_kind:     global_buffer
      - .actual_access:  read_only
        .address_space:  global
        .offset:         40
        .size:           8
        .value_kind:     global_buffer
      - .actual_access:  read_only
        .address_space:  global
        .offset:         48
        .size:           8
        .value_kind:     global_buffer
      - .offset:         56
        .size:           4
        .value_kind:     by_value
      - .actual_access:  write_only
        .address_space:  global
        .offset:         64
        .size:           8
        .value_kind:     global_buffer
      - .actual_access:  read_only
        .address_space:  global
        .offset:         72
        .size:           8
        .value_kind:     global_buffer
      - .actual_access:  write_only
        .address_space:  global
        .offset:         80
        .size:           8
        .value_kind:     global_buffer
    .group_segment_fixed_size: 8200
    .kernarg_segment_align: 8
    .kernarg_segment_size: 88
    .language:       OpenCL C
    .language_version:
      - 2
      - 0
    .max_flat_workgroup_size: 256
    .name:           _ZN9rocsparseL38csr2bsr_block_per_row_multipass_kernelILj256ELj32EdliEEv20rocsparse_direction_T3_S2_S2_S2_S2_21rocsparse_index_base_PKT1_PKT2_PKS2_S3_PS4_PS7_PS2_
    .private_segment_fixed_size: 0
    .sgpr_count:     38
    .sgpr_spill_count: 0
    .symbol:         _ZN9rocsparseL38csr2bsr_block_per_row_multipass_kernelILj256ELj32EdliEEv20rocsparse_direction_T3_S2_S2_S2_S2_21rocsparse_index_base_PKT1_PKT2_PKS2_S3_PS4_PS7_PS2_.kd
    .uniform_work_group_size: 1
    .uses_dynamic_stack: false
    .vgpr_count:     44
    .vgpr_spill_count: 0
    .wavefront_size: 32
    .workgroup_processor_mode: 1
  - .args:
      - .offset:         0
        .size:           4
        .value_kind:     by_value
      - .offset:         4
        .size:           4
        .value_kind:     by_value
      - .offset:         8
        .size:           4
        .value_kind:     by_value
      - .offset:         12
        .size:           4
        .value_kind:     by_value
      - .offset:         16
        .size:           4
        .value_kind:     by_value
      - .offset:         20
        .size:           4
        .value_kind:     by_value
      - .offset:         24
        .size:           4
        .value_kind:     by_value
      - .actual_access:  read_only
        .address_space:  global
        .offset:         32
        .size:           8
        .value_kind:     global_buffer
      - .actual_access:  read_only
        .address_space:  global
        .offset:         40
        .size:           8
        .value_kind:     global_buffer
      - .actual_access:  read_only
        .address_space:  global
        .offset:         48
        .size:           8
        .value_kind:     global_buffer
      - .offset:         56
        .size:           4
        .value_kind:     by_value
      - .actual_access:  write_only
        .address_space:  global
        .offset:         64
        .size:           8
        .value_kind:     global_buffer
      - .actual_access:  read_only
        .address_space:  global
        .offset:         72
        .size:           8
        .value_kind:     global_buffer
      - .actual_access:  write_only
        .address_space:  global
        .offset:         80
        .size:           8
        .value_kind:     global_buffer
    .group_segment_fixed_size: 32776
    .kernarg_segment_align: 8
    .kernarg_segment_size: 88
    .language:       OpenCL C
    .language_version:
      - 2
      - 0
    .max_flat_workgroup_size: 256
    .name:           _ZN9rocsparseL38csr2bsr_block_per_row_multipass_kernelILj256ELj64EdliEEv20rocsparse_direction_T3_S2_S2_S2_S2_21rocsparse_index_base_PKT1_PKT2_PKS2_S3_PS4_PS7_PS2_
    .private_segment_fixed_size: 0
    .sgpr_count:     50
    .sgpr_spill_count: 0
    .symbol:         _ZN9rocsparseL38csr2bsr_block_per_row_multipass_kernelILj256ELj64EdliEEv20rocsparse_direction_T3_S2_S2_S2_S2_21rocsparse_index_base_PKT1_PKT2_PKS2_S3_PS4_PS7_PS2_.kd
    .uniform_work_group_size: 1
    .uses_dynamic_stack: false
    .vgpr_count:     67
    .vgpr_spill_count: 0
    .wavefront_size: 32
    .workgroup_processor_mode: 1
  - .args:
      - .offset:         0
        .size:           4
        .value_kind:     by_value
      - .offset:         4
        .size:           4
        .value_kind:     by_value
      - .offset:         8
        .size:           4
        .value_kind:     by_value
      - .offset:         12
        .size:           4
        .value_kind:     by_value
      - .offset:         16
        .size:           4
        .value_kind:     by_value
      - .offset:         20
        .size:           4
        .value_kind:     by_value
      - .offset:         24
        .size:           4
        .value_kind:     by_value
      - .offset:         28
        .size:           4
        .value_kind:     by_value
      - .actual_access:  read_only
        .address_space:  global
        .offset:         32
        .size:           8
        .value_kind:     global_buffer
      - .actual_access:  read_only
        .address_space:  global
        .offset:         40
        .size:           8
        .value_kind:     global_buffer
      - .actual_access:  read_only
        .address_space:  global
        .offset:         48
        .size:           8
        .value_kind:     global_buffer
      - .offset:         56
        .size:           4
        .value_kind:     by_value
      - .actual_access:  write_only
        .address_space:  global
        .offset:         64
        .size:           8
        .value_kind:     global_buffer
      - .actual_access:  read_only
        .address_space:  global
        .offset:         72
        .size:           8
        .value_kind:     global_buffer
      - .actual_access:  write_only
        .address_space:  global
        .offset:         80
        .size:           8
        .value_kind:     global_buffer
      - .address_space:  global
        .offset:         88
        .size:           8
        .value_kind:     global_buffer
      - .address_space:  global
        .offset:         96
        .size:           8
        .value_kind:     global_buffer
      - .address_space:  global
        .offset:         104
        .size:           8
        .value_kind:     global_buffer
    .group_segment_fixed_size: 0
    .kernarg_segment_align: 8
    .kernarg_segment_size: 112
    .language:       OpenCL C
    .language_version:
      - 2
      - 0
    .max_flat_workgroup_size: 32
    .name:           _ZN9rocsparseL21csr2bsr_65_inf_kernelILj32EdliEEv20rocsparse_direction_T2_S2_S2_S2_S2_S2_21rocsparse_index_base_PKT0_PKT1_PKS2_S3_PS4_PS7_PS2_SD_SE_SC_
    .private_segment_fixed_size: 0
    .sgpr_count:     36
    .sgpr_spill_count: 0
    .symbol:         _ZN9rocsparseL21csr2bsr_65_inf_kernelILj32EdliEEv20rocsparse_direction_T2_S2_S2_S2_S2_S2_21rocsparse_index_base_PKT0_PKT1_PKS2_S3_PS4_PS7_PS2_SD_SE_SC_.kd
    .uniform_work_group_size: 1
    .uses_dynamic_stack: false
    .vgpr_count:     41
    .vgpr_spill_count: 0
    .wavefront_size: 32
    .workgroup_processor_mode: 1
  - .args:
      - .offset:         0
        .size:           8
        .value_kind:     by_value
      - .offset:         8
        .size:           8
        .value_kind:     by_value
      - .offset:         16
        .size:           8
        .value_kind:     by_value
      - .offset:         24
        .size:           8
        .value_kind:     by_value
      - .offset:         32
        .size:           4
        .value_kind:     by_value
      - .address_space:  global
        .offset:         40
        .size:           8
        .value_kind:     global_buffer
      - .address_space:  global
        .offset:         48
        .size:           8
        .value_kind:     global_buffer
      - .address_space:  global
        .offset:         56
        .size:           8
        .value_kind:     global_buffer
      - .offset:         64
        .size:           4
        .value_kind:     by_value
      - .address_space:  global
        .offset:         72
        .size:           8
        .value_kind:     global_buffer
      - .address_space:  global
        .offset:         80
        .size:           8
        .value_kind:     global_buffer
      - .address_space:  global
        .offset:         88
        .size:           8
        .value_kind:     global_buffer
      - .offset:         96
        .size:           4
        .value_kind:     hidden_block_count_x
      - .offset:         100
        .size:           4
        .value_kind:     hidden_block_count_y
      - .offset:         104
        .size:           4
        .value_kind:     hidden_block_count_z
      - .offset:         108
        .size:           2
        .value_kind:     hidden_group_size_x
      - .offset:         110
        .size:           2
        .value_kind:     hidden_group_size_y
      - .offset:         112
        .size:           2
        .value_kind:     hidden_group_size_z
      - .offset:         114
        .size:           2
        .value_kind:     hidden_remainder_x
      - .offset:         116
        .size:           2
        .value_kind:     hidden_remainder_y
      - .offset:         118
        .size:           2
        .value_kind:     hidden_remainder_z
      - .offset:         136
        .size:           8
        .value_kind:     hidden_global_offset_x
      - .offset:         144
        .size:           8
        .value_kind:     hidden_global_offset_y
      - .offset:         152
        .size:           8
        .value_kind:     hidden_global_offset_z
      - .offset:         160
        .size:           2
        .value_kind:     hidden_grid_dims
    .group_segment_fixed_size: 0
    .kernarg_segment_align: 8
    .kernarg_segment_size: 352
    .language:       OpenCL C
    .language_version:
      - 2
      - 0
    .max_flat_workgroup_size: 256
    .name:           _ZN9rocsparseL35csr2bsr_block_dim_equals_one_kernelILj256EdilEEvT2_S1_S1_S1_21rocsparse_index_base_PKT0_PKT1_PKS1_S2_PS3_PS6_PS1_
    .private_segment_fixed_size: 0
    .sgpr_count:     18
    .sgpr_spill_count: 0
    .symbol:         _ZN9rocsparseL35csr2bsr_block_dim_equals_one_kernelILj256EdilEEvT2_S1_S1_S1_21rocsparse_index_base_PKT0_PKT1_PKS1_S2_PS3_PS6_PS1_.kd
    .uniform_work_group_size: 1
    .uses_dynamic_stack: false
    .vgpr_count:     9
    .vgpr_spill_count: 0
    .wavefront_size: 32
    .workgroup_processor_mode: 1
  - .args:
      - .offset:         0
        .size:           4
        .value_kind:     by_value
      - .offset:         8
        .size:           8
        .value_kind:     by_value
      - .offset:         16
        .size:           8
        .value_kind:     by_value
      - .offset:         24
        .size:           8
        .value_kind:     by_value
      - .offset:         32
        .size:           8
        .value_kind:     by_value
      - .offset:         40
        .size:           8
        .value_kind:     by_value
      - .offset:         48
        .size:           4
        .value_kind:     by_value
      - .actual_access:  read_only
        .address_space:  global
        .offset:         56
        .size:           8
        .value_kind:     global_buffer
      - .actual_access:  read_only
        .address_space:  global
        .offset:         64
        .size:           8
        .value_kind:     global_buffer
      - .actual_access:  read_only
        .address_space:  global
        .offset:         72
        .size:           8
        .value_kind:     global_buffer
      - .offset:         80
        .size:           4
        .value_kind:     by_value
      - .actual_access:  write_only
        .address_space:  global
        .offset:         88
        .size:           8
        .value_kind:     global_buffer
      - .actual_access:  read_only
        .address_space:  global
        .offset:         96
        .size:           8
        .value_kind:     global_buffer
      - .actual_access:  write_only
        .address_space:  global
        .offset:         104
        .size:           8
        .value_kind:     global_buffer
    .group_segment_fixed_size: 2064
    .kernarg_segment_align: 8
    .kernarg_segment_size: 112
    .language:       OpenCL C
    .language_version:
      - 2
      - 0
    .max_flat_workgroup_size: 256
    .name:           _ZN9rocsparseL42csr2bsr_wavefront_per_row_multipass_kernelILj256ELj16ELj4EdilEEv20rocsparse_direction_T4_S2_S2_S2_S2_21rocsparse_index_base_PKT2_PKT3_PKS2_S3_PS4_PS7_PS2_
    .private_segment_fixed_size: 0
    .sgpr_count:     27
    .sgpr_spill_count: 0
    .symbol:         _ZN9rocsparseL42csr2bsr_wavefront_per_row_multipass_kernelILj256ELj16ELj4EdilEEv20rocsparse_direction_T4_S2_S2_S2_S2_21rocsparse_index_base_PKT2_PKT3_PKS2_S3_PS4_PS7_PS2_.kd
    .uniform_work_group_size: 1
    .uses_dynamic_stack: false
    .vgpr_count:     41
    .vgpr_spill_count: 0
    .wavefront_size: 32
    .workgroup_processor_mode: 1
  - .args:
      - .offset:         0
        .size:           4
        .value_kind:     by_value
      - .offset:         8
        .size:           8
        .value_kind:     by_value
      - .offset:         16
        .size:           8
        .value_kind:     by_value
      - .offset:         24
        .size:           8
        .value_kind:     by_value
      - .offset:         32
        .size:           8
        .value_kind:     by_value
      - .offset:         40
        .size:           8
        .value_kind:     by_value
      - .offset:         48
        .size:           4
        .value_kind:     by_value
      - .actual_access:  read_only
        .address_space:  global
        .offset:         56
        .size:           8
        .value_kind:     global_buffer
      - .actual_access:  read_only
        .address_space:  global
        .offset:         64
        .size:           8
        .value_kind:     global_buffer
      - .actual_access:  read_only
        .address_space:  global
        .offset:         72
        .size:           8
        .value_kind:     global_buffer
      - .offset:         80
        .size:           4
        .value_kind:     by_value
      - .actual_access:  write_only
        .address_space:  global
        .offset:         88
        .size:           8
        .value_kind:     global_buffer
      - .actual_access:  read_only
        .address_space:  global
        .offset:         96
        .size:           8
        .value_kind:     global_buffer
      - .actual_access:  write_only
        .address_space:  global
        .offset:         104
        .size:           8
        .value_kind:     global_buffer
    .group_segment_fixed_size: 2056
    .kernarg_segment_align: 8
    .kernarg_segment_size: 112
    .language:       OpenCL C
    .language_version:
      - 2
      - 0
    .max_flat_workgroup_size: 256
    .name:           _ZN9rocsparseL42csr2bsr_wavefront_per_row_multipass_kernelILj256ELj64ELj8EdilEEv20rocsparse_direction_T4_S2_S2_S2_S2_21rocsparse_index_base_PKT2_PKT3_PKS2_S3_PS4_PS7_PS2_
    .private_segment_fixed_size: 0
    .sgpr_count:     27
    .sgpr_spill_count: 0
    .symbol:         _ZN9rocsparseL42csr2bsr_wavefront_per_row_multipass_kernelILj256ELj64ELj8EdilEEv20rocsparse_direction_T4_S2_S2_S2_S2_21rocsparse_index_base_PKT2_PKT3_PKS2_S3_PS4_PS7_PS2_.kd
    .uniform_work_group_size: 1
    .uses_dynamic_stack: false
    .vgpr_count:     43
    .vgpr_spill_count: 0
    .wavefront_size: 32
    .workgroup_processor_mode: 1
  - .args:
      - .offset:         0
        .size:           4
        .value_kind:     by_value
      - .offset:         8
        .size:           8
        .value_kind:     by_value
      - .offset:         16
        .size:           8
        .value_kind:     by_value
      - .offset:         24
        .size:           8
        .value_kind:     by_value
      - .offset:         32
        .size:           8
        .value_kind:     by_value
      - .offset:         40
        .size:           8
        .value_kind:     by_value
      - .offset:         48
        .size:           4
        .value_kind:     by_value
      - .actual_access:  read_only
        .address_space:  global
        .offset:         56
        .size:           8
        .value_kind:     global_buffer
      - .actual_access:  read_only
        .address_space:  global
        .offset:         64
        .size:           8
        .value_kind:     global_buffer
      - .actual_access:  read_only
        .address_space:  global
        .offset:         72
        .size:           8
        .value_kind:     global_buffer
      - .offset:         80
        .size:           4
        .value_kind:     by_value
      - .actual_access:  write_only
        .address_space:  global
        .offset:         88
        .size:           8
        .value_kind:     global_buffer
      - .actual_access:  read_only
        .address_space:  global
        .offset:         96
        .size:           8
        .value_kind:     global_buffer
      - .actual_access:  write_only
        .address_space:  global
        .offset:         104
        .size:           8
        .value_kind:     global_buffer
    .group_segment_fixed_size: 4104
    .kernarg_segment_align: 8
    .kernarg_segment_size: 112
    .language:       OpenCL C
    .language_version:
      - 2
      - 0
    .max_flat_workgroup_size: 256
    .name:           _ZN9rocsparseL42csr2bsr_wavefront_per_row_multipass_kernelILj256ELj32ELj8EdilEEv20rocsparse_direction_T4_S2_S2_S2_S2_21rocsparse_index_base_PKT2_PKT3_PKS2_S3_PS4_PS7_PS2_
    .private_segment_fixed_size: 0
    .sgpr_count:     29
    .sgpr_spill_count: 0
    .symbol:         _ZN9rocsparseL42csr2bsr_wavefront_per_row_multipass_kernelILj256ELj32ELj8EdilEEv20rocsparse_direction_T4_S2_S2_S2_S2_21rocsparse_index_base_PKT2_PKT3_PKS2_S3_PS4_PS7_PS2_.kd
    .uniform_work_group_size: 1
    .uses_dynamic_stack: false
    .vgpr_count:     48
    .vgpr_spill_count: 0
    .wavefront_size: 32
    .workgroup_processor_mode: 1
  - .args:
      - .offset:         0
        .size:           4
        .value_kind:     by_value
      - .offset:         8
        .size:           8
        .value_kind:     by_value
      - .offset:         16
        .size:           8
        .value_kind:     by_value
      - .offset:         24
        .size:           8
        .value_kind:     by_value
      - .offset:         32
        .size:           8
        .value_kind:     by_value
      - .offset:         40
        .size:           8
        .value_kind:     by_value
      - .offset:         48
        .size:           4
        .value_kind:     by_value
      - .actual_access:  read_only
        .address_space:  global
        .offset:         56
        .size:           8
        .value_kind:     global_buffer
      - .actual_access:  read_only
        .address_space:  global
        .offset:         64
        .size:           8
        .value_kind:     global_buffer
      - .actual_access:  read_only
        .address_space:  global
        .offset:         72
        .size:           8
        .value_kind:     global_buffer
      - .offset:         80
        .size:           4
        .value_kind:     by_value
      - .actual_access:  write_only
        .address_space:  global
        .offset:         88
        .size:           8
        .value_kind:     global_buffer
      - .actual_access:  read_only
        .address_space:  global
        .offset:         96
        .size:           8
        .value_kind:     global_buffer
      - .actual_access:  write_only
        .address_space:  global
        .offset:         104
        .size:           8
        .value_kind:     global_buffer
    .group_segment_fixed_size: 8200
    .kernarg_segment_align: 8
    .kernarg_segment_size: 112
    .language:       OpenCL C
    .language_version:
      - 2
      - 0
    .max_flat_workgroup_size: 256
    .name:           _ZN9rocsparseL42csr2bsr_wavefront_per_row_multipass_kernelILj256ELj64ELj16EdilEEv20rocsparse_direction_T4_S2_S2_S2_S2_21rocsparse_index_base_PKT2_PKT3_PKS2_S3_PS4_PS7_PS2_
    .private_segment_fixed_size: 0
    .sgpr_count:     31
    .sgpr_spill_count: 0
    .symbol:         _ZN9rocsparseL42csr2bsr_wavefront_per_row_multipass_kernelILj256ELj64ELj16EdilEEv20rocsparse_direction_T4_S2_S2_S2_S2_21rocsparse_index_base_PKT2_PKT3_PKS2_S3_PS4_PS7_PS2_.kd
    .uniform_work_group_size: 1
    .uses_dynamic_stack: false
    .vgpr_count:     53
    .vgpr_spill_count: 0
    .wavefront_size: 32
    .workgroup_processor_mode: 1
  - .args:
      - .offset:         0
        .size:           4
        .value_kind:     by_value
      - .offset:         8
        .size:           8
        .value_kind:     by_value
      - .offset:         16
        .size:           8
        .value_kind:     by_value
      - .offset:         24
        .size:           8
        .value_kind:     by_value
      - .offset:         32
        .size:           8
        .value_kind:     by_value
      - .offset:         40
        .size:           8
        .value_kind:     by_value
      - .offset:         48
        .size:           4
        .value_kind:     by_value
      - .actual_access:  read_only
        .address_space:  global
        .offset:         56
        .size:           8
        .value_kind:     global_buffer
      - .actual_access:  read_only
        .address_space:  global
        .offset:         64
        .size:           8
        .value_kind:     global_buffer
      - .actual_access:  read_only
        .address_space:  global
        .offset:         72
        .size:           8
        .value_kind:     global_buffer
      - .offset:         80
        .size:           4
        .value_kind:     by_value
      - .actual_access:  write_only
        .address_space:  global
        .offset:         88
        .size:           8
        .value_kind:     global_buffer
      - .actual_access:  read_only
        .address_space:  global
        .offset:         96
        .size:           8
        .value_kind:     global_buffer
      - .actual_access:  write_only
        .address_space:  global
        .offset:         104
        .size:           8
        .value_kind:     global_buffer
    .group_segment_fixed_size: 16392
    .kernarg_segment_align: 8
    .kernarg_segment_size: 112
    .language:       OpenCL C
    .language_version:
      - 2
      - 0
    .max_flat_workgroup_size: 256
    .name:           _ZN9rocsparseL42csr2bsr_wavefront_per_row_multipass_kernelILj256ELj32ELj16EdilEEv20rocsparse_direction_T4_S2_S2_S2_S2_21rocsparse_index_base_PKT2_PKT3_PKS2_S3_PS4_PS7_PS2_
    .private_segment_fixed_size: 0
    .sgpr_count:     38
    .sgpr_spill_count: 0
    .symbol:         _ZN9rocsparseL42csr2bsr_wavefront_per_row_multipass_kernelILj256ELj32ELj16EdilEEv20rocsparse_direction_T4_S2_S2_S2_S2_21rocsparse_index_base_PKT2_PKT3_PKS2_S3_PS4_PS7_PS2_.kd
    .uniform_work_group_size: 1
    .uses_dynamic_stack: false
    .vgpr_count:     58
    .vgpr_spill_count: 0
    .wavefront_size: 32
    .workgroup_processor_mode: 1
  - .args:
      - .offset:         0
        .size:           4
        .value_kind:     by_value
      - .offset:         8
        .size:           8
        .value_kind:     by_value
      - .offset:         16
        .size:           8
        .value_kind:     by_value
      - .offset:         24
        .size:           8
        .value_kind:     by_value
      - .offset:         32
        .size:           8
        .value_kind:     by_value
      - .offset:         40
        .size:           8
        .value_kind:     by_value
      - .offset:         48
        .size:           4
        .value_kind:     by_value
      - .actual_access:  read_only
        .address_space:  global
        .offset:         56
        .size:           8
        .value_kind:     global_buffer
      - .actual_access:  read_only
        .address_space:  global
        .offset:         64
        .size:           8
        .value_kind:     global_buffer
      - .actual_access:  read_only
        .address_space:  global
        .offset:         72
        .size:           8
        .value_kind:     global_buffer
      - .offset:         80
        .size:           4
        .value_kind:     by_value
      - .actual_access:  write_only
        .address_space:  global
        .offset:         88
        .size:           8
        .value_kind:     global_buffer
      - .actual_access:  read_only
        .address_space:  global
        .offset:         96
        .size:           8
        .value_kind:     global_buffer
      - .actual_access:  write_only
        .address_space:  global
        .offset:         104
        .size:           8
        .value_kind:     global_buffer
    .group_segment_fixed_size: 8200
    .kernarg_segment_align: 8
    .kernarg_segment_size: 112
    .language:       OpenCL C
    .language_version:
      - 2
      - 0
    .max_flat_workgroup_size: 256
    .name:           _ZN9rocsparseL38csr2bsr_block_per_row_multipass_kernelILj256ELj32EdilEEv20rocsparse_direction_T3_S2_S2_S2_S2_21rocsparse_index_base_PKT1_PKT2_PKS2_S3_PS4_PS7_PS2_
    .private_segment_fixed_size: 0
    .sgpr_count:     42
    .sgpr_spill_count: 0
    .symbol:         _ZN9rocsparseL38csr2bsr_block_per_row_multipass_kernelILj256ELj32EdilEEv20rocsparse_direction_T3_S2_S2_S2_S2_21rocsparse_index_base_PKT1_PKT2_PKS2_S3_PS4_PS7_PS2_.kd
    .uniform_work_group_size: 1
    .uses_dynamic_stack: false
    .vgpr_count:     45
    .vgpr_spill_count: 0
    .wavefront_size: 32
    .workgroup_processor_mode: 1
  - .args:
      - .offset:         0
        .size:           4
        .value_kind:     by_value
      - .offset:         8
        .size:           8
        .value_kind:     by_value
      - .offset:         16
        .size:           8
        .value_kind:     by_value
      - .offset:         24
        .size:           8
        .value_kind:     by_value
      - .offset:         32
        .size:           8
        .value_kind:     by_value
      - .offset:         40
        .size:           8
        .value_kind:     by_value
      - .offset:         48
        .size:           4
        .value_kind:     by_value
      - .actual_access:  read_only
        .address_space:  global
        .offset:         56
        .size:           8
        .value_kind:     global_buffer
      - .actual_access:  read_only
        .address_space:  global
        .offset:         64
        .size:           8
        .value_kind:     global_buffer
      - .actual_access:  read_only
        .address_space:  global
        .offset:         72
        .size:           8
        .value_kind:     global_buffer
      - .offset:         80
        .size:           4
        .value_kind:     by_value
      - .actual_access:  write_only
        .address_space:  global
        .offset:         88
        .size:           8
        .value_kind:     global_buffer
      - .actual_access:  read_only
        .address_space:  global
        .offset:         96
        .size:           8
        .value_kind:     global_buffer
      - .actual_access:  write_only
        .address_space:  global
        .offset:         104
        .size:           8
        .value_kind:     global_buffer
    .group_segment_fixed_size: 32776
    .kernarg_segment_align: 8
    .kernarg_segment_size: 112
    .language:       OpenCL C
    .language_version:
      - 2
      - 0
    .max_flat_workgroup_size: 256
    .name:           _ZN9rocsparseL38csr2bsr_block_per_row_multipass_kernelILj256ELj64EdilEEv20rocsparse_direction_T3_S2_S2_S2_S2_21rocsparse_index_base_PKT1_PKT2_PKS2_S3_PS4_PS7_PS2_
    .private_segment_fixed_size: 0
    .sgpr_count:     54
    .sgpr_spill_count: 0
    .symbol:         _ZN9rocsparseL38csr2bsr_block_per_row_multipass_kernelILj256ELj64EdilEEv20rocsparse_direction_T3_S2_S2_S2_S2_21rocsparse_index_base_PKT1_PKT2_PKS2_S3_PS4_PS7_PS2_.kd
    .uniform_work_group_size: 1
    .uses_dynamic_stack: false
    .vgpr_count:     69
    .vgpr_spill_count: 0
    .wavefront_size: 32
    .workgroup_processor_mode: 1
  - .args:
      - .offset:         0
        .size:           4
        .value_kind:     by_value
      - .offset:         8
        .size:           8
        .value_kind:     by_value
      - .offset:         16
        .size:           8
        .value_kind:     by_value
      - .offset:         24
        .size:           8
        .value_kind:     by_value
      - .offset:         32
        .size:           8
        .value_kind:     by_value
      - .offset:         40
        .size:           8
        .value_kind:     by_value
      - .offset:         48
        .size:           8
        .value_kind:     by_value
      - .offset:         56
        .size:           4
        .value_kind:     by_value
      - .actual_access:  read_only
        .address_space:  global
        .offset:         64
        .size:           8
        .value_kind:     global_buffer
      - .actual_access:  read_only
        .address_space:  global
        .offset:         72
        .size:           8
        .value_kind:     global_buffer
      - .actual_access:  read_only
        .address_space:  global
        .offset:         80
        .size:           8
        .value_kind:     global_buffer
      - .offset:         88
        .size:           4
        .value_kind:     by_value
      - .actual_access:  write_only
        .address_space:  global
        .offset:         96
        .size:           8
        .value_kind:     global_buffer
      - .actual_access:  read_only
        .address_space:  global
        .offset:         104
        .size:           8
        .value_kind:     global_buffer
      - .actual_access:  write_only
        .address_space:  global
        .offset:         112
        .size:           8
        .value_kind:     global_buffer
      - .address_space:  global
        .offset:         120
        .size:           8
        .value_kind:     global_buffer
      - .address_space:  global
        .offset:         128
        .size:           8
        .value_kind:     global_buffer
      - .address_space:  global
        .offset:         136
        .size:           8
        .value_kind:     global_buffer
    .group_segment_fixed_size: 0
    .kernarg_segment_align: 8
    .kernarg_segment_size: 144
    .language:       OpenCL C
    .language_version:
      - 2
      - 0
    .max_flat_workgroup_size: 32
    .name:           _ZN9rocsparseL21csr2bsr_65_inf_kernelILj32EdilEEv20rocsparse_direction_T2_S2_S2_S2_S2_S2_21rocsparse_index_base_PKT0_PKT1_PKS2_S3_PS4_PS7_PS2_SD_SE_SC_
    .private_segment_fixed_size: 0
    .sgpr_count:     39
    .sgpr_spill_count: 0
    .symbol:         _ZN9rocsparseL21csr2bsr_65_inf_kernelILj32EdilEEv20rocsparse_direction_T2_S2_S2_S2_S2_S2_21rocsparse_index_base_PKT0_PKT1_PKS2_S3_PS4_PS7_PS2_SD_SE_SC_.kd
    .uniform_work_group_size: 1
    .uses_dynamic_stack: false
    .vgpr_count:     52
    .vgpr_spill_count: 0
    .wavefront_size: 32
    .workgroup_processor_mode: 1
  - .args:
      - .offset:         0
        .size:           8
        .value_kind:     by_value
      - .offset:         8
        .size:           8
        .value_kind:     by_value
      - .offset:         16
        .size:           8
        .value_kind:     by_value
      - .offset:         24
        .size:           8
        .value_kind:     by_value
      - .offset:         32
        .size:           4
        .value_kind:     by_value
      - .address_space:  global
        .offset:         40
        .size:           8
        .value_kind:     global_buffer
      - .address_space:  global
        .offset:         48
        .size:           8
        .value_kind:     global_buffer
      - .address_space:  global
        .offset:         56
        .size:           8
        .value_kind:     global_buffer
      - .offset:         64
        .size:           4
        .value_kind:     by_value
      - .address_space:  global
        .offset:         72
        .size:           8
        .value_kind:     global_buffer
      - .address_space:  global
        .offset:         80
        .size:           8
        .value_kind:     global_buffer
      - .address_space:  global
        .offset:         88
        .size:           8
        .value_kind:     global_buffer
      - .offset:         96
        .size:           4
        .value_kind:     hidden_block_count_x
      - .offset:         100
        .size:           4
        .value_kind:     hidden_block_count_y
      - .offset:         104
        .size:           4
        .value_kind:     hidden_block_count_z
      - .offset:         108
        .size:           2
        .value_kind:     hidden_group_size_x
      - .offset:         110
        .size:           2
        .value_kind:     hidden_group_size_y
      - .offset:         112
        .size:           2
        .value_kind:     hidden_group_size_z
      - .offset:         114
        .size:           2
        .value_kind:     hidden_remainder_x
      - .offset:         116
        .size:           2
        .value_kind:     hidden_remainder_y
      - .offset:         118
        .size:           2
        .value_kind:     hidden_remainder_z
      - .offset:         136
        .size:           8
        .value_kind:     hidden_global_offset_x
      - .offset:         144
        .size:           8
        .value_kind:     hidden_global_offset_y
      - .offset:         152
        .size:           8
        .value_kind:     hidden_global_offset_z
      - .offset:         160
        .size:           2
        .value_kind:     hidden_grid_dims
    .group_segment_fixed_size: 0
    .kernarg_segment_align: 8
    .kernarg_segment_size: 352
    .language:       OpenCL C
    .language_version:
      - 2
      - 0
    .max_flat_workgroup_size: 256
    .name:           _ZN9rocsparseL35csr2bsr_block_dim_equals_one_kernelILj256EdllEEvT2_S1_S1_S1_21rocsparse_index_base_PKT0_PKT1_PKS1_S2_PS3_PS6_PS1_
    .private_segment_fixed_size: 0
    .sgpr_count:     20
    .sgpr_spill_count: 0
    .symbol:         _ZN9rocsparseL35csr2bsr_block_dim_equals_one_kernelILj256EdllEEvT2_S1_S1_S1_21rocsparse_index_base_PKT0_PKT1_PKS1_S2_PS3_PS6_PS1_.kd
    .uniform_work_group_size: 1
    .uses_dynamic_stack: false
    .vgpr_count:     12
    .vgpr_spill_count: 0
    .wavefront_size: 32
    .workgroup_processor_mode: 1
  - .args:
      - .offset:         0
        .size:           4
        .value_kind:     by_value
      - .offset:         8
        .size:           8
        .value_kind:     by_value
      - .offset:         16
        .size:           8
        .value_kind:     by_value
      - .offset:         24
        .size:           8
        .value_kind:     by_value
      - .offset:         32
        .size:           8
        .value_kind:     by_value
      - .offset:         40
        .size:           8
        .value_kind:     by_value
      - .offset:         48
        .size:           4
        .value_kind:     by_value
      - .actual_access:  read_only
        .address_space:  global
        .offset:         56
        .size:           8
        .value_kind:     global_buffer
      - .actual_access:  read_only
        .address_space:  global
        .offset:         64
        .size:           8
        .value_kind:     global_buffer
      - .actual_access:  read_only
        .address_space:  global
        .offset:         72
        .size:           8
        .value_kind:     global_buffer
      - .offset:         80
        .size:           4
        .value_kind:     by_value
      - .actual_access:  write_only
        .address_space:  global
        .offset:         88
        .size:           8
        .value_kind:     global_buffer
      - .actual_access:  read_only
        .address_space:  global
        .offset:         96
        .size:           8
        .value_kind:     global_buffer
      - .actual_access:  write_only
        .address_space:  global
        .offset:         104
        .size:           8
        .value_kind:     global_buffer
    .group_segment_fixed_size: 2064
    .kernarg_segment_align: 8
    .kernarg_segment_size: 112
    .language:       OpenCL C
    .language_version:
      - 2
      - 0
    .max_flat_workgroup_size: 256
    .name:           _ZN9rocsparseL42csr2bsr_wavefront_per_row_multipass_kernelILj256ELj16ELj4EdllEEv20rocsparse_direction_T4_S2_S2_S2_S2_21rocsparse_index_base_PKT2_PKT3_PKS2_S3_PS4_PS7_PS2_
    .private_segment_fixed_size: 0
    .sgpr_count:     27
    .sgpr_spill_count: 0
    .symbol:         _ZN9rocsparseL42csr2bsr_wavefront_per_row_multipass_kernelILj256ELj16ELj4EdllEEv20rocsparse_direction_T4_S2_S2_S2_S2_21rocsparse_index_base_PKT2_PKT3_PKS2_S3_PS4_PS7_PS2_.kd
    .uniform_work_group_size: 1
    .uses_dynamic_stack: false
    .vgpr_count:     46
    .vgpr_spill_count: 0
    .wavefront_size: 32
    .workgroup_processor_mode: 1
  - .args:
      - .offset:         0
        .size:           4
        .value_kind:     by_value
      - .offset:         8
        .size:           8
        .value_kind:     by_value
      - .offset:         16
        .size:           8
        .value_kind:     by_value
      - .offset:         24
        .size:           8
        .value_kind:     by_value
      - .offset:         32
        .size:           8
        .value_kind:     by_value
      - .offset:         40
        .size:           8
        .value_kind:     by_value
      - .offset:         48
        .size:           4
        .value_kind:     by_value
      - .actual_access:  read_only
        .address_space:  global
        .offset:         56
        .size:           8
        .value_kind:     global_buffer
      - .actual_access:  read_only
        .address_space:  global
        .offset:         64
        .size:           8
        .value_kind:     global_buffer
      - .actual_access:  read_only
        .address_space:  global
        .offset:         72
        .size:           8
        .value_kind:     global_buffer
      - .offset:         80
        .size:           4
        .value_kind:     by_value
      - .actual_access:  write_only
        .address_space:  global
        .offset:         88
        .size:           8
        .value_kind:     global_buffer
      - .actual_access:  read_only
        .address_space:  global
        .offset:         96
        .size:           8
        .value_kind:     global_buffer
      - .actual_access:  write_only
        .address_space:  global
        .offset:         104
        .size:           8
        .value_kind:     global_buffer
    .group_segment_fixed_size: 2056
    .kernarg_segment_align: 8
    .kernarg_segment_size: 112
    .language:       OpenCL C
    .language_version:
      - 2
      - 0
    .max_flat_workgroup_size: 256
    .name:           _ZN9rocsparseL42csr2bsr_wavefront_per_row_multipass_kernelILj256ELj64ELj8EdllEEv20rocsparse_direction_T4_S2_S2_S2_S2_21rocsparse_index_base_PKT2_PKT3_PKS2_S3_PS4_PS7_PS2_
    .private_segment_fixed_size: 0
    .sgpr_count:     27
    .sgpr_spill_count: 0
    .symbol:         _ZN9rocsparseL42csr2bsr_wavefront_per_row_multipass_kernelILj256ELj64ELj8EdllEEv20rocsparse_direction_T4_S2_S2_S2_S2_21rocsparse_index_base_PKT2_PKT3_PKS2_S3_PS4_PS7_PS2_.kd
    .uniform_work_group_size: 1
    .uses_dynamic_stack: false
    .vgpr_count:     48
    .vgpr_spill_count: 0
    .wavefront_size: 32
    .workgroup_processor_mode: 1
  - .args:
      - .offset:         0
        .size:           4
        .value_kind:     by_value
      - .offset:         8
        .size:           8
        .value_kind:     by_value
      - .offset:         16
        .size:           8
        .value_kind:     by_value
      - .offset:         24
        .size:           8
        .value_kind:     by_value
      - .offset:         32
        .size:           8
        .value_kind:     by_value
      - .offset:         40
        .size:           8
        .value_kind:     by_value
      - .offset:         48
        .size:           4
        .value_kind:     by_value
      - .actual_access:  read_only
        .address_space:  global
        .offset:         56
        .size:           8
        .value_kind:     global_buffer
      - .actual_access:  read_only
        .address_space:  global
        .offset:         64
        .size:           8
        .value_kind:     global_buffer
      - .actual_access:  read_only
        .address_space:  global
        .offset:         72
        .size:           8
        .value_kind:     global_buffer
      - .offset:         80
        .size:           4
        .value_kind:     by_value
      - .actual_access:  write_only
        .address_space:  global
        .offset:         88
        .size:           8
        .value_kind:     global_buffer
      - .actual_access:  read_only
        .address_space:  global
        .offset:         96
        .size:           8
        .value_kind:     global_buffer
      - .actual_access:  write_only
        .address_space:  global
        .offset:         104
        .size:           8
        .value_kind:     global_buffer
    .group_segment_fixed_size: 4104
    .kernarg_segment_align: 8
    .kernarg_segment_size: 112
    .language:       OpenCL C
    .language_version:
      - 2
      - 0
    .max_flat_workgroup_size: 256
    .name:           _ZN9rocsparseL42csr2bsr_wavefront_per_row_multipass_kernelILj256ELj32ELj8EdllEEv20rocsparse_direction_T4_S2_S2_S2_S2_21rocsparse_index_base_PKT2_PKT3_PKS2_S3_PS4_PS7_PS2_
    .private_segment_fixed_size: 0
    .sgpr_count:     29
    .sgpr_spill_count: 0
    .symbol:         _ZN9rocsparseL42csr2bsr_wavefront_per_row_multipass_kernelILj256ELj32ELj8EdllEEv20rocsparse_direction_T4_S2_S2_S2_S2_21rocsparse_index_base_PKT2_PKT3_PKS2_S3_PS4_PS7_PS2_.kd
    .uniform_work_group_size: 1
    .uses_dynamic_stack: false
    .vgpr_count:     53
    .vgpr_spill_count: 0
    .wavefront_size: 32
    .workgroup_processor_mode: 1
  - .args:
      - .offset:         0
        .size:           4
        .value_kind:     by_value
      - .offset:         8
        .size:           8
        .value_kind:     by_value
      - .offset:         16
        .size:           8
        .value_kind:     by_value
      - .offset:         24
        .size:           8
        .value_kind:     by_value
      - .offset:         32
        .size:           8
        .value_kind:     by_value
      - .offset:         40
        .size:           8
        .value_kind:     by_value
      - .offset:         48
        .size:           4
        .value_kind:     by_value
      - .actual_access:  read_only
        .address_space:  global
        .offset:         56
        .size:           8
        .value_kind:     global_buffer
      - .actual_access:  read_only
        .address_space:  global
        .offset:         64
        .size:           8
        .value_kind:     global_buffer
      - .actual_access:  read_only
        .address_space:  global
        .offset:         72
        .size:           8
        .value_kind:     global_buffer
      - .offset:         80
        .size:           4
        .value_kind:     by_value
      - .actual_access:  write_only
        .address_space:  global
        .offset:         88
        .size:           8
        .value_kind:     global_buffer
      - .actual_access:  read_only
        .address_space:  global
        .offset:         96
        .size:           8
        .value_kind:     global_buffer
      - .actual_access:  write_only
        .address_space:  global
        .offset:         104
        .size:           8
        .value_kind:     global_buffer
    .group_segment_fixed_size: 8200
    .kernarg_segment_align: 8
    .kernarg_segment_size: 112
    .language:       OpenCL C
    .language_version:
      - 2
      - 0
    .max_flat_workgroup_size: 256
    .name:           _ZN9rocsparseL42csr2bsr_wavefront_per_row_multipass_kernelILj256ELj64ELj16EdllEEv20rocsparse_direction_T4_S2_S2_S2_S2_21rocsparse_index_base_PKT2_PKT3_PKS2_S3_PS4_PS7_PS2_
    .private_segment_fixed_size: 0
    .sgpr_count:     31
    .sgpr_spill_count: 0
    .symbol:         _ZN9rocsparseL42csr2bsr_wavefront_per_row_multipass_kernelILj256ELj64ELj16EdllEEv20rocsparse_direction_T4_S2_S2_S2_S2_21rocsparse_index_base_PKT2_PKT3_PKS2_S3_PS4_PS7_PS2_.kd
    .uniform_work_group_size: 1
    .uses_dynamic_stack: false
    .vgpr_count:     58
    .vgpr_spill_count: 0
    .wavefront_size: 32
    .workgroup_processor_mode: 1
  - .args:
      - .offset:         0
        .size:           4
        .value_kind:     by_value
      - .offset:         8
        .size:           8
        .value_kind:     by_value
      - .offset:         16
        .size:           8
        .value_kind:     by_value
      - .offset:         24
        .size:           8
        .value_kind:     by_value
      - .offset:         32
        .size:           8
        .value_kind:     by_value
      - .offset:         40
        .size:           8
        .value_kind:     by_value
      - .offset:         48
        .size:           4
        .value_kind:     by_value
      - .actual_access:  read_only
        .address_space:  global
        .offset:         56
        .size:           8
        .value_kind:     global_buffer
      - .actual_access:  read_only
        .address_space:  global
        .offset:         64
        .size:           8
        .value_kind:     global_buffer
      - .actual_access:  read_only
        .address_space:  global
        .offset:         72
        .size:           8
        .value_kind:     global_buffer
      - .offset:         80
        .size:           4
        .value_kind:     by_value
      - .actual_access:  write_only
        .address_space:  global
        .offset:         88
        .size:           8
        .value_kind:     global_buffer
      - .actual_access:  read_only
        .address_space:  global
        .offset:         96
        .size:           8
        .value_kind:     global_buffer
      - .actual_access:  write_only
        .address_space:  global
        .offset:         104
        .size:           8
        .value_kind:     global_buffer
    .group_segment_fixed_size: 16392
    .kernarg_segment_align: 8
    .kernarg_segment_size: 112
    .language:       OpenCL C
    .language_version:
      - 2
      - 0
    .max_flat_workgroup_size: 256
    .name:           _ZN9rocsparseL42csr2bsr_wavefront_per_row_multipass_kernelILj256ELj32ELj16EdllEEv20rocsparse_direction_T4_S2_S2_S2_S2_21rocsparse_index_base_PKT2_PKT3_PKS2_S3_PS4_PS7_PS2_
    .private_segment_fixed_size: 0
    .sgpr_count:     38
    .sgpr_spill_count: 0
    .symbol:         _ZN9rocsparseL42csr2bsr_wavefront_per_row_multipass_kernelILj256ELj32ELj16EdllEEv20rocsparse_direction_T4_S2_S2_S2_S2_21rocsparse_index_base_PKT2_PKT3_PKS2_S3_PS4_PS7_PS2_.kd
    .uniform_work_group_size: 1
    .uses_dynamic_stack: false
    .vgpr_count:     63
    .vgpr_spill_count: 0
    .wavefront_size: 32
    .workgroup_processor_mode: 1
  - .args:
      - .offset:         0
        .size:           4
        .value_kind:     by_value
      - .offset:         8
        .size:           8
        .value_kind:     by_value
      - .offset:         16
        .size:           8
        .value_kind:     by_value
      - .offset:         24
        .size:           8
        .value_kind:     by_value
      - .offset:         32
        .size:           8
        .value_kind:     by_value
      - .offset:         40
        .size:           8
        .value_kind:     by_value
      - .offset:         48
        .size:           4
        .value_kind:     by_value
      - .actual_access:  read_only
        .address_space:  global
        .offset:         56
        .size:           8
        .value_kind:     global_buffer
      - .actual_access:  read_only
        .address_space:  global
        .offset:         64
        .size:           8
        .value_kind:     global_buffer
      - .actual_access:  read_only
        .address_space:  global
        .offset:         72
        .size:           8
        .value_kind:     global_buffer
      - .offset:         80
        .size:           4
        .value_kind:     by_value
      - .actual_access:  write_only
        .address_space:  global
        .offset:         88
        .size:           8
        .value_kind:     global_buffer
      - .actual_access:  read_only
        .address_space:  global
        .offset:         96
        .size:           8
        .value_kind:     global_buffer
      - .actual_access:  write_only
        .address_space:  global
        .offset:         104
        .size:           8
        .value_kind:     global_buffer
    .group_segment_fixed_size: 8200
    .kernarg_segment_align: 8
    .kernarg_segment_size: 112
    .language:       OpenCL C
    .language_version:
      - 2
      - 0
    .max_flat_workgroup_size: 256
    .name:           _ZN9rocsparseL38csr2bsr_block_per_row_multipass_kernelILj256ELj32EdllEEv20rocsparse_direction_T3_S2_S2_S2_S2_21rocsparse_index_base_PKT1_PKT2_PKS2_S3_PS4_PS7_PS2_
    .private_segment_fixed_size: 0
    .sgpr_count:     43
    .sgpr_spill_count: 0
    .symbol:         _ZN9rocsparseL38csr2bsr_block_per_row_multipass_kernelILj256ELj32EdllEEv20rocsparse_direction_T3_S2_S2_S2_S2_21rocsparse_index_base_PKT1_PKT2_PKS2_S3_PS4_PS7_PS2_.kd
    .uniform_work_group_size: 1
    .uses_dynamic_stack: false
    .vgpr_count:     49
    .vgpr_spill_count: 0
    .wavefront_size: 32
    .workgroup_processor_mode: 1
  - .args:
      - .offset:         0
        .size:           4
        .value_kind:     by_value
      - .offset:         8
        .size:           8
        .value_kind:     by_value
      - .offset:         16
        .size:           8
        .value_kind:     by_value
      - .offset:         24
        .size:           8
        .value_kind:     by_value
      - .offset:         32
        .size:           8
        .value_kind:     by_value
      - .offset:         40
        .size:           8
        .value_kind:     by_value
      - .offset:         48
        .size:           4
        .value_kind:     by_value
      - .actual_access:  read_only
        .address_space:  global
        .offset:         56
        .size:           8
        .value_kind:     global_buffer
      - .actual_access:  read_only
        .address_space:  global
        .offset:         64
        .size:           8
        .value_kind:     global_buffer
      - .actual_access:  read_only
        .address_space:  global
        .offset:         72
        .size:           8
        .value_kind:     global_buffer
      - .offset:         80
        .size:           4
        .value_kind:     by_value
      - .actual_access:  write_only
        .address_space:  global
        .offset:         88
        .size:           8
        .value_kind:     global_buffer
      - .actual_access:  read_only
        .address_space:  global
        .offset:         96
        .size:           8
        .value_kind:     global_buffer
      - .actual_access:  write_only
        .address_space:  global
        .offset:         104
        .size:           8
        .value_kind:     global_buffer
    .group_segment_fixed_size: 32776
    .kernarg_segment_align: 8
    .kernarg_segment_size: 112
    .language:       OpenCL C
    .language_version:
      - 2
      - 0
    .max_flat_workgroup_size: 256
    .name:           _ZN9rocsparseL38csr2bsr_block_per_row_multipass_kernelILj256ELj64EdllEEv20rocsparse_direction_T3_S2_S2_S2_S2_21rocsparse_index_base_PKT1_PKT2_PKS2_S3_PS4_PS7_PS2_
    .private_segment_fixed_size: 0
    .sgpr_count:     55
    .sgpr_spill_count: 0
    .symbol:         _ZN9rocsparseL38csr2bsr_block_per_row_multipass_kernelILj256ELj64EdllEEv20rocsparse_direction_T3_S2_S2_S2_S2_21rocsparse_index_base_PKT1_PKT2_PKS2_S3_PS4_PS7_PS2_.kd
    .uniform_work_group_size: 1
    .uses_dynamic_stack: false
    .vgpr_count:     72
    .vgpr_spill_count: 0
    .wavefront_size: 32
    .workgroup_processor_mode: 1
  - .args:
      - .offset:         0
        .size:           4
        .value_kind:     by_value
      - .offset:         8
        .size:           8
        .value_kind:     by_value
      - .offset:         16
        .size:           8
        .value_kind:     by_value
      - .offset:         24
        .size:           8
        .value_kind:     by_value
      - .offset:         32
        .size:           8
        .value_kind:     by_value
      - .offset:         40
        .size:           8
        .value_kind:     by_value
      - .offset:         48
        .size:           8
        .value_kind:     by_value
      - .offset:         56
        .size:           4
        .value_kind:     by_value
      - .actual_access:  read_only
        .address_space:  global
        .offset:         64
        .size:           8
        .value_kind:     global_buffer
      - .actual_access:  read_only
        .address_space:  global
        .offset:         72
        .size:           8
        .value_kind:     global_buffer
      - .actual_access:  read_only
        .address_space:  global
        .offset:         80
        .size:           8
        .value_kind:     global_buffer
      - .offset:         88
        .size:           4
        .value_kind:     by_value
      - .actual_access:  write_only
        .address_space:  global
        .offset:         96
        .size:           8
        .value_kind:     global_buffer
      - .actual_access:  read_only
        .address_space:  global
        .offset:         104
        .size:           8
        .value_kind:     global_buffer
      - .actual_access:  write_only
        .address_space:  global
        .offset:         112
        .size:           8
        .value_kind:     global_buffer
      - .address_space:  global
        .offset:         120
        .size:           8
        .value_kind:     global_buffer
      - .address_space:  global
        .offset:         128
        .size:           8
        .value_kind:     global_buffer
      - .address_space:  global
        .offset:         136
        .size:           8
        .value_kind:     global_buffer
    .group_segment_fixed_size: 0
    .kernarg_segment_align: 8
    .kernarg_segment_size: 144
    .language:       OpenCL C
    .language_version:
      - 2
      - 0
    .max_flat_workgroup_size: 32
    .name:           _ZN9rocsparseL21csr2bsr_65_inf_kernelILj32EdllEEv20rocsparse_direction_T2_S2_S2_S2_S2_S2_21rocsparse_index_base_PKT0_PKT1_PKS2_S3_PS4_PS7_PS2_SD_SE_SC_
    .private_segment_fixed_size: 0
    .sgpr_count:     39
    .sgpr_spill_count: 0
    .symbol:         _ZN9rocsparseL21csr2bsr_65_inf_kernelILj32EdllEEv20rocsparse_direction_T2_S2_S2_S2_S2_S2_21rocsparse_index_base_PKT0_PKT1_PKS2_S3_PS4_PS7_PS2_SD_SE_SC_.kd
    .uniform_work_group_size: 1
    .uses_dynamic_stack: false
    .vgpr_count:     52
    .vgpr_spill_count: 0
    .wavefront_size: 32
    .workgroup_processor_mode: 1
  - .args:
      - .offset:         0
        .size:           4
        .value_kind:     by_value
      - .offset:         4
        .size:           4
        .value_kind:     by_value
      - .offset:         8
        .size:           4
        .value_kind:     by_value
      - .offset:         12
        .size:           4
        .value_kind:     by_value
      - .offset:         16
        .size:           4
        .value_kind:     by_value
      - .address_space:  global
        .offset:         24
        .size:           8
        .value_kind:     global_buffer
      - .address_space:  global
        .offset:         32
        .size:           8
        .value_kind:     global_buffer
      - .address_space:  global
        .offset:         40
        .size:           8
        .value_kind:     global_buffer
      - .offset:         48
        .size:           4
        .value_kind:     by_value
      - .address_space:  global
        .offset:         56
        .size:           8
        .value_kind:     global_buffer
      - .address_space:  global
        .offset:         64
        .size:           8
        .value_kind:     global_buffer
      - .address_space:  global
        .offset:         72
        .size:           8
        .value_kind:     global_buffer
      - .offset:         80
        .size:           4
        .value_kind:     hidden_block_count_x
      - .offset:         84
        .size:           4
        .value_kind:     hidden_block_count_y
      - .offset:         88
        .size:           4
        .value_kind:     hidden_block_count_z
      - .offset:         92
        .size:           2
        .value_kind:     hidden_group_size_x
      - .offset:         94
        .size:           2
        .value_kind:     hidden_group_size_y
      - .offset:         96
        .size:           2
        .value_kind:     hidden_group_size_z
      - .offset:         98
        .size:           2
        .value_kind:     hidden_remainder_x
      - .offset:         100
        .size:           2
        .value_kind:     hidden_remainder_y
      - .offset:         102
        .size:           2
        .value_kind:     hidden_remainder_z
      - .offset:         120
        .size:           8
        .value_kind:     hidden_global_offset_x
      - .offset:         128
        .size:           8
        .value_kind:     hidden_global_offset_y
      - .offset:         136
        .size:           8
        .value_kind:     hidden_global_offset_z
      - .offset:         144
        .size:           2
        .value_kind:     hidden_grid_dims
    .group_segment_fixed_size: 0
    .kernarg_segment_align: 8
    .kernarg_segment_size: 336
    .language:       OpenCL C
    .language_version:
      - 2
      - 0
    .max_flat_workgroup_size: 256
    .name:           _ZN9rocsparseL35csr2bsr_block_dim_equals_one_kernelILj256E21rocsparse_complex_numIdEiiEEvT2_S3_S3_S3_21rocsparse_index_base_PKT0_PKT1_PKS3_S4_PS5_PS8_PS3_
    .private_segment_fixed_size: 0
    .sgpr_count:     18
    .sgpr_spill_count: 0
    .symbol:         _ZN9rocsparseL35csr2bsr_block_dim_equals_one_kernelILj256E21rocsparse_complex_numIdEiiEEvT2_S3_S3_S3_21rocsparse_index_base_PKT0_PKT1_PKS3_S4_PS5_PS8_PS3_.kd
    .uniform_work_group_size: 1
    .uses_dynamic_stack: false
    .vgpr_count:     8
    .vgpr_spill_count: 0
    .wavefront_size: 32
    .workgroup_processor_mode: 1
  - .args:
      - .offset:         0
        .size:           4
        .value_kind:     by_value
      - .offset:         4
        .size:           4
        .value_kind:     by_value
      - .offset:         8
        .size:           4
        .value_kind:     by_value
      - .offset:         12
        .size:           4
        .value_kind:     by_value
      - .offset:         16
        .size:           4
        .value_kind:     by_value
      - .offset:         20
        .size:           4
        .value_kind:     by_value
      - .offset:         24
        .size:           4
        .value_kind:     by_value
      - .actual_access:  read_only
        .address_space:  global
        .offset:         32
        .size:           8
        .value_kind:     global_buffer
      - .actual_access:  read_only
        .address_space:  global
        .offset:         40
        .size:           8
        .value_kind:     global_buffer
      - .actual_access:  read_only
        .address_space:  global
        .offset:         48
        .size:           8
        .value_kind:     global_buffer
      - .offset:         56
        .size:           4
        .value_kind:     by_value
      - .actual_access:  write_only
        .address_space:  global
        .offset:         64
        .size:           8
        .value_kind:     global_buffer
      - .actual_access:  read_only
        .address_space:  global
        .offset:         72
        .size:           8
        .value_kind:     global_buffer
      - .actual_access:  write_only
        .address_space:  global
        .offset:         80
        .size:           8
        .value_kind:     global_buffer
    .group_segment_fixed_size: 4112
    .kernarg_segment_align: 8
    .kernarg_segment_size: 88
    .language:       OpenCL C
    .language_version:
      - 2
      - 0
    .max_flat_workgroup_size: 256
    .name:           _ZN9rocsparseL42csr2bsr_wavefront_per_row_multipass_kernelILj256ELj16ELj4E21rocsparse_complex_numIdEiiEEv20rocsparse_direction_T4_S4_S4_S4_S4_21rocsparse_index_base_PKT2_PKT3_PKS4_S5_PS6_PS9_PS4_
    .private_segment_fixed_size: 0
    .sgpr_count:     22
    .sgpr_spill_count: 0
    .symbol:         _ZN9rocsparseL42csr2bsr_wavefront_per_row_multipass_kernelILj256ELj16ELj4E21rocsparse_complex_numIdEiiEEv20rocsparse_direction_T4_S4_S4_S4_S4_21rocsparse_index_base_PKT2_PKT3_PKS4_S5_PS6_PS9_PS4_.kd
    .uniform_work_group_size: 1
    .uses_dynamic_stack: false
    .vgpr_count:     32
    .vgpr_spill_count: 0
    .wavefront_size: 32
    .workgroup_processor_mode: 1
  - .args:
      - .offset:         0
        .size:           4
        .value_kind:     by_value
      - .offset:         4
        .size:           4
        .value_kind:     by_value
      - .offset:         8
        .size:           4
        .value_kind:     by_value
      - .offset:         12
        .size:           4
        .value_kind:     by_value
      - .offset:         16
        .size:           4
        .value_kind:     by_value
      - .offset:         20
        .size:           4
        .value_kind:     by_value
      - .offset:         24
        .size:           4
        .value_kind:     by_value
      - .actual_access:  read_only
        .address_space:  global
        .offset:         32
        .size:           8
        .value_kind:     global_buffer
      - .actual_access:  read_only
        .address_space:  global
        .offset:         40
        .size:           8
        .value_kind:     global_buffer
      - .actual_access:  read_only
        .address_space:  global
        .offset:         48
        .size:           8
        .value_kind:     global_buffer
      - .offset:         56
        .size:           4
        .value_kind:     by_value
      - .actual_access:  write_only
        .address_space:  global
        .offset:         64
        .size:           8
        .value_kind:     global_buffer
      - .actual_access:  read_only
        .address_space:  global
        .offset:         72
        .size:           8
        .value_kind:     global_buffer
      - .actual_access:  write_only
        .address_space:  global
        .offset:         80
        .size:           8
        .value_kind:     global_buffer
    .group_segment_fixed_size: 4104
    .kernarg_segment_align: 8
    .kernarg_segment_size: 88
    .language:       OpenCL C
    .language_version:
      - 2
      - 0
    .max_flat_workgroup_size: 256
    .name:           _ZN9rocsparseL42csr2bsr_wavefront_per_row_multipass_kernelILj256ELj64ELj8E21rocsparse_complex_numIdEiiEEv20rocsparse_direction_T4_S4_S4_S4_S4_21rocsparse_index_base_PKT2_PKT3_PKS4_S5_PS6_PS9_PS4_
    .private_segment_fixed_size: 0
    .sgpr_count:     22
    .sgpr_spill_count: 0
    .symbol:         _ZN9rocsparseL42csr2bsr_wavefront_per_row_multipass_kernelILj256ELj64ELj8E21rocsparse_complex_numIdEiiEEv20rocsparse_direction_T4_S4_S4_S4_S4_21rocsparse_index_base_PKT2_PKT3_PKS4_S5_PS6_PS9_PS4_.kd
    .uniform_work_group_size: 1
    .uses_dynamic_stack: false
    .vgpr_count:     34
    .vgpr_spill_count: 0
    .wavefront_size: 32
    .workgroup_processor_mode: 1
  - .args:
      - .offset:         0
        .size:           4
        .value_kind:     by_value
      - .offset:         4
        .size:           4
        .value_kind:     by_value
      - .offset:         8
        .size:           4
        .value_kind:     by_value
      - .offset:         12
        .size:           4
        .value_kind:     by_value
      - .offset:         16
        .size:           4
        .value_kind:     by_value
      - .offset:         20
        .size:           4
        .value_kind:     by_value
      - .offset:         24
        .size:           4
        .value_kind:     by_value
      - .actual_access:  read_only
        .address_space:  global
        .offset:         32
        .size:           8
        .value_kind:     global_buffer
      - .actual_access:  read_only
        .address_space:  global
        .offset:         40
        .size:           8
        .value_kind:     global_buffer
      - .actual_access:  read_only
        .address_space:  global
        .offset:         48
        .size:           8
        .value_kind:     global_buffer
      - .offset:         56
        .size:           4
        .value_kind:     by_value
      - .actual_access:  write_only
        .address_space:  global
        .offset:         64
        .size:           8
        .value_kind:     global_buffer
      - .actual_access:  read_only
        .address_space:  global
        .offset:         72
        .size:           8
        .value_kind:     global_buffer
      - .actual_access:  write_only
        .address_space:  global
        .offset:         80
        .size:           8
        .value_kind:     global_buffer
    .group_segment_fixed_size: 8200
    .kernarg_segment_align: 8
    .kernarg_segment_size: 88
    .language:       OpenCL C
    .language_version:
      - 2
      - 0
    .max_flat_workgroup_size: 256
    .name:           _ZN9rocsparseL42csr2bsr_wavefront_per_row_multipass_kernelILj256ELj32ELj8E21rocsparse_complex_numIdEiiEEv20rocsparse_direction_T4_S4_S4_S4_S4_21rocsparse_index_base_PKT2_PKT3_PKS4_S5_PS6_PS9_PS4_
    .private_segment_fixed_size: 0
    .sgpr_count:     24
    .sgpr_spill_count: 0
    .symbol:         _ZN9rocsparseL42csr2bsr_wavefront_per_row_multipass_kernelILj256ELj32ELj8E21rocsparse_complex_numIdEiiEEv20rocsparse_direction_T4_S4_S4_S4_S4_21rocsparse_index_base_PKT2_PKT3_PKS4_S5_PS6_PS9_PS4_.kd
    .uniform_work_group_size: 1
    .uses_dynamic_stack: false
    .vgpr_count:     42
    .vgpr_spill_count: 0
    .wavefront_size: 32
    .workgroup_processor_mode: 1
  - .args:
      - .offset:         0
        .size:           4
        .value_kind:     by_value
      - .offset:         4
        .size:           4
        .value_kind:     by_value
      - .offset:         8
        .size:           4
        .value_kind:     by_value
      - .offset:         12
        .size:           4
        .value_kind:     by_value
      - .offset:         16
        .size:           4
        .value_kind:     by_value
      - .offset:         20
        .size:           4
        .value_kind:     by_value
      - .offset:         24
        .size:           4
        .value_kind:     by_value
      - .actual_access:  read_only
        .address_space:  global
        .offset:         32
        .size:           8
        .value_kind:     global_buffer
      - .actual_access:  read_only
        .address_space:  global
        .offset:         40
        .size:           8
        .value_kind:     global_buffer
      - .actual_access:  read_only
        .address_space:  global
        .offset:         48
        .size:           8
        .value_kind:     global_buffer
      - .offset:         56
        .size:           4
        .value_kind:     by_value
      - .actual_access:  write_only
        .address_space:  global
        .offset:         64
        .size:           8
        .value_kind:     global_buffer
      - .actual_access:  read_only
        .address_space:  global
        .offset:         72
        .size:           8
        .value_kind:     global_buffer
      - .actual_access:  write_only
        .address_space:  global
        .offset:         80
        .size:           8
        .value_kind:     global_buffer
    .group_segment_fixed_size: 16392
    .kernarg_segment_align: 8
    .kernarg_segment_size: 88
    .language:       OpenCL C
    .language_version:
      - 2
      - 0
    .max_flat_workgroup_size: 256
    .name:           _ZN9rocsparseL42csr2bsr_wavefront_per_row_multipass_kernelILj256ELj64ELj16E21rocsparse_complex_numIdEiiEEv20rocsparse_direction_T4_S4_S4_S4_S4_21rocsparse_index_base_PKT2_PKT3_PKS4_S5_PS6_PS9_PS4_
    .private_segment_fixed_size: 0
    .sgpr_count:     26
    .sgpr_spill_count: 0
    .symbol:         _ZN9rocsparseL42csr2bsr_wavefront_per_row_multipass_kernelILj256ELj64ELj16E21rocsparse_complex_numIdEiiEEv20rocsparse_direction_T4_S4_S4_S4_S4_21rocsparse_index_base_PKT2_PKT3_PKS4_S5_PS6_PS9_PS4_.kd
    .uniform_work_group_size: 1
    .uses_dynamic_stack: false
    .vgpr_count:     48
    .vgpr_spill_count: 0
    .wavefront_size: 32
    .workgroup_processor_mode: 1
  - .args:
      - .offset:         0
        .size:           4
        .value_kind:     by_value
      - .offset:         4
        .size:           4
        .value_kind:     by_value
      - .offset:         8
        .size:           4
        .value_kind:     by_value
      - .offset:         12
        .size:           4
        .value_kind:     by_value
      - .offset:         16
        .size:           4
        .value_kind:     by_value
      - .offset:         20
        .size:           4
        .value_kind:     by_value
      - .offset:         24
        .size:           4
        .value_kind:     by_value
      - .actual_access:  read_only
        .address_space:  global
        .offset:         32
        .size:           8
        .value_kind:     global_buffer
      - .actual_access:  read_only
        .address_space:  global
        .offset:         40
        .size:           8
        .value_kind:     global_buffer
      - .actual_access:  read_only
        .address_space:  global
        .offset:         48
        .size:           8
        .value_kind:     global_buffer
      - .offset:         56
        .size:           4
        .value_kind:     by_value
      - .actual_access:  write_only
        .address_space:  global
        .offset:         64
        .size:           8
        .value_kind:     global_buffer
      - .actual_access:  read_only
        .address_space:  global
        .offset:         72
        .size:           8
        .value_kind:     global_buffer
      - .actual_access:  write_only
        .address_space:  global
        .offset:         80
        .size:           8
        .value_kind:     global_buffer
    .group_segment_fixed_size: 32776
    .kernarg_segment_align: 8
    .kernarg_segment_size: 88
    .language:       OpenCL C
    .language_version:
      - 2
      - 0
    .max_flat_workgroup_size: 256
    .name:           _ZN9rocsparseL42csr2bsr_wavefront_per_row_multipass_kernelILj256ELj32ELj16E21rocsparse_complex_numIdEiiEEv20rocsparse_direction_T4_S4_S4_S4_S4_21rocsparse_index_base_PKT2_PKT3_PKS4_S5_PS6_PS9_PS4_
    .private_segment_fixed_size: 0
    .sgpr_count:     30
    .sgpr_spill_count: 0
    .symbol:         _ZN9rocsparseL42csr2bsr_wavefront_per_row_multipass_kernelILj256ELj32ELj16E21rocsparse_complex_numIdEiiEEv20rocsparse_direction_T4_S4_S4_S4_S4_21rocsparse_index_base_PKT2_PKT3_PKS4_S5_PS6_PS9_PS4_.kd
    .uniform_work_group_size: 1
    .uses_dynamic_stack: false
    .vgpr_count:     60
    .vgpr_spill_count: 0
    .wavefront_size: 32
    .workgroup_processor_mode: 1
  - .args:
      - .offset:         0
        .size:           4
        .value_kind:     by_value
      - .offset:         4
        .size:           4
        .value_kind:     by_value
      - .offset:         8
        .size:           4
        .value_kind:     by_value
      - .offset:         12
        .size:           4
        .value_kind:     by_value
      - .offset:         16
        .size:           4
        .value_kind:     by_value
      - .offset:         20
        .size:           4
        .value_kind:     by_value
      - .offset:         24
        .size:           4
        .value_kind:     by_value
      - .actual_access:  read_only
        .address_space:  global
        .offset:         32
        .size:           8
        .value_kind:     global_buffer
      - .actual_access:  read_only
        .address_space:  global
        .offset:         40
        .size:           8
        .value_kind:     global_buffer
      - .actual_access:  read_only
        .address_space:  global
        .offset:         48
        .size:           8
        .value_kind:     global_buffer
      - .offset:         56
        .size:           4
        .value_kind:     by_value
      - .actual_access:  write_only
        .address_space:  global
        .offset:         64
        .size:           8
        .value_kind:     global_buffer
      - .actual_access:  read_only
        .address_space:  global
        .offset:         72
        .size:           8
        .value_kind:     global_buffer
      - .actual_access:  write_only
        .address_space:  global
        .offset:         80
        .size:           8
        .value_kind:     global_buffer
    .group_segment_fixed_size: 16392
    .kernarg_segment_align: 8
    .kernarg_segment_size: 88
    .language:       OpenCL C
    .language_version:
      - 2
      - 0
    .max_flat_workgroup_size: 256
    .name:           _ZN9rocsparseL38csr2bsr_block_per_row_multipass_kernelILj256ELj32E21rocsparse_complex_numIdEiiEEv20rocsparse_direction_T3_S4_S4_S4_S4_21rocsparse_index_base_PKT1_PKT2_PKS4_S5_PS6_PS9_PS4_
    .private_segment_fixed_size: 0
    .sgpr_count:     38
    .sgpr_spill_count: 0
    .symbol:         _ZN9rocsparseL38csr2bsr_block_per_row_multipass_kernelILj256ELj32E21rocsparse_complex_numIdEiiEEv20rocsparse_direction_T3_S4_S4_S4_S4_21rocsparse_index_base_PKT1_PKT2_PKS4_S5_PS6_PS9_PS4_.kd
    .uniform_work_group_size: 1
    .uses_dynamic_stack: false
    .vgpr_count:     45
    .vgpr_spill_count: 0
    .wavefront_size: 32
    .workgroup_processor_mode: 1
  - .args:
      - .offset:         0
        .size:           4
        .value_kind:     by_value
      - .offset:         4
        .size:           4
        .value_kind:     by_value
      - .offset:         8
        .size:           4
        .value_kind:     by_value
      - .offset:         12
        .size:           4
        .value_kind:     by_value
      - .offset:         16
        .size:           4
        .value_kind:     by_value
      - .offset:         20
        .size:           4
        .value_kind:     by_value
      - .offset:         24
        .size:           4
        .value_kind:     by_value
      - .offset:         28
        .size:           4
        .value_kind:     by_value
      - .actual_access:  read_only
        .address_space:  global
        .offset:         32
        .size:           8
        .value_kind:     global_buffer
      - .actual_access:  read_only
        .address_space:  global
        .offset:         40
        .size:           8
        .value_kind:     global_buffer
      - .actual_access:  read_only
        .address_space:  global
        .offset:         48
        .size:           8
        .value_kind:     global_buffer
      - .offset:         56
        .size:           4
        .value_kind:     by_value
      - .actual_access:  write_only
        .address_space:  global
        .offset:         64
        .size:           8
        .value_kind:     global_buffer
      - .actual_access:  read_only
        .address_space:  global
        .offset:         72
        .size:           8
        .value_kind:     global_buffer
      - .actual_access:  write_only
        .address_space:  global
        .offset:         80
        .size:           8
        .value_kind:     global_buffer
      - .address_space:  global
        .offset:         88
        .size:           8
        .value_kind:     global_buffer
      - .address_space:  global
        .offset:         96
        .size:           8
        .value_kind:     global_buffer
      - .address_space:  global
        .offset:         104
        .size:           8
        .value_kind:     global_buffer
    .group_segment_fixed_size: 0
    .kernarg_segment_align: 8
    .kernarg_segment_size: 112
    .language:       OpenCL C
    .language_version:
      - 2
      - 0
    .max_flat_workgroup_size: 32
    .name:           _ZN9rocsparseL21csr2bsr_65_inf_kernelILj32E21rocsparse_complex_numIdEiiEEv20rocsparse_direction_T2_S4_S4_S4_S4_S4_21rocsparse_index_base_PKT0_PKT1_PKS4_S5_PS6_PS9_PS4_SF_SG_SE_
    .private_segment_fixed_size: 0
    .sgpr_count:     36
    .sgpr_spill_count: 0
    .symbol:         _ZN9rocsparseL21csr2bsr_65_inf_kernelILj32E21rocsparse_complex_numIdEiiEEv20rocsparse_direction_T2_S4_S4_S4_S4_S4_21rocsparse_index_base_PKT0_PKT1_PKS4_S5_PS6_PS9_PS4_SF_SG_SE_.kd
    .uniform_work_group_size: 1
    .uses_dynamic_stack: false
    .vgpr_count:     40
    .vgpr_spill_count: 0
    .wavefront_size: 32
    .workgroup_processor_mode: 1
  - .args:
      - .offset:         0
        .size:           4
        .value_kind:     by_value
      - .offset:         4
        .size:           4
        .value_kind:     by_value
      - .offset:         8
        .size:           4
        .value_kind:     by_value
      - .offset:         12
        .size:           4
        .value_kind:     by_value
      - .offset:         16
        .size:           4
        .value_kind:     by_value
      - .address_space:  global
        .offset:         24
        .size:           8
        .value_kind:     global_buffer
      - .address_space:  global
        .offset:         32
        .size:           8
        .value_kind:     global_buffer
      - .address_space:  global
        .offset:         40
        .size:           8
        .value_kind:     global_buffer
      - .offset:         48
        .size:           4
        .value_kind:     by_value
      - .address_space:  global
        .offset:         56
        .size:           8
        .value_kind:     global_buffer
      - .address_space:  global
        .offset:         64
        .size:           8
        .value_kind:     global_buffer
      - .address_space:  global
        .offset:         72
        .size:           8
        .value_kind:     global_buffer
      - .offset:         80
        .size:           4
        .value_kind:     hidden_block_count_x
      - .offset:         84
        .size:           4
        .value_kind:     hidden_block_count_y
      - .offset:         88
        .size:           4
        .value_kind:     hidden_block_count_z
      - .offset:         92
        .size:           2
        .value_kind:     hidden_group_size_x
      - .offset:         94
        .size:           2
        .value_kind:     hidden_group_size_y
      - .offset:         96
        .size:           2
        .value_kind:     hidden_group_size_z
      - .offset:         98
        .size:           2
        .value_kind:     hidden_remainder_x
      - .offset:         100
        .size:           2
        .value_kind:     hidden_remainder_y
      - .offset:         102
        .size:           2
        .value_kind:     hidden_remainder_z
      - .offset:         120
        .size:           8
        .value_kind:     hidden_global_offset_x
      - .offset:         128
        .size:           8
        .value_kind:     hidden_global_offset_y
      - .offset:         136
        .size:           8
        .value_kind:     hidden_global_offset_z
      - .offset:         144
        .size:           2
        .value_kind:     hidden_grid_dims
    .group_segment_fixed_size: 0
    .kernarg_segment_align: 8
    .kernarg_segment_size: 336
    .language:       OpenCL C
    .language_version:
      - 2
      - 0
    .max_flat_workgroup_size: 256
    .name:           _ZN9rocsparseL35csr2bsr_block_dim_equals_one_kernelILj256E21rocsparse_complex_numIdEliEEvT2_S3_S3_S3_21rocsparse_index_base_PKT0_PKT1_PKS3_S4_PS5_PS8_PS3_
    .private_segment_fixed_size: 0
    .sgpr_count:     20
    .sgpr_spill_count: 0
    .symbol:         _ZN9rocsparseL35csr2bsr_block_dim_equals_one_kernelILj256E21rocsparse_complex_numIdEliEEvT2_S3_S3_S3_21rocsparse_index_base_PKT0_PKT1_PKS3_S4_PS5_PS8_PS3_.kd
    .uniform_work_group_size: 1
    .uses_dynamic_stack: false
    .vgpr_count:     12
    .vgpr_spill_count: 0
    .wavefront_size: 32
    .workgroup_processor_mode: 1
  - .args:
      - .offset:         0
        .size:           4
        .value_kind:     by_value
      - .offset:         4
        .size:           4
        .value_kind:     by_value
      - .offset:         8
        .size:           4
        .value_kind:     by_value
      - .offset:         12
        .size:           4
        .value_kind:     by_value
      - .offset:         16
        .size:           4
        .value_kind:     by_value
      - .offset:         20
        .size:           4
        .value_kind:     by_value
      - .offset:         24
        .size:           4
        .value_kind:     by_value
      - .actual_access:  read_only
        .address_space:  global
        .offset:         32
        .size:           8
        .value_kind:     global_buffer
      - .actual_access:  read_only
        .address_space:  global
        .offset:         40
        .size:           8
        .value_kind:     global_buffer
      - .actual_access:  read_only
        .address_space:  global
        .offset:         48
        .size:           8
        .value_kind:     global_buffer
      - .offset:         56
        .size:           4
        .value_kind:     by_value
      - .actual_access:  write_only
        .address_space:  global
        .offset:         64
        .size:           8
        .value_kind:     global_buffer
      - .actual_access:  read_only
        .address_space:  global
        .offset:         72
        .size:           8
        .value_kind:     global_buffer
      - .actual_access:  write_only
        .address_space:  global
        .offset:         80
        .size:           8
        .value_kind:     global_buffer
    .group_segment_fixed_size: 4112
    .kernarg_segment_align: 8
    .kernarg_segment_size: 88
    .language:       OpenCL C
    .language_version:
      - 2
      - 0
    .max_flat_workgroup_size: 256
    .name:           _ZN9rocsparseL42csr2bsr_wavefront_per_row_multipass_kernelILj256ELj16ELj4E21rocsparse_complex_numIdEliEEv20rocsparse_direction_T4_S4_S4_S4_S4_21rocsparse_index_base_PKT2_PKT3_PKS4_S5_PS6_PS9_PS4_
    .private_segment_fixed_size: 0
    .sgpr_count:     22
    .sgpr_spill_count: 0
    .symbol:         _ZN9rocsparseL42csr2bsr_wavefront_per_row_multipass_kernelILj256ELj16ELj4E21rocsparse_complex_numIdEliEEv20rocsparse_direction_T4_S4_S4_S4_S4_21rocsparse_index_base_PKT2_PKT3_PKS4_S5_PS6_PS9_PS4_.kd
    .uniform_work_group_size: 1
    .uses_dynamic_stack: false
    .vgpr_count:     41
    .vgpr_spill_count: 0
    .wavefront_size: 32
    .workgroup_processor_mode: 1
  - .args:
      - .offset:         0
        .size:           4
        .value_kind:     by_value
      - .offset:         4
        .size:           4
        .value_kind:     by_value
      - .offset:         8
        .size:           4
        .value_kind:     by_value
      - .offset:         12
        .size:           4
        .value_kind:     by_value
      - .offset:         16
        .size:           4
        .value_kind:     by_value
      - .offset:         20
        .size:           4
        .value_kind:     by_value
      - .offset:         24
        .size:           4
        .value_kind:     by_value
      - .actual_access:  read_only
        .address_space:  global
        .offset:         32
        .size:           8
        .value_kind:     global_buffer
      - .actual_access:  read_only
        .address_space:  global
        .offset:         40
        .size:           8
        .value_kind:     global_buffer
      - .actual_access:  read_only
        .address_space:  global
        .offset:         48
        .size:           8
        .value_kind:     global_buffer
      - .offset:         56
        .size:           4
        .value_kind:     by_value
      - .actual_access:  write_only
        .address_space:  global
        .offset:         64
        .size:           8
        .value_kind:     global_buffer
      - .actual_access:  read_only
        .address_space:  global
        .offset:         72
        .size:           8
        .value_kind:     global_buffer
      - .actual_access:  write_only
        .address_space:  global
        .offset:         80
        .size:           8
        .value_kind:     global_buffer
    .group_segment_fixed_size: 4104
    .kernarg_segment_align: 8
    .kernarg_segment_size: 88
    .language:       OpenCL C
    .language_version:
      - 2
      - 0
    .max_flat_workgroup_size: 256
    .name:           _ZN9rocsparseL42csr2bsr_wavefront_per_row_multipass_kernelILj256ELj64ELj8E21rocsparse_complex_numIdEliEEv20rocsparse_direction_T4_S4_S4_S4_S4_21rocsparse_index_base_PKT2_PKT3_PKS4_S5_PS6_PS9_PS4_
    .private_segment_fixed_size: 0
    .sgpr_count:     22
    .sgpr_spill_count: 0
    .symbol:         _ZN9rocsparseL42csr2bsr_wavefront_per_row_multipass_kernelILj256ELj64ELj8E21rocsparse_complex_numIdEliEEv20rocsparse_direction_T4_S4_S4_S4_S4_21rocsparse_index_base_PKT2_PKT3_PKS4_S5_PS6_PS9_PS4_.kd
    .uniform_work_group_size: 1
    .uses_dynamic_stack: false
    .vgpr_count:     43
    .vgpr_spill_count: 0
    .wavefront_size: 32
    .workgroup_processor_mode: 1
  - .args:
      - .offset:         0
        .size:           4
        .value_kind:     by_value
      - .offset:         4
        .size:           4
        .value_kind:     by_value
      - .offset:         8
        .size:           4
        .value_kind:     by_value
      - .offset:         12
        .size:           4
        .value_kind:     by_value
      - .offset:         16
        .size:           4
        .value_kind:     by_value
      - .offset:         20
        .size:           4
        .value_kind:     by_value
      - .offset:         24
        .size:           4
        .value_kind:     by_value
      - .actual_access:  read_only
        .address_space:  global
        .offset:         32
        .size:           8
        .value_kind:     global_buffer
      - .actual_access:  read_only
        .address_space:  global
        .offset:         40
        .size:           8
        .value_kind:     global_buffer
      - .actual_access:  read_only
        .address_space:  global
        .offset:         48
        .size:           8
        .value_kind:     global_buffer
      - .offset:         56
        .size:           4
        .value_kind:     by_value
      - .actual_access:  write_only
        .address_space:  global
        .offset:         64
        .size:           8
        .value_kind:     global_buffer
      - .actual_access:  read_only
        .address_space:  global
        .offset:         72
        .size:           8
        .value_kind:     global_buffer
      - .actual_access:  write_only
        .address_space:  global
        .offset:         80
        .size:           8
        .value_kind:     global_buffer
    .group_segment_fixed_size: 8200
    .kernarg_segment_align: 8
    .kernarg_segment_size: 88
    .language:       OpenCL C
    .language_version:
      - 2
      - 0
    .max_flat_workgroup_size: 256
    .name:           _ZN9rocsparseL42csr2bsr_wavefront_per_row_multipass_kernelILj256ELj32ELj8E21rocsparse_complex_numIdEliEEv20rocsparse_direction_T4_S4_S4_S4_S4_21rocsparse_index_base_PKT2_PKT3_PKS4_S5_PS6_PS9_PS4_
    .private_segment_fixed_size: 0
    .sgpr_count:     24
    .sgpr_spill_count: 0
    .symbol:         _ZN9rocsparseL42csr2bsr_wavefront_per_row_multipass_kernelILj256ELj32ELj8E21rocsparse_complex_numIdEliEEv20rocsparse_direction_T4_S4_S4_S4_S4_21rocsparse_index_base_PKT2_PKT3_PKS4_S5_PS6_PS9_PS4_.kd
    .uniform_work_group_size: 1
    .uses_dynamic_stack: false
    .vgpr_count:     50
    .vgpr_spill_count: 0
    .wavefront_size: 32
    .workgroup_processor_mode: 1
  - .args:
      - .offset:         0
        .size:           4
        .value_kind:     by_value
      - .offset:         4
        .size:           4
        .value_kind:     by_value
      - .offset:         8
        .size:           4
        .value_kind:     by_value
      - .offset:         12
        .size:           4
        .value_kind:     by_value
      - .offset:         16
        .size:           4
        .value_kind:     by_value
      - .offset:         20
        .size:           4
        .value_kind:     by_value
      - .offset:         24
        .size:           4
        .value_kind:     by_value
      - .actual_access:  read_only
        .address_space:  global
        .offset:         32
        .size:           8
        .value_kind:     global_buffer
      - .actual_access:  read_only
        .address_space:  global
        .offset:         40
        .size:           8
        .value_kind:     global_buffer
      - .actual_access:  read_only
        .address_space:  global
        .offset:         48
        .size:           8
        .value_kind:     global_buffer
      - .offset:         56
        .size:           4
        .value_kind:     by_value
      - .actual_access:  write_only
        .address_space:  global
        .offset:         64
        .size:           8
        .value_kind:     global_buffer
      - .actual_access:  read_only
        .address_space:  global
        .offset:         72
        .size:           8
        .value_kind:     global_buffer
      - .actual_access:  write_only
        .address_space:  global
        .offset:         80
        .size:           8
        .value_kind:     global_buffer
    .group_segment_fixed_size: 16392
    .kernarg_segment_align: 8
    .kernarg_segment_size: 88
    .language:       OpenCL C
    .language_version:
      - 2
      - 0
    .max_flat_workgroup_size: 256
    .name:           _ZN9rocsparseL42csr2bsr_wavefront_per_row_multipass_kernelILj256ELj64ELj16E21rocsparse_complex_numIdEliEEv20rocsparse_direction_T4_S4_S4_S4_S4_21rocsparse_index_base_PKT2_PKT3_PKS4_S5_PS6_PS9_PS4_
    .private_segment_fixed_size: 0
    .sgpr_count:     26
    .sgpr_spill_count: 0
    .symbol:         _ZN9rocsparseL42csr2bsr_wavefront_per_row_multipass_kernelILj256ELj64ELj16E21rocsparse_complex_numIdEliEEv20rocsparse_direction_T4_S4_S4_S4_S4_21rocsparse_index_base_PKT2_PKT3_PKS4_S5_PS6_PS9_PS4_.kd
    .uniform_work_group_size: 1
    .uses_dynamic_stack: false
    .vgpr_count:     57
    .vgpr_spill_count: 0
    .wavefront_size: 32
    .workgroup_processor_mode: 1
  - .args:
      - .offset:         0
        .size:           4
        .value_kind:     by_value
      - .offset:         4
        .size:           4
        .value_kind:     by_value
      - .offset:         8
        .size:           4
        .value_kind:     by_value
      - .offset:         12
        .size:           4
        .value_kind:     by_value
      - .offset:         16
        .size:           4
        .value_kind:     by_value
      - .offset:         20
        .size:           4
        .value_kind:     by_value
      - .offset:         24
        .size:           4
        .value_kind:     by_value
      - .actual_access:  read_only
        .address_space:  global
        .offset:         32
        .size:           8
        .value_kind:     global_buffer
      - .actual_access:  read_only
        .address_space:  global
        .offset:         40
        .size:           8
        .value_kind:     global_buffer
      - .actual_access:  read_only
        .address_space:  global
        .offset:         48
        .size:           8
        .value_kind:     global_buffer
      - .offset:         56
        .size:           4
        .value_kind:     by_value
      - .actual_access:  write_only
        .address_space:  global
        .offset:         64
        .size:           8
        .value_kind:     global_buffer
      - .actual_access:  read_only
        .address_space:  global
        .offset:         72
        .size:           8
        .value_kind:     global_buffer
      - .actual_access:  write_only
        .address_space:  global
        .offset:         80
        .size:           8
        .value_kind:     global_buffer
    .group_segment_fixed_size: 32776
    .kernarg_segment_align: 8
    .kernarg_segment_size: 88
    .language:       OpenCL C
    .language_version:
      - 2
      - 0
    .max_flat_workgroup_size: 256
    .name:           _ZN9rocsparseL42csr2bsr_wavefront_per_row_multipass_kernelILj256ELj32ELj16E21rocsparse_complex_numIdEliEEv20rocsparse_direction_T4_S4_S4_S4_S4_21rocsparse_index_base_PKT2_PKT3_PKS4_S5_PS6_PS9_PS4_
    .private_segment_fixed_size: 0
    .sgpr_count:     30
    .sgpr_spill_count: 0
    .symbol:         _ZN9rocsparseL42csr2bsr_wavefront_per_row_multipass_kernelILj256ELj32ELj16E21rocsparse_complex_numIdEliEEv20rocsparse_direction_T4_S4_S4_S4_S4_21rocsparse_index_base_PKT2_PKT3_PKS4_S5_PS6_PS9_PS4_.kd
    .uniform_work_group_size: 1
    .uses_dynamic_stack: false
    .vgpr_count:     69
    .vgpr_spill_count: 0
    .wavefront_size: 32
    .workgroup_processor_mode: 1
  - .args:
      - .offset:         0
        .size:           4
        .value_kind:     by_value
      - .offset:         4
        .size:           4
        .value_kind:     by_value
      - .offset:         8
        .size:           4
        .value_kind:     by_value
      - .offset:         12
        .size:           4
        .value_kind:     by_value
      - .offset:         16
        .size:           4
        .value_kind:     by_value
      - .offset:         20
        .size:           4
        .value_kind:     by_value
      - .offset:         24
        .size:           4
        .value_kind:     by_value
      - .actual_access:  read_only
        .address_space:  global
        .offset:         32
        .size:           8
        .value_kind:     global_buffer
      - .actual_access:  read_only
        .address_space:  global
        .offset:         40
        .size:           8
        .value_kind:     global_buffer
      - .actual_access:  read_only
        .address_space:  global
        .offset:         48
        .size:           8
        .value_kind:     global_buffer
      - .offset:         56
        .size:           4
        .value_kind:     by_value
      - .actual_access:  write_only
        .address_space:  global
        .offset:         64
        .size:           8
        .value_kind:     global_buffer
      - .actual_access:  read_only
        .address_space:  global
        .offset:         72
        .size:           8
        .value_kind:     global_buffer
      - .actual_access:  write_only
        .address_space:  global
        .offset:         80
        .size:           8
        .value_kind:     global_buffer
    .group_segment_fixed_size: 16392
    .kernarg_segment_align: 8
    .kernarg_segment_size: 88
    .language:       OpenCL C
    .language_version:
      - 2
      - 0
    .max_flat_workgroup_size: 256
    .name:           _ZN9rocsparseL38csr2bsr_block_per_row_multipass_kernelILj256ELj32E21rocsparse_complex_numIdEliEEv20rocsparse_direction_T3_S4_S4_S4_S4_21rocsparse_index_base_PKT1_PKT2_PKS4_S5_PS6_PS9_PS4_
    .private_segment_fixed_size: 0
    .sgpr_count:     38
    .sgpr_spill_count: 0
    .symbol:         _ZN9rocsparseL38csr2bsr_block_per_row_multipass_kernelILj256ELj32E21rocsparse_complex_numIdEliEEv20rocsparse_direction_T3_S4_S4_S4_S4_21rocsparse_index_base_PKT1_PKT2_PKS4_S5_PS6_PS9_PS4_.kd
    .uniform_work_group_size: 1
    .uses_dynamic_stack: false
    .vgpr_count:     51
    .vgpr_spill_count: 0
    .wavefront_size: 32
    .workgroup_processor_mode: 1
  - .args:
      - .offset:         0
        .size:           4
        .value_kind:     by_value
      - .offset:         4
        .size:           4
        .value_kind:     by_value
      - .offset:         8
        .size:           4
        .value_kind:     by_value
      - .offset:         12
        .size:           4
        .value_kind:     by_value
      - .offset:         16
        .size:           4
        .value_kind:     by_value
      - .offset:         20
        .size:           4
        .value_kind:     by_value
      - .offset:         24
        .size:           4
        .value_kind:     by_value
      - .offset:         28
        .size:           4
        .value_kind:     by_value
      - .actual_access:  read_only
        .address_space:  global
        .offset:         32
        .size:           8
        .value_kind:     global_buffer
      - .actual_access:  read_only
        .address_space:  global
        .offset:         40
        .size:           8
        .value_kind:     global_buffer
      - .actual_access:  read_only
        .address_space:  global
        .offset:         48
        .size:           8
        .value_kind:     global_buffer
      - .offset:         56
        .size:           4
        .value_kind:     by_value
      - .actual_access:  write_only
        .address_space:  global
        .offset:         64
        .size:           8
        .value_kind:     global_buffer
      - .actual_access:  read_only
        .address_space:  global
        .offset:         72
        .size:           8
        .value_kind:     global_buffer
      - .actual_access:  write_only
        .address_space:  global
        .offset:         80
        .size:           8
        .value_kind:     global_buffer
      - .address_space:  global
        .offset:         88
        .size:           8
        .value_kind:     global_buffer
      - .address_space:  global
        .offset:         96
        .size:           8
        .value_kind:     global_buffer
      - .address_space:  global
        .offset:         104
        .size:           8
        .value_kind:     global_buffer
    .group_segment_fixed_size: 0
    .kernarg_segment_align: 8
    .kernarg_segment_size: 112
    .language:       OpenCL C
    .language_version:
      - 2
      - 0
    .max_flat_workgroup_size: 32
    .name:           _ZN9rocsparseL21csr2bsr_65_inf_kernelILj32E21rocsparse_complex_numIdEliEEv20rocsparse_direction_T2_S4_S4_S4_S4_S4_21rocsparse_index_base_PKT0_PKT1_PKS4_S5_PS6_PS9_PS4_SF_SG_SE_
    .private_segment_fixed_size: 0
    .sgpr_count:     36
    .sgpr_spill_count: 0
    .symbol:         _ZN9rocsparseL21csr2bsr_65_inf_kernelILj32E21rocsparse_complex_numIdEliEEv20rocsparse_direction_T2_S4_S4_S4_S4_S4_21rocsparse_index_base_PKT0_PKT1_PKS4_S5_PS6_PS9_PS4_SF_SG_SE_.kd
    .uniform_work_group_size: 1
    .uses_dynamic_stack: false
    .vgpr_count:     44
    .vgpr_spill_count: 0
    .wavefront_size: 32
    .workgroup_processor_mode: 1
  - .args:
      - .offset:         0
        .size:           8
        .value_kind:     by_value
      - .offset:         8
        .size:           8
        .value_kind:     by_value
      - .offset:         16
        .size:           8
        .value_kind:     by_value
      - .offset:         24
        .size:           8
        .value_kind:     by_value
      - .offset:         32
        .size:           4
        .value_kind:     by_value
      - .address_space:  global
        .offset:         40
        .size:           8
        .value_kind:     global_buffer
      - .address_space:  global
        .offset:         48
        .size:           8
        .value_kind:     global_buffer
      - .address_space:  global
        .offset:         56
        .size:           8
        .value_kind:     global_buffer
      - .offset:         64
        .size:           4
        .value_kind:     by_value
      - .address_space:  global
        .offset:         72
        .size:           8
        .value_kind:     global_buffer
      - .address_space:  global
        .offset:         80
        .size:           8
        .value_kind:     global_buffer
      - .address_space:  global
        .offset:         88
        .size:           8
        .value_kind:     global_buffer
      - .offset:         96
        .size:           4
        .value_kind:     hidden_block_count_x
      - .offset:         100
        .size:           4
        .value_kind:     hidden_block_count_y
      - .offset:         104
        .size:           4
        .value_kind:     hidden_block_count_z
      - .offset:         108
        .size:           2
        .value_kind:     hidden_group_size_x
      - .offset:         110
        .size:           2
        .value_kind:     hidden_group_size_y
      - .offset:         112
        .size:           2
        .value_kind:     hidden_group_size_z
      - .offset:         114
        .size:           2
        .value_kind:     hidden_remainder_x
      - .offset:         116
        .size:           2
        .value_kind:     hidden_remainder_y
      - .offset:         118
        .size:           2
        .value_kind:     hidden_remainder_z
      - .offset:         136
        .size:           8
        .value_kind:     hidden_global_offset_x
      - .offset:         144
        .size:           8
        .value_kind:     hidden_global_offset_y
      - .offset:         152
        .size:           8
        .value_kind:     hidden_global_offset_z
      - .offset:         160
        .size:           2
        .value_kind:     hidden_grid_dims
    .group_segment_fixed_size: 0
    .kernarg_segment_align: 8
    .kernarg_segment_size: 352
    .language:       OpenCL C
    .language_version:
      - 2
      - 0
    .max_flat_workgroup_size: 256
    .name:           _ZN9rocsparseL35csr2bsr_block_dim_equals_one_kernelILj256E21rocsparse_complex_numIdEilEEvT2_S3_S3_S3_21rocsparse_index_base_PKT0_PKT1_PKS3_S4_PS5_PS8_PS3_
    .private_segment_fixed_size: 0
    .sgpr_count:     18
    .sgpr_spill_count: 0
    .symbol:         _ZN9rocsparseL35csr2bsr_block_dim_equals_one_kernelILj256E21rocsparse_complex_numIdEilEEvT2_S3_S3_S3_21rocsparse_index_base_PKT0_PKT1_PKS3_S4_PS5_PS8_PS3_.kd
    .uniform_work_group_size: 1
    .uses_dynamic_stack: false
    .vgpr_count:     10
    .vgpr_spill_count: 0
    .wavefront_size: 32
    .workgroup_processor_mode: 1
  - .args:
      - .offset:         0
        .size:           4
        .value_kind:     by_value
      - .offset:         8
        .size:           8
        .value_kind:     by_value
      - .offset:         16
        .size:           8
        .value_kind:     by_value
      - .offset:         24
        .size:           8
        .value_kind:     by_value
      - .offset:         32
        .size:           8
        .value_kind:     by_value
      - .offset:         40
        .size:           8
        .value_kind:     by_value
      - .offset:         48
        .size:           4
        .value_kind:     by_value
      - .actual_access:  read_only
        .address_space:  global
        .offset:         56
        .size:           8
        .value_kind:     global_buffer
      - .actual_access:  read_only
        .address_space:  global
        .offset:         64
        .size:           8
        .value_kind:     global_buffer
      - .actual_access:  read_only
        .address_space:  global
        .offset:         72
        .size:           8
        .value_kind:     global_buffer
      - .offset:         80
        .size:           4
        .value_kind:     by_value
      - .actual_access:  write_only
        .address_space:  global
        .offset:         88
        .size:           8
        .value_kind:     global_buffer
      - .actual_access:  read_only
        .address_space:  global
        .offset:         96
        .size:           8
        .value_kind:     global_buffer
      - .actual_access:  write_only
        .address_space:  global
        .offset:         104
        .size:           8
        .value_kind:     global_buffer
    .group_segment_fixed_size: 4112
    .kernarg_segment_align: 8
    .kernarg_segment_size: 112
    .language:       OpenCL C
    .language_version:
      - 2
      - 0
    .max_flat_workgroup_size: 256
    .name:           _ZN9rocsparseL42csr2bsr_wavefront_per_row_multipass_kernelILj256ELj16ELj4E21rocsparse_complex_numIdEilEEv20rocsparse_direction_T4_S4_S4_S4_S4_21rocsparse_index_base_PKT2_PKT3_PKS4_S5_PS6_PS9_PS4_
    .private_segment_fixed_size: 0
    .sgpr_count:     27
    .sgpr_spill_count: 0
    .symbol:         _ZN9rocsparseL42csr2bsr_wavefront_per_row_multipass_kernelILj256ELj16ELj4E21rocsparse_complex_numIdEilEEv20rocsparse_direction_T4_S4_S4_S4_S4_21rocsparse_index_base_PKT2_PKT3_PKS4_S5_PS6_PS9_PS4_.kd
    .uniform_work_group_size: 1
    .uses_dynamic_stack: false
    .vgpr_count:     42
    .vgpr_spill_count: 0
    .wavefront_size: 32
    .workgroup_processor_mode: 1
  - .args:
      - .offset:         0
        .size:           4
        .value_kind:     by_value
      - .offset:         8
        .size:           8
        .value_kind:     by_value
      - .offset:         16
        .size:           8
        .value_kind:     by_value
      - .offset:         24
        .size:           8
        .value_kind:     by_value
      - .offset:         32
        .size:           8
        .value_kind:     by_value
      - .offset:         40
        .size:           8
        .value_kind:     by_value
      - .offset:         48
        .size:           4
        .value_kind:     by_value
      - .actual_access:  read_only
        .address_space:  global
        .offset:         56
        .size:           8
        .value_kind:     global_buffer
      - .actual_access:  read_only
        .address_space:  global
        .offset:         64
        .size:           8
        .value_kind:     global_buffer
      - .actual_access:  read_only
        .address_space:  global
        .offset:         72
        .size:           8
        .value_kind:     global_buffer
      - .offset:         80
        .size:           4
        .value_kind:     by_value
      - .actual_access:  write_only
        .address_space:  global
        .offset:         88
        .size:           8
        .value_kind:     global_buffer
      - .actual_access:  read_only
        .address_space:  global
        .offset:         96
        .size:           8
        .value_kind:     global_buffer
      - .actual_access:  write_only
        .address_space:  global
        .offset:         104
        .size:           8
        .value_kind:     global_buffer
    .group_segment_fixed_size: 4104
    .kernarg_segment_align: 8
    .kernarg_segment_size: 112
    .language:       OpenCL C
    .language_version:
      - 2
      - 0
    .max_flat_workgroup_size: 256
    .name:           _ZN9rocsparseL42csr2bsr_wavefront_per_row_multipass_kernelILj256ELj64ELj8E21rocsparse_complex_numIdEilEEv20rocsparse_direction_T4_S4_S4_S4_S4_21rocsparse_index_base_PKT2_PKT3_PKS4_S5_PS6_PS9_PS4_
    .private_segment_fixed_size: 0
    .sgpr_count:     27
    .sgpr_spill_count: 0
    .symbol:         _ZN9rocsparseL42csr2bsr_wavefront_per_row_multipass_kernelILj256ELj64ELj8E21rocsparse_complex_numIdEilEEv20rocsparse_direction_T4_S4_S4_S4_S4_21rocsparse_index_base_PKT2_PKT3_PKS4_S5_PS6_PS9_PS4_.kd
    .uniform_work_group_size: 1
    .uses_dynamic_stack: false
    .vgpr_count:     44
    .vgpr_spill_count: 0
    .wavefront_size: 32
    .workgroup_processor_mode: 1
  - .args:
      - .offset:         0
        .size:           4
        .value_kind:     by_value
      - .offset:         8
        .size:           8
        .value_kind:     by_value
      - .offset:         16
        .size:           8
        .value_kind:     by_value
      - .offset:         24
        .size:           8
        .value_kind:     by_value
      - .offset:         32
        .size:           8
        .value_kind:     by_value
      - .offset:         40
        .size:           8
        .value_kind:     by_value
      - .offset:         48
        .size:           4
        .value_kind:     by_value
      - .actual_access:  read_only
        .address_space:  global
        .offset:         56
        .size:           8
        .value_kind:     global_buffer
      - .actual_access:  read_only
        .address_space:  global
        .offset:         64
        .size:           8
        .value_kind:     global_buffer
      - .actual_access:  read_only
        .address_space:  global
        .offset:         72
        .size:           8
        .value_kind:     global_buffer
      - .offset:         80
        .size:           4
        .value_kind:     by_value
      - .actual_access:  write_only
        .address_space:  global
        .offset:         88
        .size:           8
        .value_kind:     global_buffer
      - .actual_access:  read_only
        .address_space:  global
        .offset:         96
        .size:           8
        .value_kind:     global_buffer
      - .actual_access:  write_only
        .address_space:  global
        .offset:         104
        .size:           8
        .value_kind:     global_buffer
    .group_segment_fixed_size: 8200
    .kernarg_segment_align: 8
    .kernarg_segment_size: 112
    .language:       OpenCL C
    .language_version:
      - 2
      - 0
    .max_flat_workgroup_size: 256
    .name:           _ZN9rocsparseL42csr2bsr_wavefront_per_row_multipass_kernelILj256ELj32ELj8E21rocsparse_complex_numIdEilEEv20rocsparse_direction_T4_S4_S4_S4_S4_21rocsparse_index_base_PKT2_PKT3_PKS4_S5_PS6_PS9_PS4_
    .private_segment_fixed_size: 0
    .sgpr_count:     29
    .sgpr_spill_count: 0
    .symbol:         _ZN9rocsparseL42csr2bsr_wavefront_per_row_multipass_kernelILj256ELj32ELj8E21rocsparse_complex_numIdEilEEv20rocsparse_direction_T4_S4_S4_S4_S4_21rocsparse_index_base_PKT2_PKT3_PKS4_S5_PS6_PS9_PS4_.kd
    .uniform_work_group_size: 1
    .uses_dynamic_stack: false
    .vgpr_count:     50
    .vgpr_spill_count: 0
    .wavefront_size: 32
    .workgroup_processor_mode: 1
  - .args:
      - .offset:         0
        .size:           4
        .value_kind:     by_value
      - .offset:         8
        .size:           8
        .value_kind:     by_value
      - .offset:         16
        .size:           8
        .value_kind:     by_value
      - .offset:         24
        .size:           8
        .value_kind:     by_value
      - .offset:         32
        .size:           8
        .value_kind:     by_value
      - .offset:         40
        .size:           8
        .value_kind:     by_value
      - .offset:         48
        .size:           4
        .value_kind:     by_value
      - .actual_access:  read_only
        .address_space:  global
        .offset:         56
        .size:           8
        .value_kind:     global_buffer
      - .actual_access:  read_only
        .address_space:  global
        .offset:         64
        .size:           8
        .value_kind:     global_buffer
      - .actual_access:  read_only
        .address_space:  global
        .offset:         72
        .size:           8
        .value_kind:     global_buffer
      - .offset:         80
        .size:           4
        .value_kind:     by_value
      - .actual_access:  write_only
        .address_space:  global
        .offset:         88
        .size:           8
        .value_kind:     global_buffer
      - .actual_access:  read_only
        .address_space:  global
        .offset:         96
        .size:           8
        .value_kind:     global_buffer
      - .actual_access:  write_only
        .address_space:  global
        .offset:         104
        .size:           8
        .value_kind:     global_buffer
    .group_segment_fixed_size: 16392
    .kernarg_segment_align: 8
    .kernarg_segment_size: 112
    .language:       OpenCL C
    .language_version:
      - 2
      - 0
    .max_flat_workgroup_size: 256
    .name:           _ZN9rocsparseL42csr2bsr_wavefront_per_row_multipass_kernelILj256ELj64ELj16E21rocsparse_complex_numIdEilEEv20rocsparse_direction_T4_S4_S4_S4_S4_21rocsparse_index_base_PKT2_PKT3_PKS4_S5_PS6_PS9_PS4_
    .private_segment_fixed_size: 0
    .sgpr_count:     31
    .sgpr_spill_count: 0
    .symbol:         _ZN9rocsparseL42csr2bsr_wavefront_per_row_multipass_kernelILj256ELj64ELj16E21rocsparse_complex_numIdEilEEv20rocsparse_direction_T4_S4_S4_S4_S4_21rocsparse_index_base_PKT2_PKT3_PKS4_S5_PS6_PS9_PS4_.kd
    .uniform_work_group_size: 1
    .uses_dynamic_stack: false
    .vgpr_count:     57
    .vgpr_spill_count: 0
    .wavefront_size: 32
    .workgroup_processor_mode: 1
  - .args:
      - .offset:         0
        .size:           4
        .value_kind:     by_value
      - .offset:         8
        .size:           8
        .value_kind:     by_value
      - .offset:         16
        .size:           8
        .value_kind:     by_value
      - .offset:         24
        .size:           8
        .value_kind:     by_value
      - .offset:         32
        .size:           8
        .value_kind:     by_value
      - .offset:         40
        .size:           8
        .value_kind:     by_value
      - .offset:         48
        .size:           4
        .value_kind:     by_value
      - .actual_access:  read_only
        .address_space:  global
        .offset:         56
        .size:           8
        .value_kind:     global_buffer
      - .actual_access:  read_only
        .address_space:  global
        .offset:         64
        .size:           8
        .value_kind:     global_buffer
      - .actual_access:  read_only
        .address_space:  global
        .offset:         72
        .size:           8
        .value_kind:     global_buffer
      - .offset:         80
        .size:           4
        .value_kind:     by_value
      - .actual_access:  write_only
        .address_space:  global
        .offset:         88
        .size:           8
        .value_kind:     global_buffer
      - .actual_access:  read_only
        .address_space:  global
        .offset:         96
        .size:           8
        .value_kind:     global_buffer
      - .actual_access:  write_only
        .address_space:  global
        .offset:         104
        .size:           8
        .value_kind:     global_buffer
    .group_segment_fixed_size: 32776
    .kernarg_segment_align: 8
    .kernarg_segment_size: 112
    .language:       OpenCL C
    .language_version:
      - 2
      - 0
    .max_flat_workgroup_size: 256
    .name:           _ZN9rocsparseL42csr2bsr_wavefront_per_row_multipass_kernelILj256ELj32ELj16E21rocsparse_complex_numIdEilEEv20rocsparse_direction_T4_S4_S4_S4_S4_21rocsparse_index_base_PKT2_PKT3_PKS4_S5_PS6_PS9_PS4_
    .private_segment_fixed_size: 0
    .sgpr_count:     34
    .sgpr_spill_count: 0
    .symbol:         _ZN9rocsparseL42csr2bsr_wavefront_per_row_multipass_kernelILj256ELj32ELj16E21rocsparse_complex_numIdEilEEv20rocsparse_direction_T4_S4_S4_S4_S4_21rocsparse_index_base_PKT2_PKT3_PKS4_S5_PS6_PS9_PS4_.kd
    .uniform_work_group_size: 1
    .uses_dynamic_stack: false
    .vgpr_count:     70
    .vgpr_spill_count: 0
    .wavefront_size: 32
    .workgroup_processor_mode: 1
  - .args:
      - .offset:         0
        .size:           4
        .value_kind:     by_value
      - .offset:         8
        .size:           8
        .value_kind:     by_value
      - .offset:         16
        .size:           8
        .value_kind:     by_value
      - .offset:         24
        .size:           8
        .value_kind:     by_value
      - .offset:         32
        .size:           8
        .value_kind:     by_value
      - .offset:         40
        .size:           8
        .value_kind:     by_value
      - .offset:         48
        .size:           4
        .value_kind:     by_value
      - .actual_access:  read_only
        .address_space:  global
        .offset:         56
        .size:           8
        .value_kind:     global_buffer
      - .actual_access:  read_only
        .address_space:  global
        .offset:         64
        .size:           8
        .value_kind:     global_buffer
      - .actual_access:  read_only
        .address_space:  global
        .offset:         72
        .size:           8
        .value_kind:     global_buffer
      - .offset:         80
        .size:           4
        .value_kind:     by_value
      - .actual_access:  write_only
        .address_space:  global
        .offset:         88
        .size:           8
        .value_kind:     global_buffer
      - .actual_access:  read_only
        .address_space:  global
        .offset:         96
        .size:           8
        .value_kind:     global_buffer
      - .actual_access:  write_only
        .address_space:  global
        .offset:         104
        .size:           8
        .value_kind:     global_buffer
    .group_segment_fixed_size: 16392
    .kernarg_segment_align: 8
    .kernarg_segment_size: 112
    .language:       OpenCL C
    .language_version:
      - 2
      - 0
    .max_flat_workgroup_size: 256
    .name:           _ZN9rocsparseL38csr2bsr_block_per_row_multipass_kernelILj256ELj32E21rocsparse_complex_numIdEilEEv20rocsparse_direction_T3_S4_S4_S4_S4_21rocsparse_index_base_PKT1_PKT2_PKS4_S5_PS6_PS9_PS4_
    .private_segment_fixed_size: 0
    .sgpr_count:     42
    .sgpr_spill_count: 0
    .symbol:         _ZN9rocsparseL38csr2bsr_block_per_row_multipass_kernelILj256ELj32E21rocsparse_complex_numIdEilEEv20rocsparse_direction_T3_S4_S4_S4_S4_21rocsparse_index_base_PKT1_PKT2_PKS4_S5_PS6_PS9_PS4_.kd
    .uniform_work_group_size: 1
    .uses_dynamic_stack: false
    .vgpr_count:     49
    .vgpr_spill_count: 0
    .wavefront_size: 32
    .workgroup_processor_mode: 1
  - .args:
      - .offset:         0
        .size:           4
        .value_kind:     by_value
      - .offset:         8
        .size:           8
        .value_kind:     by_value
      - .offset:         16
        .size:           8
        .value_kind:     by_value
      - .offset:         24
        .size:           8
        .value_kind:     by_value
      - .offset:         32
        .size:           8
        .value_kind:     by_value
      - .offset:         40
        .size:           8
        .value_kind:     by_value
      - .offset:         48
        .size:           8
        .value_kind:     by_value
      - .offset:         56
        .size:           4
        .value_kind:     by_value
      - .actual_access:  read_only
        .address_space:  global
        .offset:         64
        .size:           8
        .value_kind:     global_buffer
      - .actual_access:  read_only
        .address_space:  global
        .offset:         72
        .size:           8
        .value_kind:     global_buffer
      - .actual_access:  read_only
        .address_space:  global
        .offset:         80
        .size:           8
        .value_kind:     global_buffer
      - .offset:         88
        .size:           4
        .value_kind:     by_value
      - .actual_access:  write_only
        .address_space:  global
        .offset:         96
        .size:           8
        .value_kind:     global_buffer
      - .actual_access:  read_only
        .address_space:  global
        .offset:         104
        .size:           8
        .value_kind:     global_buffer
      - .actual_access:  write_only
        .address_space:  global
        .offset:         112
        .size:           8
        .value_kind:     global_buffer
      - .address_space:  global
        .offset:         120
        .size:           8
        .value_kind:     global_buffer
      - .address_space:  global
        .offset:         128
        .size:           8
        .value_kind:     global_buffer
      - .address_space:  global
        .offset:         136
        .size:           8
        .value_kind:     global_buffer
    .group_segment_fixed_size: 0
    .kernarg_segment_align: 8
    .kernarg_segment_size: 144
    .language:       OpenCL C
    .language_version:
      - 2
      - 0
    .max_flat_workgroup_size: 32
    .name:           _ZN9rocsparseL21csr2bsr_65_inf_kernelILj32E21rocsparse_complex_numIdEilEEv20rocsparse_direction_T2_S4_S4_S4_S4_S4_21rocsparse_index_base_PKT0_PKT1_PKS4_S5_PS6_PS9_PS4_SF_SG_SE_
    .private_segment_fixed_size: 0
    .sgpr_count:     39
    .sgpr_spill_count: 0
    .symbol:         _ZN9rocsparseL21csr2bsr_65_inf_kernelILj32E21rocsparse_complex_numIdEilEEv20rocsparse_direction_T2_S4_S4_S4_S4_S4_21rocsparse_index_base_PKT0_PKT1_PKS4_S5_PS6_PS9_PS4_SF_SG_SE_.kd
    .uniform_work_group_size: 1
    .uses_dynamic_stack: false
    .vgpr_count:     52
    .vgpr_spill_count: 0
    .wavefront_size: 32
    .workgroup_processor_mode: 1
  - .args:
      - .offset:         0
        .size:           8
        .value_kind:     by_value
      - .offset:         8
        .size:           8
        .value_kind:     by_value
      - .offset:         16
        .size:           8
        .value_kind:     by_value
      - .offset:         24
        .size:           8
        .value_kind:     by_value
      - .offset:         32
        .size:           4
        .value_kind:     by_value
      - .address_space:  global
        .offset:         40
        .size:           8
        .value_kind:     global_buffer
      - .address_space:  global
        .offset:         48
        .size:           8
        .value_kind:     global_buffer
      - .address_space:  global
        .offset:         56
        .size:           8
        .value_kind:     global_buffer
      - .offset:         64
        .size:           4
        .value_kind:     by_value
      - .address_space:  global
        .offset:         72
        .size:           8
        .value_kind:     global_buffer
      - .address_space:  global
        .offset:         80
        .size:           8
        .value_kind:     global_buffer
      - .address_space:  global
        .offset:         88
        .size:           8
        .value_kind:     global_buffer
      - .offset:         96
        .size:           4
        .value_kind:     hidden_block_count_x
      - .offset:         100
        .size:           4
        .value_kind:     hidden_block_count_y
      - .offset:         104
        .size:           4
        .value_kind:     hidden_block_count_z
      - .offset:         108
        .size:           2
        .value_kind:     hidden_group_size_x
      - .offset:         110
        .size:           2
        .value_kind:     hidden_group_size_y
      - .offset:         112
        .size:           2
        .value_kind:     hidden_group_size_z
      - .offset:         114
        .size:           2
        .value_kind:     hidden_remainder_x
      - .offset:         116
        .size:           2
        .value_kind:     hidden_remainder_y
      - .offset:         118
        .size:           2
        .value_kind:     hidden_remainder_z
      - .offset:         136
        .size:           8
        .value_kind:     hidden_global_offset_x
      - .offset:         144
        .size:           8
        .value_kind:     hidden_global_offset_y
      - .offset:         152
        .size:           8
        .value_kind:     hidden_global_offset_z
      - .offset:         160
        .size:           2
        .value_kind:     hidden_grid_dims
    .group_segment_fixed_size: 0
    .kernarg_segment_align: 8
    .kernarg_segment_size: 352
    .language:       OpenCL C
    .language_version:
      - 2
      - 0
    .max_flat_workgroup_size: 256
    .name:           _ZN9rocsparseL35csr2bsr_block_dim_equals_one_kernelILj256E21rocsparse_complex_numIdEllEEvT2_S3_S3_S3_21rocsparse_index_base_PKT0_PKT1_PKS3_S4_PS5_PS8_PS3_
    .private_segment_fixed_size: 0
    .sgpr_count:     21
    .sgpr_spill_count: 0
    .symbol:         _ZN9rocsparseL35csr2bsr_block_dim_equals_one_kernelILj256E21rocsparse_complex_numIdEllEEvT2_S3_S3_S3_21rocsparse_index_base_PKT0_PKT1_PKS3_S4_PS5_PS8_PS3_.kd
    .uniform_work_group_size: 1
    .uses_dynamic_stack: false
    .vgpr_count:     12
    .vgpr_spill_count: 0
    .wavefront_size: 32
    .workgroup_processor_mode: 1
  - .args:
      - .offset:         0
        .size:           4
        .value_kind:     by_value
      - .offset:         8
        .size:           8
        .value_kind:     by_value
      - .offset:         16
        .size:           8
        .value_kind:     by_value
      - .offset:         24
        .size:           8
        .value_kind:     by_value
      - .offset:         32
        .size:           8
        .value_kind:     by_value
      - .offset:         40
        .size:           8
        .value_kind:     by_value
      - .offset:         48
        .size:           4
        .value_kind:     by_value
      - .actual_access:  read_only
        .address_space:  global
        .offset:         56
        .size:           8
        .value_kind:     global_buffer
      - .actual_access:  read_only
        .address_space:  global
        .offset:         64
        .size:           8
        .value_kind:     global_buffer
      - .actual_access:  read_only
        .address_space:  global
        .offset:         72
        .size:           8
        .value_kind:     global_buffer
      - .offset:         80
        .size:           4
        .value_kind:     by_value
      - .actual_access:  write_only
        .address_space:  global
        .offset:         88
        .size:           8
        .value_kind:     global_buffer
      - .actual_access:  read_only
        .address_space:  global
        .offset:         96
        .size:           8
        .value_kind:     global_buffer
      - .actual_access:  write_only
        .address_space:  global
        .offset:         104
        .size:           8
        .value_kind:     global_buffer
    .group_segment_fixed_size: 4112
    .kernarg_segment_align: 8
    .kernarg_segment_size: 112
    .language:       OpenCL C
    .language_version:
      - 2
      - 0
    .max_flat_workgroup_size: 256
    .name:           _ZN9rocsparseL42csr2bsr_wavefront_per_row_multipass_kernelILj256ELj16ELj4E21rocsparse_complex_numIdEllEEv20rocsparse_direction_T4_S4_S4_S4_S4_21rocsparse_index_base_PKT2_PKT3_PKS4_S5_PS6_PS9_PS4_
    .private_segment_fixed_size: 0
    .sgpr_count:     27
    .sgpr_spill_count: 0
    .symbol:         _ZN9rocsparseL42csr2bsr_wavefront_per_row_multipass_kernelILj256ELj16ELj4E21rocsparse_complex_numIdEllEEv20rocsparse_direction_T4_S4_S4_S4_S4_21rocsparse_index_base_PKT2_PKT3_PKS4_S5_PS6_PS9_PS4_.kd
    .uniform_work_group_size: 1
    .uses_dynamic_stack: false
    .vgpr_count:     48
    .vgpr_spill_count: 0
    .wavefront_size: 32
    .workgroup_processor_mode: 1
  - .args:
      - .offset:         0
        .size:           4
        .value_kind:     by_value
      - .offset:         8
        .size:           8
        .value_kind:     by_value
      - .offset:         16
        .size:           8
        .value_kind:     by_value
      - .offset:         24
        .size:           8
        .value_kind:     by_value
      - .offset:         32
        .size:           8
        .value_kind:     by_value
      - .offset:         40
        .size:           8
        .value_kind:     by_value
      - .offset:         48
        .size:           4
        .value_kind:     by_value
      - .actual_access:  read_only
        .address_space:  global
        .offset:         56
        .size:           8
        .value_kind:     global_buffer
      - .actual_access:  read_only
        .address_space:  global
        .offset:         64
        .size:           8
        .value_kind:     global_buffer
      - .actual_access:  read_only
        .address_space:  global
        .offset:         72
        .size:           8
        .value_kind:     global_buffer
      - .offset:         80
        .size:           4
        .value_kind:     by_value
      - .actual_access:  write_only
        .address_space:  global
        .offset:         88
        .size:           8
        .value_kind:     global_buffer
      - .actual_access:  read_only
        .address_space:  global
        .offset:         96
        .size:           8
        .value_kind:     global_buffer
      - .actual_access:  write_only
        .address_space:  global
        .offset:         104
        .size:           8
        .value_kind:     global_buffer
    .group_segment_fixed_size: 4104
    .kernarg_segment_align: 8
    .kernarg_segment_size: 112
    .language:       OpenCL C
    .language_version:
      - 2
      - 0
    .max_flat_workgroup_size: 256
    .name:           _ZN9rocsparseL42csr2bsr_wavefront_per_row_multipass_kernelILj256ELj64ELj8E21rocsparse_complex_numIdEllEEv20rocsparse_direction_T4_S4_S4_S4_S4_21rocsparse_index_base_PKT2_PKT3_PKS4_S5_PS6_PS9_PS4_
    .private_segment_fixed_size: 0
    .sgpr_count:     27
    .sgpr_spill_count: 0
    .symbol:         _ZN9rocsparseL42csr2bsr_wavefront_per_row_multipass_kernelILj256ELj64ELj8E21rocsparse_complex_numIdEllEEv20rocsparse_direction_T4_S4_S4_S4_S4_21rocsparse_index_base_PKT2_PKT3_PKS4_S5_PS6_PS9_PS4_.kd
    .uniform_work_group_size: 1
    .uses_dynamic_stack: false
    .vgpr_count:     50
    .vgpr_spill_count: 0
    .wavefront_size: 32
    .workgroup_processor_mode: 1
  - .args:
      - .offset:         0
        .size:           4
        .value_kind:     by_value
      - .offset:         8
        .size:           8
        .value_kind:     by_value
      - .offset:         16
        .size:           8
        .value_kind:     by_value
      - .offset:         24
        .size:           8
        .value_kind:     by_value
      - .offset:         32
        .size:           8
        .value_kind:     by_value
      - .offset:         40
        .size:           8
        .value_kind:     by_value
      - .offset:         48
        .size:           4
        .value_kind:     by_value
      - .actual_access:  read_only
        .address_space:  global
        .offset:         56
        .size:           8
        .value_kind:     global_buffer
      - .actual_access:  read_only
        .address_space:  global
        .offset:         64
        .size:           8
        .value_kind:     global_buffer
      - .actual_access:  read_only
        .address_space:  global
        .offset:         72
        .size:           8
        .value_kind:     global_buffer
      - .offset:         80
        .size:           4
        .value_kind:     by_value
      - .actual_access:  write_only
        .address_space:  global
        .offset:         88
        .size:           8
        .value_kind:     global_buffer
      - .actual_access:  read_only
        .address_space:  global
        .offset:         96
        .size:           8
        .value_kind:     global_buffer
      - .actual_access:  write_only
        .address_space:  global
        .offset:         104
        .size:           8
        .value_kind:     global_buffer
    .group_segment_fixed_size: 8200
    .kernarg_segment_align: 8
    .kernarg_segment_size: 112
    .language:       OpenCL C
    .language_version:
      - 2
      - 0
    .max_flat_workgroup_size: 256
    .name:           _ZN9rocsparseL42csr2bsr_wavefront_per_row_multipass_kernelILj256ELj32ELj8E21rocsparse_complex_numIdEllEEv20rocsparse_direction_T4_S4_S4_S4_S4_21rocsparse_index_base_PKT2_PKT3_PKS4_S5_PS6_PS9_PS4_
    .private_segment_fixed_size: 0
    .sgpr_count:     29
    .sgpr_spill_count: 0
    .symbol:         _ZN9rocsparseL42csr2bsr_wavefront_per_row_multipass_kernelILj256ELj32ELj8E21rocsparse_complex_numIdEllEEv20rocsparse_direction_T4_S4_S4_S4_S4_21rocsparse_index_base_PKT2_PKT3_PKS4_S5_PS6_PS9_PS4_.kd
    .uniform_work_group_size: 1
    .uses_dynamic_stack: false
    .vgpr_count:     56
    .vgpr_spill_count: 0
    .wavefront_size: 32
    .workgroup_processor_mode: 1
  - .args:
      - .offset:         0
        .size:           4
        .value_kind:     by_value
      - .offset:         8
        .size:           8
        .value_kind:     by_value
      - .offset:         16
        .size:           8
        .value_kind:     by_value
      - .offset:         24
        .size:           8
        .value_kind:     by_value
      - .offset:         32
        .size:           8
        .value_kind:     by_value
      - .offset:         40
        .size:           8
        .value_kind:     by_value
      - .offset:         48
        .size:           4
        .value_kind:     by_value
      - .actual_access:  read_only
        .address_space:  global
        .offset:         56
        .size:           8
        .value_kind:     global_buffer
      - .actual_access:  read_only
        .address_space:  global
        .offset:         64
        .size:           8
        .value_kind:     global_buffer
      - .actual_access:  read_only
        .address_space:  global
        .offset:         72
        .size:           8
        .value_kind:     global_buffer
      - .offset:         80
        .size:           4
        .value_kind:     by_value
      - .actual_access:  write_only
        .address_space:  global
        .offset:         88
        .size:           8
        .value_kind:     global_buffer
      - .actual_access:  read_only
        .address_space:  global
        .offset:         96
        .size:           8
        .value_kind:     global_buffer
      - .actual_access:  write_only
        .address_space:  global
        .offset:         104
        .size:           8
        .value_kind:     global_buffer
    .group_segment_fixed_size: 16392
    .kernarg_segment_align: 8
    .kernarg_segment_size: 112
    .language:       OpenCL C
    .language_version:
      - 2
      - 0
    .max_flat_workgroup_size: 256
    .name:           _ZN9rocsparseL42csr2bsr_wavefront_per_row_multipass_kernelILj256ELj64ELj16E21rocsparse_complex_numIdEllEEv20rocsparse_direction_T4_S4_S4_S4_S4_21rocsparse_index_base_PKT2_PKT3_PKS4_S5_PS6_PS9_PS4_
    .private_segment_fixed_size: 0
    .sgpr_count:     31
    .sgpr_spill_count: 0
    .symbol:         _ZN9rocsparseL42csr2bsr_wavefront_per_row_multipass_kernelILj256ELj64ELj16E21rocsparse_complex_numIdEllEEv20rocsparse_direction_T4_S4_S4_S4_S4_21rocsparse_index_base_PKT2_PKT3_PKS4_S5_PS6_PS9_PS4_.kd
    .uniform_work_group_size: 1
    .uses_dynamic_stack: false
    .vgpr_count:     63
    .vgpr_spill_count: 0
    .wavefront_size: 32
    .workgroup_processor_mode: 1
  - .args:
      - .offset:         0
        .size:           4
        .value_kind:     by_value
      - .offset:         8
        .size:           8
        .value_kind:     by_value
      - .offset:         16
        .size:           8
        .value_kind:     by_value
      - .offset:         24
        .size:           8
        .value_kind:     by_value
      - .offset:         32
        .size:           8
        .value_kind:     by_value
      - .offset:         40
        .size:           8
        .value_kind:     by_value
      - .offset:         48
        .size:           4
        .value_kind:     by_value
      - .actual_access:  read_only
        .address_space:  global
        .offset:         56
        .size:           8
        .value_kind:     global_buffer
      - .actual_access:  read_only
        .address_space:  global
        .offset:         64
        .size:           8
        .value_kind:     global_buffer
      - .actual_access:  read_only
        .address_space:  global
        .offset:         72
        .size:           8
        .value_kind:     global_buffer
      - .offset:         80
        .size:           4
        .value_kind:     by_value
      - .actual_access:  write_only
        .address_space:  global
        .offset:         88
        .size:           8
        .value_kind:     global_buffer
      - .actual_access:  read_only
        .address_space:  global
        .offset:         96
        .size:           8
        .value_kind:     global_buffer
      - .actual_access:  write_only
        .address_space:  global
        .offset:         104
        .size:           8
        .value_kind:     global_buffer
    .group_segment_fixed_size: 32776
    .kernarg_segment_align: 8
    .kernarg_segment_size: 112
    .language:       OpenCL C
    .language_version:
      - 2
      - 0
    .max_flat_workgroup_size: 256
    .name:           _ZN9rocsparseL42csr2bsr_wavefront_per_row_multipass_kernelILj256ELj32ELj16E21rocsparse_complex_numIdEllEEv20rocsparse_direction_T4_S4_S4_S4_S4_21rocsparse_index_base_PKT2_PKT3_PKS4_S5_PS6_PS9_PS4_
    .private_segment_fixed_size: 0
    .sgpr_count:     36
    .sgpr_spill_count: 0
    .symbol:         _ZN9rocsparseL42csr2bsr_wavefront_per_row_multipass_kernelILj256ELj32ELj16E21rocsparse_complex_numIdEllEEv20rocsparse_direction_T4_S4_S4_S4_S4_21rocsparse_index_base_PKT2_PKT3_PKS4_S5_PS6_PS9_PS4_.kd
    .uniform_work_group_size: 1
    .uses_dynamic_stack: false
    .vgpr_count:     75
    .vgpr_spill_count: 0
    .wavefront_size: 32
    .workgroup_processor_mode: 1
  - .args:
      - .offset:         0
        .size:           4
        .value_kind:     by_value
      - .offset:         8
        .size:           8
        .value_kind:     by_value
      - .offset:         16
        .size:           8
        .value_kind:     by_value
      - .offset:         24
        .size:           8
        .value_kind:     by_value
      - .offset:         32
        .size:           8
        .value_kind:     by_value
      - .offset:         40
        .size:           8
        .value_kind:     by_value
      - .offset:         48
        .size:           4
        .value_kind:     by_value
      - .actual_access:  read_only
        .address_space:  global
        .offset:         56
        .size:           8
        .value_kind:     global_buffer
      - .actual_access:  read_only
        .address_space:  global
        .offset:         64
        .size:           8
        .value_kind:     global_buffer
      - .actual_access:  read_only
        .address_space:  global
        .offset:         72
        .size:           8
        .value_kind:     global_buffer
      - .offset:         80
        .size:           4
        .value_kind:     by_value
      - .actual_access:  write_only
        .address_space:  global
        .offset:         88
        .size:           8
        .value_kind:     global_buffer
      - .actual_access:  read_only
        .address_space:  global
        .offset:         96
        .size:           8
        .value_kind:     global_buffer
      - .actual_access:  write_only
        .address_space:  global
        .offset:         104
        .size:           8
        .value_kind:     global_buffer
    .group_segment_fixed_size: 16392
    .kernarg_segment_align: 8
    .kernarg_segment_size: 112
    .language:       OpenCL C
    .language_version:
      - 2
      - 0
    .max_flat_workgroup_size: 256
    .name:           _ZN9rocsparseL38csr2bsr_block_per_row_multipass_kernelILj256ELj32E21rocsparse_complex_numIdEllEEv20rocsparse_direction_T3_S4_S4_S4_S4_21rocsparse_index_base_PKT1_PKT2_PKS4_S5_PS6_PS9_PS4_
    .private_segment_fixed_size: 0
    .sgpr_count:     43
    .sgpr_spill_count: 0
    .symbol:         _ZN9rocsparseL38csr2bsr_block_per_row_multipass_kernelILj256ELj32E21rocsparse_complex_numIdEllEEv20rocsparse_direction_T3_S4_S4_S4_S4_21rocsparse_index_base_PKT1_PKT2_PKS4_S5_PS6_PS9_PS4_.kd
    .uniform_work_group_size: 1
    .uses_dynamic_stack: false
    .vgpr_count:     54
    .vgpr_spill_count: 0
    .wavefront_size: 32
    .workgroup_processor_mode: 1
  - .args:
      - .offset:         0
        .size:           4
        .value_kind:     by_value
      - .offset:         8
        .size:           8
        .value_kind:     by_value
      - .offset:         16
        .size:           8
        .value_kind:     by_value
      - .offset:         24
        .size:           8
        .value_kind:     by_value
      - .offset:         32
        .size:           8
        .value_kind:     by_value
      - .offset:         40
        .size:           8
        .value_kind:     by_value
      - .offset:         48
        .size:           8
        .value_kind:     by_value
      - .offset:         56
        .size:           4
        .value_kind:     by_value
      - .actual_access:  read_only
        .address_space:  global
        .offset:         64
        .size:           8
        .value_kind:     global_buffer
      - .actual_access:  read_only
        .address_space:  global
        .offset:         72
        .size:           8
        .value_kind:     global_buffer
      - .actual_access:  read_only
        .address_space:  global
        .offset:         80
        .size:           8
        .value_kind:     global_buffer
      - .offset:         88
        .size:           4
        .value_kind:     by_value
      - .actual_access:  write_only
        .address_space:  global
        .offset:         96
        .size:           8
        .value_kind:     global_buffer
      - .actual_access:  read_only
        .address_space:  global
        .offset:         104
        .size:           8
        .value_kind:     global_buffer
      - .actual_access:  write_only
        .address_space:  global
        .offset:         112
        .size:           8
        .value_kind:     global_buffer
      - .address_space:  global
        .offset:         120
        .size:           8
        .value_kind:     global_buffer
      - .address_space:  global
        .offset:         128
        .size:           8
        .value_kind:     global_buffer
      - .address_space:  global
        .offset:         136
        .size:           8
        .value_kind:     global_buffer
    .group_segment_fixed_size: 0
    .kernarg_segment_align: 8
    .kernarg_segment_size: 144
    .language:       OpenCL C
    .language_version:
      - 2
      - 0
    .max_flat_workgroup_size: 32
    .name:           _ZN9rocsparseL21csr2bsr_65_inf_kernelILj32E21rocsparse_complex_numIdEllEEv20rocsparse_direction_T2_S4_S4_S4_S4_S4_21rocsparse_index_base_PKT0_PKT1_PKS4_S5_PS6_PS9_PS4_SF_SG_SE_
    .private_segment_fixed_size: 0
    .sgpr_count:     39
    .sgpr_spill_count: 0
    .symbol:         _ZN9rocsparseL21csr2bsr_65_inf_kernelILj32E21rocsparse_complex_numIdEllEEv20rocsparse_direction_T2_S4_S4_S4_S4_S4_21rocsparse_index_base_PKT0_PKT1_PKS4_S5_PS6_PS9_PS4_SF_SG_SE_.kd
    .uniform_work_group_size: 1
    .uses_dynamic_stack: false
    .vgpr_count:     52
    .vgpr_spill_count: 0
    .wavefront_size: 32
    .workgroup_processor_mode: 1
amdhsa.target:   amdgcn-amd-amdhsa--gfx1100
amdhsa.version:
  - 1
  - 2
...

	.end_amdgpu_metadata
